;; amdgpu-corpus repo=pytorch/pytorch kind=compiled arch=gfx950 opt=O3
	.amdgcn_target "amdgcn-amd-amdhsa--gfx950"
	.amdhsa_code_object_version 6
	.section	.text._ZN2at6native12_GLOBAL__N_133embedding_backward_feature_kernelIddiEEvPKT1_PKT_PS6_ili,"axG",@progbits,_ZN2at6native12_GLOBAL__N_133embedding_backward_feature_kernelIddiEEvPKT1_PKT_PS6_ili,comdat
	.globl	_ZN2at6native12_GLOBAL__N_133embedding_backward_feature_kernelIddiEEvPKT1_PKT_PS6_ili ; -- Begin function _ZN2at6native12_GLOBAL__N_133embedding_backward_feature_kernelIddiEEvPKT1_PKT_PS6_ili
	.p2align	8
	.type	_ZN2at6native12_GLOBAL__N_133embedding_backward_feature_kernelIddiEEvPKT1_PKT_PS6_ili,@function
_ZN2at6native12_GLOBAL__N_133embedding_backward_feature_kernelIddiEEvPKT1_PKT_PS6_ili: ; @_ZN2at6native12_GLOBAL__N_133embedding_backward_feature_kernelIddiEEvPKT1_PKT_PS6_ili
; %bb.0:
	s_load_dword s14, s[0:1], 0x18
	s_waitcnt lgkmcnt(0)
	s_cmp_lt_i32 s14, 1
	s_cbranch_scc1 .LBB0_18
; %bb.1:
	s_load_dwordx2 s[6:7], s[0:1], 0x20
	s_load_dword s3, s[0:1], 0x3c
	s_load_dword s15, s[0:1], 0x28
	s_load_dwordx4 s[8:11], s[0:1], 0x0
	s_load_dwordx2 s[4:5], s[0:1], 0x10
	v_and_b32_e32 v11, 0x3ff, v0
	s_waitcnt lgkmcnt(0)
	s_and_b32 s18, s3, 0xffff
	s_mul_i32 s2, s2, s18
	s_lshr_b32 s16, s3, 16
	v_add_u32_e32 v2, s2, v11
	v_bfe_u32 v10, v0, 10, 10
	s_lshl_b32 s0, s16, 9
	v_ashrrev_i32_e32 v3, 31, v2
	v_lshrrev_b32_e32 v0, 10, v0
	s_add_i32 s17, s0, 0
	v_mad_u32_u24 v12, v10, s18, v11
	v_lshlrev_b64 v[4:5], 3, v[2:3]
	v_lshl_add_u32 v15, v11, 3, 0
	v_lshlrev_b32_e64 v0, v0, 1
	s_mov_b32 s19, 0
	v_lshl_add_u32 v13, v12, 2, s17
	s_mul_i32 s18, s18, s16
	v_lshl_add_u32 v14, v11, 2, s17
	v_cmp_le_i32_e32 vcc, s6, v2
	v_cmp_gt_i32_e64 s[0:1], s6, v2
	v_lshl_add_u64 v[2:3], s[10:11], 0, v[4:5]
	v_lshl_add_u32 v16, v10, 9, v15
	v_lshl_add_u64 v[4:5], s[4:5], 0, v[4:5]
	v_ashrrev_i32_e32 v1, 31, v0
	s_branch .LBB0_3
.LBB0_2:                                ;   in Loop: Header=BB0_3 Depth=1
	s_cmp_lt_i32 s19, s14
	s_cbranch_scc0 .LBB0_18
.LBB0_3:                                ; =>This Loop Header: Depth=1
                                        ;     Child Loop BB0_7 Depth 2
                                        ;       Child Loop BB0_15 Depth 3
	s_mov_b32 s20, s19
	v_add_u32_e32 v6, s20, v12
	v_cmp_gt_i32_e64 s[2:3], s14, v6
	s_and_saveexec_b64 s[4:5], s[2:3]
	s_cbranch_execz .LBB0_5
; %bb.4:                                ;   in Loop: Header=BB0_3 Depth=1
	v_ashrrev_i32_e32 v7, 31, v6
	v_lshl_add_u64 v[6:7], v[6:7], 2, s[8:9]
	global_load_dword v6, v[6:7], off
	s_waitcnt vmcnt(0)
	ds_write_b32 v13, v6
.LBB0_5:                                ;   in Loop: Header=BB0_3 Depth=1
	s_or_b64 exec, exec, s[4:5]
	s_add_i32 s19, s20, s18
	s_min_u32 s21, s19, s14
	s_cmp_ge_i32 s20, s21
	s_mov_b32 s22, s20
	s_cbranch_scc0 .LBB0_7
	s_branch .LBB0_2
.LBB0_6:                                ;   in Loop: Header=BB0_7 Depth=2
	s_or_b64 exec, exec, s[10:11]
	s_add_i32 s22, s22, s16
	s_cmp_ge_i32 s22, s21
	s_cbranch_scc1 .LBB0_2
.LBB0_7:                                ;   Parent Loop BB0_3 Depth=1
                                        ; =>  This Loop Header: Depth=2
                                        ;       Child Loop BB0_15 Depth 3
	v_add_u32_e32 v6, s22, v10
	v_subrev_u32_e32 v7, s20, v6
	v_lshl_add_u32 v7, v7, 2, s17
	s_waitcnt lgkmcnt(0)
	s_barrier
	ds_read_b32 v17, v7
	v_cmp_le_i32_e64 s[2:3], s14, v6
	s_or_b64 s[10:11], vcc, s[2:3]
	s_waitcnt lgkmcnt(0)
	v_cmp_eq_u32_e64 s[4:5], s15, v17
	s_nor_b64 s[12:13], s[10:11], s[4:5]
	s_and_saveexec_b64 s[10:11], s[12:13]
	s_cbranch_execz .LBB0_9
; %bb.8:                                ;   in Loop: Header=BB0_7 Depth=2
	v_ashrrev_i32_e32 v7, 31, v6
	v_mul_lo_u32 v8, s7, v6
	v_mul_lo_u32 v9, s6, v7
	v_mad_u64_u32 v[6:7], s[12:13], s6, v6, 0
	v_add3_u32 v7, v7, v9, v8
	v_lshl_add_u64 v[6:7], v[6:7], 3, v[2:3]
	global_load_dwordx2 v[6:7], v[6:7], off
	s_waitcnt vmcnt(0)
	ds_write_b64 v16, v[6:7]
.LBB0_9:                                ;   in Loop: Header=BB0_7 Depth=2
	s_or_b64 exec, exec, s[10:11]
	s_nor_b64 s[2:3], s[2:3], s[4:5]
	s_waitcnt lgkmcnt(0)
	s_barrier
	s_and_saveexec_b64 s[10:11], s[2:3]
	s_cbranch_execz .LBB0_6
; %bb.10:                               ;   in Loop: Header=BB0_7 Depth=2
	s_sub_i32 s2, s21, s22
	s_min_u32 s2, s2, s16
	v_cmp_gt_u32_e64 s[2:3], s2, v11
	s_mov_b64 s[12:13], 0
	s_and_saveexec_b64 s[4:5], s[2:3]
	s_cbranch_execz .LBB0_12
; %bb.11:                               ;   in Loop: Header=BB0_7 Depth=2
	s_sub_i32 s2, s22, s20
	v_lshl_add_u32 v6, s2, 2, v14
	ds_read_b32 v6, v6
	s_waitcnt lgkmcnt(0)
	v_cmp_eq_u32_e64 s[2:3], v17, v6
	s_and_b64 s[12:13], s[2:3], exec
.LBB0_12:                               ;   in Loop: Header=BB0_7 Depth=2
	s_or_b64 exec, exec, s[4:5]
	v_cndmask_b32_e64 v6, 0, 1, s[12:13]
	v_cmp_ne_u32_e64 s[2:3], 0, v6
	s_cmp_lg_u64 s[2:3], 0
	s_ff1_i32_b64 s4, s[2:3]
	s_cselect_b64 s[12:13], -1, 0
	v_cmp_eq_u32_e64 s[4:5], s4, v10
	s_and_b64 s[4:5], s[12:13], s[4:5]
	s_and_b64 exec, exec, s[4:5]
	s_cbranch_execz .LBB0_6
; %bb.13:                               ;   in Loop: Header=BB0_7 Depth=2
	v_cmp_ne_u64_e64 s[4:5], s[2:3], v[0:1]
	s_and_saveexec_b64 s[12:13], s[4:5]
	s_cbranch_execz .LBB0_16
; %bb.14:                               ;   in Loop: Header=BB0_7 Depth=2
	ds_read_b64 v[6:7], v16
	v_xor_b32_e32 v9, s3, v1
	v_xor_b32_e32 v8, s2, v0
	s_mov_b64 s[4:5], 0
.LBB0_15:                               ;   Parent Loop BB0_3 Depth=1
                                        ;     Parent Loop BB0_7 Depth=2
                                        ; =>    This Inner Loop Header: Depth=3
	v_ffbl_b32_e32 v18, v9
	v_ffbl_b32_e32 v19, v8
	v_add_u32_e32 v18, 32, v18
	v_min_u32_e32 v18, v19, v18
	v_lshl_add_u32 v19, v18, 9, v15
	ds_read_b64 v[20:21], v19
	v_lshlrev_b32_e64 v18, v18, 1
	v_ashrrev_i32_e32 v19, 31, v18
	v_xor_b32_e32 v22, v8, v18
	v_xor_b32_e32 v23, v9, v19
	v_cmp_eq_u64_e64 s[2:3], v[8:9], v[18:19]
	s_or_b64 s[4:5], s[2:3], s[4:5]
	v_mov_b64_e32 v[8:9], v[22:23]
	s_waitcnt lgkmcnt(0)
	v_add_f64 v[6:7], v[20:21], v[6:7]
	ds_write_b64 v16, v[6:7]
	s_andn2_b64 exec, exec, s[4:5]
	s_cbranch_execnz .LBB0_15
.LBB0_16:                               ;   in Loop: Header=BB0_7 Depth=2
	s_or_b64 exec, exec, s[12:13]
	s_and_b64 exec, exec, s[0:1]
	s_cbranch_execz .LBB0_6
; %bb.17:                               ;   in Loop: Header=BB0_7 Depth=2
	v_ashrrev_i32_e32 v6, 31, v17
	v_mul_lo_u32 v8, s7, v17
	v_mul_lo_u32 v9, s6, v6
	v_mad_u64_u32 v[6:7], s[2:3], s6, v17, 0
	v_add3_u32 v7, v7, v9, v8
	v_lshl_add_u64 v[6:7], v[6:7], 3, v[4:5]
	global_load_dwordx2 v[8:9], v[6:7], off
	ds_read_b64 v[18:19], v16
	s_waitcnt vmcnt(0) lgkmcnt(0)
	v_add_f64 v[8:9], v[18:19], v[8:9]
	global_store_dwordx2 v[6:7], v[8:9], off
	s_branch .LBB0_6
.LBB0_18:
	s_endpgm
	.section	.rodata,"a",@progbits
	.p2align	6, 0x0
	.amdhsa_kernel _ZN2at6native12_GLOBAL__N_133embedding_backward_feature_kernelIddiEEvPKT1_PKT_PS6_ili
		.amdhsa_group_segment_fixed_size 0
		.amdhsa_private_segment_fixed_size 0
		.amdhsa_kernarg_size 304
		.amdhsa_user_sgpr_count 2
		.amdhsa_user_sgpr_dispatch_ptr 0
		.amdhsa_user_sgpr_queue_ptr 0
		.amdhsa_user_sgpr_kernarg_segment_ptr 1
		.amdhsa_user_sgpr_dispatch_id 0
		.amdhsa_user_sgpr_kernarg_preload_length 0
		.amdhsa_user_sgpr_kernarg_preload_offset 0
		.amdhsa_user_sgpr_private_segment_size 0
		.amdhsa_uses_dynamic_stack 0
		.amdhsa_enable_private_segment 0
		.amdhsa_system_sgpr_workgroup_id_x 1
		.amdhsa_system_sgpr_workgroup_id_y 0
		.amdhsa_system_sgpr_workgroup_id_z 0
		.amdhsa_system_sgpr_workgroup_info 0
		.amdhsa_system_vgpr_workitem_id 1
		.amdhsa_next_free_vgpr 24
		.amdhsa_next_free_sgpr 23
		.amdhsa_accum_offset 24
		.amdhsa_reserve_vcc 1
		.amdhsa_float_round_mode_32 0
		.amdhsa_float_round_mode_16_64 0
		.amdhsa_float_denorm_mode_32 3
		.amdhsa_float_denorm_mode_16_64 3
		.amdhsa_dx10_clamp 1
		.amdhsa_ieee_mode 1
		.amdhsa_fp16_overflow 0
		.amdhsa_tg_split 0
		.amdhsa_exception_fp_ieee_invalid_op 0
		.amdhsa_exception_fp_denorm_src 0
		.amdhsa_exception_fp_ieee_div_zero 0
		.amdhsa_exception_fp_ieee_overflow 0
		.amdhsa_exception_fp_ieee_underflow 0
		.amdhsa_exception_fp_ieee_inexact 0
		.amdhsa_exception_int_div_zero 0
	.end_amdhsa_kernel
	.section	.text._ZN2at6native12_GLOBAL__N_133embedding_backward_feature_kernelIddiEEvPKT1_PKT_PS6_ili,"axG",@progbits,_ZN2at6native12_GLOBAL__N_133embedding_backward_feature_kernelIddiEEvPKT1_PKT_PS6_ili,comdat
.Lfunc_end0:
	.size	_ZN2at6native12_GLOBAL__N_133embedding_backward_feature_kernelIddiEEvPKT1_PKT_PS6_ili, .Lfunc_end0-_ZN2at6native12_GLOBAL__N_133embedding_backward_feature_kernelIddiEEvPKT1_PKT_PS6_ili
                                        ; -- End function
	.set _ZN2at6native12_GLOBAL__N_133embedding_backward_feature_kernelIddiEEvPKT1_PKT_PS6_ili.num_vgpr, 24
	.set _ZN2at6native12_GLOBAL__N_133embedding_backward_feature_kernelIddiEEvPKT1_PKT_PS6_ili.num_agpr, 0
	.set _ZN2at6native12_GLOBAL__N_133embedding_backward_feature_kernelIddiEEvPKT1_PKT_PS6_ili.numbered_sgpr, 23
	.set _ZN2at6native12_GLOBAL__N_133embedding_backward_feature_kernelIddiEEvPKT1_PKT_PS6_ili.num_named_barrier, 0
	.set _ZN2at6native12_GLOBAL__N_133embedding_backward_feature_kernelIddiEEvPKT1_PKT_PS6_ili.private_seg_size, 0
	.set _ZN2at6native12_GLOBAL__N_133embedding_backward_feature_kernelIddiEEvPKT1_PKT_PS6_ili.uses_vcc, 1
	.set _ZN2at6native12_GLOBAL__N_133embedding_backward_feature_kernelIddiEEvPKT1_PKT_PS6_ili.uses_flat_scratch, 0
	.set _ZN2at6native12_GLOBAL__N_133embedding_backward_feature_kernelIddiEEvPKT1_PKT_PS6_ili.has_dyn_sized_stack, 0
	.set _ZN2at6native12_GLOBAL__N_133embedding_backward_feature_kernelIddiEEvPKT1_PKT_PS6_ili.has_recursion, 0
	.set _ZN2at6native12_GLOBAL__N_133embedding_backward_feature_kernelIddiEEvPKT1_PKT_PS6_ili.has_indirect_call, 0
	.section	.AMDGPU.csdata,"",@progbits
; Kernel info:
; codeLenInByte = 828
; TotalNumSgprs: 29
; NumVgprs: 24
; NumAgprs: 0
; TotalNumVgprs: 24
; ScratchSize: 0
; MemoryBound: 0
; FloatMode: 240
; IeeeMode: 1
; LDSByteSize: 0 bytes/workgroup (compile time only)
; SGPRBlocks: 3
; VGPRBlocks: 2
; NumSGPRsForWavesPerEU: 29
; NumVGPRsForWavesPerEU: 24
; AccumOffset: 24
; Occupancy: 8
; WaveLimiterHint : 0
; COMPUTE_PGM_RSRC2:SCRATCH_EN: 0
; COMPUTE_PGM_RSRC2:USER_SGPR: 2
; COMPUTE_PGM_RSRC2:TRAP_HANDLER: 0
; COMPUTE_PGM_RSRC2:TGID_X_EN: 1
; COMPUTE_PGM_RSRC2:TGID_Y_EN: 0
; COMPUTE_PGM_RSRC2:TGID_Z_EN: 0
; COMPUTE_PGM_RSRC2:TIDIG_COMP_CNT: 1
; COMPUTE_PGM_RSRC3_GFX90A:ACCUM_OFFSET: 5
; COMPUTE_PGM_RSRC3_GFX90A:TG_SPLIT: 0
	.section	.text._ZN2at6native12_GLOBAL__N_133embedding_backward_feature_kernelIddlEEvPKT1_PKT_PS6_ili,"axG",@progbits,_ZN2at6native12_GLOBAL__N_133embedding_backward_feature_kernelIddlEEvPKT1_PKT_PS6_ili,comdat
	.globl	_ZN2at6native12_GLOBAL__N_133embedding_backward_feature_kernelIddlEEvPKT1_PKT_PS6_ili ; -- Begin function _ZN2at6native12_GLOBAL__N_133embedding_backward_feature_kernelIddlEEvPKT1_PKT_PS6_ili
	.p2align	8
	.type	_ZN2at6native12_GLOBAL__N_133embedding_backward_feature_kernelIddlEEvPKT1_PKT_PS6_ili,@function
_ZN2at6native12_GLOBAL__N_133embedding_backward_feature_kernelIddlEEvPKT1_PKT_PS6_ili: ; @_ZN2at6native12_GLOBAL__N_133embedding_backward_feature_kernelIddlEEvPKT1_PKT_PS6_ili
; %bb.0:
	s_load_dword s14, s[0:1], 0x18
	s_waitcnt lgkmcnt(0)
	s_cmp_lt_i32 s14, 1
	s_cbranch_scc1 .LBB1_18
; %bb.1:
	s_load_dwordx2 s[6:7], s[0:1], 0x20
	s_load_dword s3, s[0:1], 0x3c
	s_load_dword s15, s[0:1], 0x28
	s_load_dwordx4 s[8:11], s[0:1], 0x0
	s_load_dwordx2 s[4:5], s[0:1], 0x10
	v_and_b32_e32 v11, 0x3ff, v0
	s_waitcnt lgkmcnt(0)
	s_and_b32 s18, s3, 0xffff
	s_mul_i32 s2, s2, s18
	s_lshr_b32 s16, s3, 16
	v_add_u32_e32 v2, s2, v11
	v_bfe_u32 v10, v0, 10, 10
	s_lshl_b32 s0, s16, 9
	v_ashrrev_i32_e32 v3, 31, v2
	v_lshrrev_b32_e32 v0, 10, v0
	s_add_i32 s17, s0, 0
	v_mad_u32_u24 v12, v10, s18, v11
	v_lshlrev_b64 v[4:5], 3, v[2:3]
	v_lshl_add_u32 v15, v11, 3, 0
	v_lshlrev_b32_e64 v0, v0, 1
	s_mov_b32 s19, 0
	v_lshl_add_u32 v13, v12, 2, s17
	s_mul_i32 s18, s18, s16
	v_lshl_add_u32 v14, v11, 2, s17
	v_cmp_le_i32_e32 vcc, s6, v2
	v_cmp_gt_i32_e64 s[0:1], s6, v2
	v_lshl_add_u64 v[2:3], s[10:11], 0, v[4:5]
	v_lshl_add_u32 v16, v10, 9, v15
	v_lshl_add_u64 v[4:5], s[4:5], 0, v[4:5]
	v_ashrrev_i32_e32 v1, 31, v0
	s_branch .LBB1_3
.LBB1_2:                                ;   in Loop: Header=BB1_3 Depth=1
	s_cmp_lt_i32 s19, s14
	s_cbranch_scc0 .LBB1_18
.LBB1_3:                                ; =>This Loop Header: Depth=1
                                        ;     Child Loop BB1_7 Depth 2
                                        ;       Child Loop BB1_15 Depth 3
	s_mov_b32 s20, s19
	v_add_u32_e32 v6, s20, v12
	v_cmp_gt_i32_e64 s[2:3], s14, v6
	s_and_saveexec_b64 s[4:5], s[2:3]
	s_cbranch_execz .LBB1_5
; %bb.4:                                ;   in Loop: Header=BB1_3 Depth=1
	v_ashrrev_i32_e32 v7, 31, v6
	v_lshl_add_u64 v[6:7], v[6:7], 3, s[8:9]
	global_load_dword v6, v[6:7], off
	s_waitcnt vmcnt(0)
	ds_write_b32 v13, v6
.LBB1_5:                                ;   in Loop: Header=BB1_3 Depth=1
	s_or_b64 exec, exec, s[4:5]
	s_add_i32 s19, s20, s18
	s_min_u32 s21, s19, s14
	s_cmp_ge_i32 s20, s21
	s_mov_b32 s22, s20
	s_cbranch_scc0 .LBB1_7
	s_branch .LBB1_2
.LBB1_6:                                ;   in Loop: Header=BB1_7 Depth=2
	s_or_b64 exec, exec, s[10:11]
	s_add_i32 s22, s22, s16
	s_cmp_ge_i32 s22, s21
	s_cbranch_scc1 .LBB1_2
.LBB1_7:                                ;   Parent Loop BB1_3 Depth=1
                                        ; =>  This Loop Header: Depth=2
                                        ;       Child Loop BB1_15 Depth 3
	v_add_u32_e32 v6, s22, v10
	v_subrev_u32_e32 v7, s20, v6
	v_lshl_add_u32 v7, v7, 2, s17
	s_waitcnt lgkmcnt(0)
	s_barrier
	ds_read_b32 v17, v7
	v_cmp_le_i32_e64 s[2:3], s14, v6
	s_or_b64 s[10:11], vcc, s[2:3]
	s_waitcnt lgkmcnt(0)
	v_cmp_eq_u32_e64 s[4:5], s15, v17
	s_nor_b64 s[12:13], s[10:11], s[4:5]
	s_and_saveexec_b64 s[10:11], s[12:13]
	s_cbranch_execz .LBB1_9
; %bb.8:                                ;   in Loop: Header=BB1_7 Depth=2
	v_ashrrev_i32_e32 v7, 31, v6
	v_mul_lo_u32 v8, s7, v6
	v_mul_lo_u32 v9, s6, v7
	v_mad_u64_u32 v[6:7], s[12:13], s6, v6, 0
	v_add3_u32 v7, v7, v9, v8
	v_lshl_add_u64 v[6:7], v[6:7], 3, v[2:3]
	global_load_dwordx2 v[6:7], v[6:7], off
	s_waitcnt vmcnt(0)
	ds_write_b64 v16, v[6:7]
.LBB1_9:                                ;   in Loop: Header=BB1_7 Depth=2
	s_or_b64 exec, exec, s[10:11]
	s_nor_b64 s[2:3], s[2:3], s[4:5]
	s_waitcnt lgkmcnt(0)
	s_barrier
	s_and_saveexec_b64 s[10:11], s[2:3]
	s_cbranch_execz .LBB1_6
; %bb.10:                               ;   in Loop: Header=BB1_7 Depth=2
	s_sub_i32 s2, s21, s22
	s_min_u32 s2, s2, s16
	v_cmp_gt_u32_e64 s[2:3], s2, v11
	s_mov_b64 s[12:13], 0
	s_and_saveexec_b64 s[4:5], s[2:3]
	s_cbranch_execz .LBB1_12
; %bb.11:                               ;   in Loop: Header=BB1_7 Depth=2
	s_sub_i32 s2, s22, s20
	v_lshl_add_u32 v6, s2, 2, v14
	ds_read_b32 v6, v6
	s_waitcnt lgkmcnt(0)
	v_cmp_eq_u32_e64 s[2:3], v17, v6
	s_and_b64 s[12:13], s[2:3], exec
.LBB1_12:                               ;   in Loop: Header=BB1_7 Depth=2
	s_or_b64 exec, exec, s[4:5]
	v_cndmask_b32_e64 v6, 0, 1, s[12:13]
	v_cmp_ne_u32_e64 s[2:3], 0, v6
	s_cmp_lg_u64 s[2:3], 0
	s_ff1_i32_b64 s4, s[2:3]
	s_cselect_b64 s[12:13], -1, 0
	v_cmp_eq_u32_e64 s[4:5], s4, v10
	s_and_b64 s[4:5], s[12:13], s[4:5]
	s_and_b64 exec, exec, s[4:5]
	s_cbranch_execz .LBB1_6
; %bb.13:                               ;   in Loop: Header=BB1_7 Depth=2
	v_cmp_ne_u64_e64 s[4:5], s[2:3], v[0:1]
	s_and_saveexec_b64 s[12:13], s[4:5]
	s_cbranch_execz .LBB1_16
; %bb.14:                               ;   in Loop: Header=BB1_7 Depth=2
	ds_read_b64 v[6:7], v16
	v_xor_b32_e32 v9, s3, v1
	v_xor_b32_e32 v8, s2, v0
	s_mov_b64 s[4:5], 0
.LBB1_15:                               ;   Parent Loop BB1_3 Depth=1
                                        ;     Parent Loop BB1_7 Depth=2
                                        ; =>    This Inner Loop Header: Depth=3
	v_ffbl_b32_e32 v18, v9
	v_ffbl_b32_e32 v19, v8
	v_add_u32_e32 v18, 32, v18
	v_min_u32_e32 v18, v19, v18
	v_lshl_add_u32 v19, v18, 9, v15
	ds_read_b64 v[20:21], v19
	v_lshlrev_b32_e64 v18, v18, 1
	v_ashrrev_i32_e32 v19, 31, v18
	v_xor_b32_e32 v22, v8, v18
	v_xor_b32_e32 v23, v9, v19
	v_cmp_eq_u64_e64 s[2:3], v[8:9], v[18:19]
	s_or_b64 s[4:5], s[2:3], s[4:5]
	v_mov_b64_e32 v[8:9], v[22:23]
	s_waitcnt lgkmcnt(0)
	v_add_f64 v[6:7], v[20:21], v[6:7]
	ds_write_b64 v16, v[6:7]
	s_andn2_b64 exec, exec, s[4:5]
	s_cbranch_execnz .LBB1_15
.LBB1_16:                               ;   in Loop: Header=BB1_7 Depth=2
	s_or_b64 exec, exec, s[12:13]
	s_and_b64 exec, exec, s[0:1]
	s_cbranch_execz .LBB1_6
; %bb.17:                               ;   in Loop: Header=BB1_7 Depth=2
	v_ashrrev_i32_e32 v6, 31, v17
	v_mul_lo_u32 v8, s7, v17
	v_mul_lo_u32 v9, s6, v6
	v_mad_u64_u32 v[6:7], s[2:3], s6, v17, 0
	v_add3_u32 v7, v7, v9, v8
	v_lshl_add_u64 v[6:7], v[6:7], 3, v[4:5]
	global_load_dwordx2 v[8:9], v[6:7], off
	ds_read_b64 v[18:19], v16
	s_waitcnt vmcnt(0) lgkmcnt(0)
	v_add_f64 v[8:9], v[18:19], v[8:9]
	global_store_dwordx2 v[6:7], v[8:9], off
	s_branch .LBB1_6
.LBB1_18:
	s_endpgm
	.section	.rodata,"a",@progbits
	.p2align	6, 0x0
	.amdhsa_kernel _ZN2at6native12_GLOBAL__N_133embedding_backward_feature_kernelIddlEEvPKT1_PKT_PS6_ili
		.amdhsa_group_segment_fixed_size 0
		.amdhsa_private_segment_fixed_size 0
		.amdhsa_kernarg_size 304
		.amdhsa_user_sgpr_count 2
		.amdhsa_user_sgpr_dispatch_ptr 0
		.amdhsa_user_sgpr_queue_ptr 0
		.amdhsa_user_sgpr_kernarg_segment_ptr 1
		.amdhsa_user_sgpr_dispatch_id 0
		.amdhsa_user_sgpr_kernarg_preload_length 0
		.amdhsa_user_sgpr_kernarg_preload_offset 0
		.amdhsa_user_sgpr_private_segment_size 0
		.amdhsa_uses_dynamic_stack 0
		.amdhsa_enable_private_segment 0
		.amdhsa_system_sgpr_workgroup_id_x 1
		.amdhsa_system_sgpr_workgroup_id_y 0
		.amdhsa_system_sgpr_workgroup_id_z 0
		.amdhsa_system_sgpr_workgroup_info 0
		.amdhsa_system_vgpr_workitem_id 1
		.amdhsa_next_free_vgpr 24
		.amdhsa_next_free_sgpr 23
		.amdhsa_accum_offset 24
		.amdhsa_reserve_vcc 1
		.amdhsa_float_round_mode_32 0
		.amdhsa_float_round_mode_16_64 0
		.amdhsa_float_denorm_mode_32 3
		.amdhsa_float_denorm_mode_16_64 3
		.amdhsa_dx10_clamp 1
		.amdhsa_ieee_mode 1
		.amdhsa_fp16_overflow 0
		.amdhsa_tg_split 0
		.amdhsa_exception_fp_ieee_invalid_op 0
		.amdhsa_exception_fp_denorm_src 0
		.amdhsa_exception_fp_ieee_div_zero 0
		.amdhsa_exception_fp_ieee_overflow 0
		.amdhsa_exception_fp_ieee_underflow 0
		.amdhsa_exception_fp_ieee_inexact 0
		.amdhsa_exception_int_div_zero 0
	.end_amdhsa_kernel
	.section	.text._ZN2at6native12_GLOBAL__N_133embedding_backward_feature_kernelIddlEEvPKT1_PKT_PS6_ili,"axG",@progbits,_ZN2at6native12_GLOBAL__N_133embedding_backward_feature_kernelIddlEEvPKT1_PKT_PS6_ili,comdat
.Lfunc_end1:
	.size	_ZN2at6native12_GLOBAL__N_133embedding_backward_feature_kernelIddlEEvPKT1_PKT_PS6_ili, .Lfunc_end1-_ZN2at6native12_GLOBAL__N_133embedding_backward_feature_kernelIddlEEvPKT1_PKT_PS6_ili
                                        ; -- End function
	.set _ZN2at6native12_GLOBAL__N_133embedding_backward_feature_kernelIddlEEvPKT1_PKT_PS6_ili.num_vgpr, 24
	.set _ZN2at6native12_GLOBAL__N_133embedding_backward_feature_kernelIddlEEvPKT1_PKT_PS6_ili.num_agpr, 0
	.set _ZN2at6native12_GLOBAL__N_133embedding_backward_feature_kernelIddlEEvPKT1_PKT_PS6_ili.numbered_sgpr, 23
	.set _ZN2at6native12_GLOBAL__N_133embedding_backward_feature_kernelIddlEEvPKT1_PKT_PS6_ili.num_named_barrier, 0
	.set _ZN2at6native12_GLOBAL__N_133embedding_backward_feature_kernelIddlEEvPKT1_PKT_PS6_ili.private_seg_size, 0
	.set _ZN2at6native12_GLOBAL__N_133embedding_backward_feature_kernelIddlEEvPKT1_PKT_PS6_ili.uses_vcc, 1
	.set _ZN2at6native12_GLOBAL__N_133embedding_backward_feature_kernelIddlEEvPKT1_PKT_PS6_ili.uses_flat_scratch, 0
	.set _ZN2at6native12_GLOBAL__N_133embedding_backward_feature_kernelIddlEEvPKT1_PKT_PS6_ili.has_dyn_sized_stack, 0
	.set _ZN2at6native12_GLOBAL__N_133embedding_backward_feature_kernelIddlEEvPKT1_PKT_PS6_ili.has_recursion, 0
	.set _ZN2at6native12_GLOBAL__N_133embedding_backward_feature_kernelIddlEEvPKT1_PKT_PS6_ili.has_indirect_call, 0
	.section	.AMDGPU.csdata,"",@progbits
; Kernel info:
; codeLenInByte = 828
; TotalNumSgprs: 29
; NumVgprs: 24
; NumAgprs: 0
; TotalNumVgprs: 24
; ScratchSize: 0
; MemoryBound: 0
; FloatMode: 240
; IeeeMode: 1
; LDSByteSize: 0 bytes/workgroup (compile time only)
; SGPRBlocks: 3
; VGPRBlocks: 2
; NumSGPRsForWavesPerEU: 29
; NumVGPRsForWavesPerEU: 24
; AccumOffset: 24
; Occupancy: 8
; WaveLimiterHint : 0
; COMPUTE_PGM_RSRC2:SCRATCH_EN: 0
; COMPUTE_PGM_RSRC2:USER_SGPR: 2
; COMPUTE_PGM_RSRC2:TRAP_HANDLER: 0
; COMPUTE_PGM_RSRC2:TGID_X_EN: 1
; COMPUTE_PGM_RSRC2:TGID_Y_EN: 0
; COMPUTE_PGM_RSRC2:TGID_Z_EN: 0
; COMPUTE_PGM_RSRC2:TIDIG_COMP_CNT: 1
; COMPUTE_PGM_RSRC3_GFX90A:ACCUM_OFFSET: 5
; COMPUTE_PGM_RSRC3_GFX90A:TG_SPLIT: 0
	.section	.text._ZN2at6native12_GLOBAL__N_133embedding_backward_feature_kernelIffiEEvPKT1_PKT_PS6_ili,"axG",@progbits,_ZN2at6native12_GLOBAL__N_133embedding_backward_feature_kernelIffiEEvPKT1_PKT_PS6_ili,comdat
	.globl	_ZN2at6native12_GLOBAL__N_133embedding_backward_feature_kernelIffiEEvPKT1_PKT_PS6_ili ; -- Begin function _ZN2at6native12_GLOBAL__N_133embedding_backward_feature_kernelIffiEEvPKT1_PKT_PS6_ili
	.p2align	8
	.type	_ZN2at6native12_GLOBAL__N_133embedding_backward_feature_kernelIffiEEvPKT1_PKT_PS6_ili,@function
_ZN2at6native12_GLOBAL__N_133embedding_backward_feature_kernelIffiEEvPKT1_PKT_PS6_ili: ; @_ZN2at6native12_GLOBAL__N_133embedding_backward_feature_kernelIffiEEvPKT1_PKT_PS6_ili
; %bb.0:
	s_load_dword s14, s[0:1], 0x18
	s_waitcnt lgkmcnt(0)
	s_cmp_lt_i32 s14, 1
	s_cbranch_scc1 .LBB2_18
; %bb.1:
	s_load_dwordx2 s[6:7], s[0:1], 0x20
	s_load_dword s3, s[0:1], 0x3c
	s_load_dword s15, s[0:1], 0x28
	s_load_dwordx4 s[8:11], s[0:1], 0x0
	s_load_dwordx2 s[4:5], s[0:1], 0x10
	v_and_b32_e32 v9, 0x3ff, v0
	s_waitcnt lgkmcnt(0)
	s_and_b32 s18, s3, 0xffff
	s_mul_i32 s2, s2, s18
	s_lshr_b32 s16, s3, 16
	v_add_u32_e32 v2, s2, v9
	v_bfe_u32 v8, v0, 10, 10
	s_lshl_b32 s0, s16, 8
	v_lshlrev_b32_e32 v1, 2, v9
	v_ashrrev_i32_e32 v3, 31, v2
	v_lshrrev_b32_e32 v0, 10, v0
	s_add_i32 s17, s0, 0
	v_mad_u32_u24 v10, v8, s18, v9
	v_lshlrev_b64 v[4:5], 2, v[2:3]
	v_add_u32_e32 v13, 0, v1
	v_lshlrev_b32_e64 v0, v0, 1
	s_mov_b32 s19, 0
	v_lshl_add_u32 v11, v10, 2, s17
	s_mul_i32 s18, s18, s16
	v_add_u32_e32 v12, s17, v1
	v_cmp_le_i32_e32 vcc, s6, v2
	v_cmp_gt_i32_e64 s[0:1], s6, v2
	v_lshl_add_u64 v[2:3], s[10:11], 0, v[4:5]
	v_lshl_add_u32 v14, v8, 8, v13
	v_lshl_add_u64 v[4:5], s[4:5], 0, v[4:5]
	v_ashrrev_i32_e32 v1, 31, v0
	s_branch .LBB2_3
.LBB2_2:                                ;   in Loop: Header=BB2_3 Depth=1
	s_cmp_lt_i32 s19, s14
	s_cbranch_scc0 .LBB2_18
.LBB2_3:                                ; =>This Loop Header: Depth=1
                                        ;     Child Loop BB2_7 Depth 2
                                        ;       Child Loop BB2_15 Depth 3
	s_mov_b32 s20, s19
	v_add_u32_e32 v6, s20, v10
	v_cmp_gt_i32_e64 s[2:3], s14, v6
	s_and_saveexec_b64 s[4:5], s[2:3]
	s_cbranch_execz .LBB2_5
; %bb.4:                                ;   in Loop: Header=BB2_3 Depth=1
	v_ashrrev_i32_e32 v7, 31, v6
	v_lshl_add_u64 v[6:7], v[6:7], 2, s[8:9]
	global_load_dword v6, v[6:7], off
	s_waitcnt vmcnt(0)
	ds_write_b32 v11, v6
.LBB2_5:                                ;   in Loop: Header=BB2_3 Depth=1
	s_or_b64 exec, exec, s[4:5]
	s_add_i32 s19, s20, s18
	s_min_u32 s21, s19, s14
	s_cmp_ge_i32 s20, s21
	s_mov_b32 s22, s20
	s_cbranch_scc0 .LBB2_7
	s_branch .LBB2_2
.LBB2_6:                                ;   in Loop: Header=BB2_7 Depth=2
	s_or_b64 exec, exec, s[10:11]
	s_add_i32 s22, s22, s16
	s_cmp_ge_i32 s22, s21
	s_cbranch_scc1 .LBB2_2
.LBB2_7:                                ;   Parent Loop BB2_3 Depth=1
                                        ; =>  This Loop Header: Depth=2
                                        ;       Child Loop BB2_15 Depth 3
	v_add_u32_e32 v6, s22, v8
	v_subrev_u32_e32 v7, s20, v6
	v_lshl_add_u32 v7, v7, 2, s17
	s_waitcnt lgkmcnt(0)
	s_barrier
	ds_read_b32 v15, v7
	v_cmp_le_i32_e64 s[2:3], s14, v6
	s_or_b64 s[10:11], vcc, s[2:3]
	s_waitcnt lgkmcnt(0)
	v_cmp_eq_u32_e64 s[4:5], s15, v15
	s_nor_b64 s[12:13], s[10:11], s[4:5]
	s_and_saveexec_b64 s[10:11], s[12:13]
	s_cbranch_execz .LBB2_9
; %bb.8:                                ;   in Loop: Header=BB2_7 Depth=2
	v_ashrrev_i32_e32 v7, 31, v6
	v_mul_lo_u32 v16, s7, v6
	v_mul_lo_u32 v17, s6, v7
	v_mad_u64_u32 v[6:7], s[12:13], s6, v6, 0
	v_add3_u32 v7, v7, v17, v16
	v_lshl_add_u64 v[6:7], v[6:7], 2, v[2:3]
	global_load_dword v6, v[6:7], off
	s_waitcnt vmcnt(0)
	ds_write_b32 v14, v6
.LBB2_9:                                ;   in Loop: Header=BB2_7 Depth=2
	s_or_b64 exec, exec, s[10:11]
	s_nor_b64 s[2:3], s[2:3], s[4:5]
	s_waitcnt lgkmcnt(0)
	s_barrier
	s_and_saveexec_b64 s[10:11], s[2:3]
	s_cbranch_execz .LBB2_6
; %bb.10:                               ;   in Loop: Header=BB2_7 Depth=2
	s_sub_i32 s2, s21, s22
	s_min_u32 s2, s2, s16
	v_cmp_gt_u32_e64 s[2:3], s2, v9
	s_mov_b64 s[12:13], 0
	s_and_saveexec_b64 s[4:5], s[2:3]
	s_cbranch_execz .LBB2_12
; %bb.11:                               ;   in Loop: Header=BB2_7 Depth=2
	s_sub_i32 s2, s22, s20
	v_lshl_add_u32 v6, s2, 2, v12
	ds_read_b32 v6, v6
	s_waitcnt lgkmcnt(0)
	v_cmp_eq_u32_e64 s[2:3], v15, v6
	s_and_b64 s[12:13], s[2:3], exec
.LBB2_12:                               ;   in Loop: Header=BB2_7 Depth=2
	s_or_b64 exec, exec, s[4:5]
	v_cndmask_b32_e64 v6, 0, 1, s[12:13]
	v_cmp_ne_u32_e64 s[2:3], 0, v6
	s_cmp_lg_u64 s[2:3], 0
	s_ff1_i32_b64 s4, s[2:3]
	s_cselect_b64 s[12:13], -1, 0
	v_cmp_eq_u32_e64 s[4:5], s4, v8
	s_and_b64 s[4:5], s[12:13], s[4:5]
	s_and_b64 exec, exec, s[4:5]
	s_cbranch_execz .LBB2_6
; %bb.13:                               ;   in Loop: Header=BB2_7 Depth=2
	v_cmp_ne_u64_e64 s[4:5], s[2:3], v[0:1]
	s_and_saveexec_b64 s[12:13], s[4:5]
	s_cbranch_execz .LBB2_16
; %bb.14:                               ;   in Loop: Header=BB2_7 Depth=2
	ds_read_b32 v16, v14
	v_xor_b32_e32 v7, s3, v1
	v_xor_b32_e32 v6, s2, v0
	s_mov_b64 s[4:5], 0
.LBB2_15:                               ;   Parent Loop BB2_3 Depth=1
                                        ;     Parent Loop BB2_7 Depth=2
                                        ; =>    This Inner Loop Header: Depth=3
	v_ffbl_b32_e32 v17, v7
	v_ffbl_b32_e32 v18, v6
	v_add_u32_e32 v17, 32, v17
	v_min_u32_e32 v17, v18, v17
	v_lshl_add_u32 v19, v17, 8, v13
	v_lshlrev_b32_e64 v18, v17, 1
	ds_read_b32 v17, v19
	v_ashrrev_i32_e32 v19, 31, v18
	v_xor_b32_e32 v20, v6, v18
	v_xor_b32_e32 v21, v7, v19
	v_cmp_eq_u64_e64 s[2:3], v[6:7], v[18:19]
	s_or_b64 s[4:5], s[2:3], s[4:5]
	v_mov_b64_e32 v[6:7], v[20:21]
	s_waitcnt lgkmcnt(0)
	v_add_f32_e32 v16, v17, v16
	ds_write_b32 v14, v16
	s_andn2_b64 exec, exec, s[4:5]
	s_cbranch_execnz .LBB2_15
.LBB2_16:                               ;   in Loop: Header=BB2_7 Depth=2
	s_or_b64 exec, exec, s[12:13]
	s_and_b64 exec, exec, s[0:1]
	s_cbranch_execz .LBB2_6
; %bb.17:                               ;   in Loop: Header=BB2_7 Depth=2
	v_ashrrev_i32_e32 v6, 31, v15
	v_mul_lo_u32 v16, s7, v15
	v_mul_lo_u32 v17, s6, v6
	v_mad_u64_u32 v[6:7], s[2:3], s6, v15, 0
	v_add3_u32 v7, v7, v17, v16
	v_lshl_add_u64 v[6:7], v[6:7], 2, v[4:5]
	global_load_dword v15, v[6:7], off
	ds_read_b32 v16, v14
	s_waitcnt vmcnt(0) lgkmcnt(0)
	v_add_f32_e32 v15, v16, v15
	global_store_dword v[6:7], v15, off
	s_branch .LBB2_6
.LBB2_18:
	s_endpgm
	.section	.rodata,"a",@progbits
	.p2align	6, 0x0
	.amdhsa_kernel _ZN2at6native12_GLOBAL__N_133embedding_backward_feature_kernelIffiEEvPKT1_PKT_PS6_ili
		.amdhsa_group_segment_fixed_size 0
		.amdhsa_private_segment_fixed_size 0
		.amdhsa_kernarg_size 304
		.amdhsa_user_sgpr_count 2
		.amdhsa_user_sgpr_dispatch_ptr 0
		.amdhsa_user_sgpr_queue_ptr 0
		.amdhsa_user_sgpr_kernarg_segment_ptr 1
		.amdhsa_user_sgpr_dispatch_id 0
		.amdhsa_user_sgpr_kernarg_preload_length 0
		.amdhsa_user_sgpr_kernarg_preload_offset 0
		.amdhsa_user_sgpr_private_segment_size 0
		.amdhsa_uses_dynamic_stack 0
		.amdhsa_enable_private_segment 0
		.amdhsa_system_sgpr_workgroup_id_x 1
		.amdhsa_system_sgpr_workgroup_id_y 0
		.amdhsa_system_sgpr_workgroup_id_z 0
		.amdhsa_system_sgpr_workgroup_info 0
		.amdhsa_system_vgpr_workitem_id 1
		.amdhsa_next_free_vgpr 22
		.amdhsa_next_free_sgpr 23
		.amdhsa_accum_offset 24
		.amdhsa_reserve_vcc 1
		.amdhsa_float_round_mode_32 0
		.amdhsa_float_round_mode_16_64 0
		.amdhsa_float_denorm_mode_32 3
		.amdhsa_float_denorm_mode_16_64 3
		.amdhsa_dx10_clamp 1
		.amdhsa_ieee_mode 1
		.amdhsa_fp16_overflow 0
		.amdhsa_tg_split 0
		.amdhsa_exception_fp_ieee_invalid_op 0
		.amdhsa_exception_fp_denorm_src 0
		.amdhsa_exception_fp_ieee_div_zero 0
		.amdhsa_exception_fp_ieee_overflow 0
		.amdhsa_exception_fp_ieee_underflow 0
		.amdhsa_exception_fp_ieee_inexact 0
		.amdhsa_exception_int_div_zero 0
	.end_amdhsa_kernel
	.section	.text._ZN2at6native12_GLOBAL__N_133embedding_backward_feature_kernelIffiEEvPKT1_PKT_PS6_ili,"axG",@progbits,_ZN2at6native12_GLOBAL__N_133embedding_backward_feature_kernelIffiEEvPKT1_PKT_PS6_ili,comdat
.Lfunc_end2:
	.size	_ZN2at6native12_GLOBAL__N_133embedding_backward_feature_kernelIffiEEvPKT1_PKT_PS6_ili, .Lfunc_end2-_ZN2at6native12_GLOBAL__N_133embedding_backward_feature_kernelIffiEEvPKT1_PKT_PS6_ili
                                        ; -- End function
	.set _ZN2at6native12_GLOBAL__N_133embedding_backward_feature_kernelIffiEEvPKT1_PKT_PS6_ili.num_vgpr, 22
	.set _ZN2at6native12_GLOBAL__N_133embedding_backward_feature_kernelIffiEEvPKT1_PKT_PS6_ili.num_agpr, 0
	.set _ZN2at6native12_GLOBAL__N_133embedding_backward_feature_kernelIffiEEvPKT1_PKT_PS6_ili.numbered_sgpr, 23
	.set _ZN2at6native12_GLOBAL__N_133embedding_backward_feature_kernelIffiEEvPKT1_PKT_PS6_ili.num_named_barrier, 0
	.set _ZN2at6native12_GLOBAL__N_133embedding_backward_feature_kernelIffiEEvPKT1_PKT_PS6_ili.private_seg_size, 0
	.set _ZN2at6native12_GLOBAL__N_133embedding_backward_feature_kernelIffiEEvPKT1_PKT_PS6_ili.uses_vcc, 1
	.set _ZN2at6native12_GLOBAL__N_133embedding_backward_feature_kernelIffiEEvPKT1_PKT_PS6_ili.uses_flat_scratch, 0
	.set _ZN2at6native12_GLOBAL__N_133embedding_backward_feature_kernelIffiEEvPKT1_PKT_PS6_ili.has_dyn_sized_stack, 0
	.set _ZN2at6native12_GLOBAL__N_133embedding_backward_feature_kernelIffiEEvPKT1_PKT_PS6_ili.has_recursion, 0
	.set _ZN2at6native12_GLOBAL__N_133embedding_backward_feature_kernelIffiEEvPKT1_PKT_PS6_ili.has_indirect_call, 0
	.section	.AMDGPU.csdata,"",@progbits
; Kernel info:
; codeLenInByte = 816
; TotalNumSgprs: 29
; NumVgprs: 22
; NumAgprs: 0
; TotalNumVgprs: 22
; ScratchSize: 0
; MemoryBound: 0
; FloatMode: 240
; IeeeMode: 1
; LDSByteSize: 0 bytes/workgroup (compile time only)
; SGPRBlocks: 3
; VGPRBlocks: 2
; NumSGPRsForWavesPerEU: 29
; NumVGPRsForWavesPerEU: 22
; AccumOffset: 24
; Occupancy: 8
; WaveLimiterHint : 0
; COMPUTE_PGM_RSRC2:SCRATCH_EN: 0
; COMPUTE_PGM_RSRC2:USER_SGPR: 2
; COMPUTE_PGM_RSRC2:TRAP_HANDLER: 0
; COMPUTE_PGM_RSRC2:TGID_X_EN: 1
; COMPUTE_PGM_RSRC2:TGID_Y_EN: 0
; COMPUTE_PGM_RSRC2:TGID_Z_EN: 0
; COMPUTE_PGM_RSRC2:TIDIG_COMP_CNT: 1
; COMPUTE_PGM_RSRC3_GFX90A:ACCUM_OFFSET: 5
; COMPUTE_PGM_RSRC3_GFX90A:TG_SPLIT: 0
	.section	.text._ZN2at6native12_GLOBAL__N_133embedding_backward_feature_kernelIfflEEvPKT1_PKT_PS6_ili,"axG",@progbits,_ZN2at6native12_GLOBAL__N_133embedding_backward_feature_kernelIfflEEvPKT1_PKT_PS6_ili,comdat
	.globl	_ZN2at6native12_GLOBAL__N_133embedding_backward_feature_kernelIfflEEvPKT1_PKT_PS6_ili ; -- Begin function _ZN2at6native12_GLOBAL__N_133embedding_backward_feature_kernelIfflEEvPKT1_PKT_PS6_ili
	.p2align	8
	.type	_ZN2at6native12_GLOBAL__N_133embedding_backward_feature_kernelIfflEEvPKT1_PKT_PS6_ili,@function
_ZN2at6native12_GLOBAL__N_133embedding_backward_feature_kernelIfflEEvPKT1_PKT_PS6_ili: ; @_ZN2at6native12_GLOBAL__N_133embedding_backward_feature_kernelIfflEEvPKT1_PKT_PS6_ili
; %bb.0:
	s_load_dword s14, s[0:1], 0x18
	s_waitcnt lgkmcnt(0)
	s_cmp_lt_i32 s14, 1
	s_cbranch_scc1 .LBB3_18
; %bb.1:
	s_load_dwordx2 s[6:7], s[0:1], 0x20
	s_load_dword s3, s[0:1], 0x3c
	s_load_dword s15, s[0:1], 0x28
	s_load_dwordx4 s[8:11], s[0:1], 0x0
	s_load_dwordx2 s[4:5], s[0:1], 0x10
	v_and_b32_e32 v9, 0x3ff, v0
	s_waitcnt lgkmcnt(0)
	s_and_b32 s18, s3, 0xffff
	s_mul_i32 s2, s2, s18
	s_lshr_b32 s16, s3, 16
	v_add_u32_e32 v2, s2, v9
	v_bfe_u32 v8, v0, 10, 10
	s_lshl_b32 s0, s16, 8
	v_lshlrev_b32_e32 v1, 2, v9
	v_ashrrev_i32_e32 v3, 31, v2
	v_lshrrev_b32_e32 v0, 10, v0
	s_add_i32 s17, s0, 0
	v_mad_u32_u24 v10, v8, s18, v9
	v_lshlrev_b64 v[4:5], 2, v[2:3]
	v_add_u32_e32 v13, 0, v1
	v_lshlrev_b32_e64 v0, v0, 1
	s_mov_b32 s19, 0
	v_lshl_add_u32 v11, v10, 2, s17
	s_mul_i32 s18, s18, s16
	v_add_u32_e32 v12, s17, v1
	v_cmp_le_i32_e32 vcc, s6, v2
	v_cmp_gt_i32_e64 s[0:1], s6, v2
	v_lshl_add_u64 v[2:3], s[10:11], 0, v[4:5]
	v_lshl_add_u32 v14, v8, 8, v13
	v_lshl_add_u64 v[4:5], s[4:5], 0, v[4:5]
	v_ashrrev_i32_e32 v1, 31, v0
	s_branch .LBB3_3
.LBB3_2:                                ;   in Loop: Header=BB3_3 Depth=1
	s_cmp_lt_i32 s19, s14
	s_cbranch_scc0 .LBB3_18
.LBB3_3:                                ; =>This Loop Header: Depth=1
                                        ;     Child Loop BB3_7 Depth 2
                                        ;       Child Loop BB3_15 Depth 3
	s_mov_b32 s20, s19
	v_add_u32_e32 v6, s20, v10
	v_cmp_gt_i32_e64 s[2:3], s14, v6
	s_and_saveexec_b64 s[4:5], s[2:3]
	s_cbranch_execz .LBB3_5
; %bb.4:                                ;   in Loop: Header=BB3_3 Depth=1
	v_ashrrev_i32_e32 v7, 31, v6
	v_lshl_add_u64 v[6:7], v[6:7], 3, s[8:9]
	global_load_dword v6, v[6:7], off
	s_waitcnt vmcnt(0)
	ds_write_b32 v11, v6
.LBB3_5:                                ;   in Loop: Header=BB3_3 Depth=1
	s_or_b64 exec, exec, s[4:5]
	s_add_i32 s19, s20, s18
	s_min_u32 s21, s19, s14
	s_cmp_ge_i32 s20, s21
	s_mov_b32 s22, s20
	s_cbranch_scc0 .LBB3_7
	s_branch .LBB3_2
.LBB3_6:                                ;   in Loop: Header=BB3_7 Depth=2
	s_or_b64 exec, exec, s[10:11]
	s_add_i32 s22, s22, s16
	s_cmp_ge_i32 s22, s21
	s_cbranch_scc1 .LBB3_2
.LBB3_7:                                ;   Parent Loop BB3_3 Depth=1
                                        ; =>  This Loop Header: Depth=2
                                        ;       Child Loop BB3_15 Depth 3
	v_add_u32_e32 v6, s22, v8
	v_subrev_u32_e32 v7, s20, v6
	v_lshl_add_u32 v7, v7, 2, s17
	s_waitcnt lgkmcnt(0)
	s_barrier
	ds_read_b32 v15, v7
	v_cmp_le_i32_e64 s[2:3], s14, v6
	s_or_b64 s[10:11], vcc, s[2:3]
	s_waitcnt lgkmcnt(0)
	v_cmp_eq_u32_e64 s[4:5], s15, v15
	s_nor_b64 s[12:13], s[10:11], s[4:5]
	s_and_saveexec_b64 s[10:11], s[12:13]
	s_cbranch_execz .LBB3_9
; %bb.8:                                ;   in Loop: Header=BB3_7 Depth=2
	v_ashrrev_i32_e32 v7, 31, v6
	v_mul_lo_u32 v16, s7, v6
	v_mul_lo_u32 v17, s6, v7
	v_mad_u64_u32 v[6:7], s[12:13], s6, v6, 0
	v_add3_u32 v7, v7, v17, v16
	v_lshl_add_u64 v[6:7], v[6:7], 2, v[2:3]
	global_load_dword v6, v[6:7], off
	s_waitcnt vmcnt(0)
	ds_write_b32 v14, v6
.LBB3_9:                                ;   in Loop: Header=BB3_7 Depth=2
	s_or_b64 exec, exec, s[10:11]
	s_nor_b64 s[2:3], s[2:3], s[4:5]
	s_waitcnt lgkmcnt(0)
	s_barrier
	s_and_saveexec_b64 s[10:11], s[2:3]
	s_cbranch_execz .LBB3_6
; %bb.10:                               ;   in Loop: Header=BB3_7 Depth=2
	s_sub_i32 s2, s21, s22
	s_min_u32 s2, s2, s16
	v_cmp_gt_u32_e64 s[2:3], s2, v9
	s_mov_b64 s[12:13], 0
	s_and_saveexec_b64 s[4:5], s[2:3]
	s_cbranch_execz .LBB3_12
; %bb.11:                               ;   in Loop: Header=BB3_7 Depth=2
	s_sub_i32 s2, s22, s20
	v_lshl_add_u32 v6, s2, 2, v12
	ds_read_b32 v6, v6
	s_waitcnt lgkmcnt(0)
	v_cmp_eq_u32_e64 s[2:3], v15, v6
	s_and_b64 s[12:13], s[2:3], exec
.LBB3_12:                               ;   in Loop: Header=BB3_7 Depth=2
	s_or_b64 exec, exec, s[4:5]
	v_cndmask_b32_e64 v6, 0, 1, s[12:13]
	v_cmp_ne_u32_e64 s[2:3], 0, v6
	s_cmp_lg_u64 s[2:3], 0
	s_ff1_i32_b64 s4, s[2:3]
	s_cselect_b64 s[12:13], -1, 0
	v_cmp_eq_u32_e64 s[4:5], s4, v8
	s_and_b64 s[4:5], s[12:13], s[4:5]
	s_and_b64 exec, exec, s[4:5]
	s_cbranch_execz .LBB3_6
; %bb.13:                               ;   in Loop: Header=BB3_7 Depth=2
	v_cmp_ne_u64_e64 s[4:5], s[2:3], v[0:1]
	s_and_saveexec_b64 s[12:13], s[4:5]
	s_cbranch_execz .LBB3_16
; %bb.14:                               ;   in Loop: Header=BB3_7 Depth=2
	ds_read_b32 v16, v14
	v_xor_b32_e32 v7, s3, v1
	v_xor_b32_e32 v6, s2, v0
	s_mov_b64 s[4:5], 0
.LBB3_15:                               ;   Parent Loop BB3_3 Depth=1
                                        ;     Parent Loop BB3_7 Depth=2
                                        ; =>    This Inner Loop Header: Depth=3
	v_ffbl_b32_e32 v17, v7
	v_ffbl_b32_e32 v18, v6
	v_add_u32_e32 v17, 32, v17
	v_min_u32_e32 v17, v18, v17
	v_lshl_add_u32 v19, v17, 8, v13
	v_lshlrev_b32_e64 v18, v17, 1
	ds_read_b32 v17, v19
	v_ashrrev_i32_e32 v19, 31, v18
	v_xor_b32_e32 v20, v6, v18
	v_xor_b32_e32 v21, v7, v19
	v_cmp_eq_u64_e64 s[2:3], v[6:7], v[18:19]
	s_or_b64 s[4:5], s[2:3], s[4:5]
	v_mov_b64_e32 v[6:7], v[20:21]
	s_waitcnt lgkmcnt(0)
	v_add_f32_e32 v16, v17, v16
	ds_write_b32 v14, v16
	s_andn2_b64 exec, exec, s[4:5]
	s_cbranch_execnz .LBB3_15
.LBB3_16:                               ;   in Loop: Header=BB3_7 Depth=2
	s_or_b64 exec, exec, s[12:13]
	s_and_b64 exec, exec, s[0:1]
	s_cbranch_execz .LBB3_6
; %bb.17:                               ;   in Loop: Header=BB3_7 Depth=2
	v_ashrrev_i32_e32 v6, 31, v15
	v_mul_lo_u32 v16, s7, v15
	v_mul_lo_u32 v17, s6, v6
	v_mad_u64_u32 v[6:7], s[2:3], s6, v15, 0
	v_add3_u32 v7, v7, v17, v16
	v_lshl_add_u64 v[6:7], v[6:7], 2, v[4:5]
	global_load_dword v15, v[6:7], off
	ds_read_b32 v16, v14
	s_waitcnt vmcnt(0) lgkmcnt(0)
	v_add_f32_e32 v15, v16, v15
	global_store_dword v[6:7], v15, off
	s_branch .LBB3_6
.LBB3_18:
	s_endpgm
	.section	.rodata,"a",@progbits
	.p2align	6, 0x0
	.amdhsa_kernel _ZN2at6native12_GLOBAL__N_133embedding_backward_feature_kernelIfflEEvPKT1_PKT_PS6_ili
		.amdhsa_group_segment_fixed_size 0
		.amdhsa_private_segment_fixed_size 0
		.amdhsa_kernarg_size 304
		.amdhsa_user_sgpr_count 2
		.amdhsa_user_sgpr_dispatch_ptr 0
		.amdhsa_user_sgpr_queue_ptr 0
		.amdhsa_user_sgpr_kernarg_segment_ptr 1
		.amdhsa_user_sgpr_dispatch_id 0
		.amdhsa_user_sgpr_kernarg_preload_length 0
		.amdhsa_user_sgpr_kernarg_preload_offset 0
		.amdhsa_user_sgpr_private_segment_size 0
		.amdhsa_uses_dynamic_stack 0
		.amdhsa_enable_private_segment 0
		.amdhsa_system_sgpr_workgroup_id_x 1
		.amdhsa_system_sgpr_workgroup_id_y 0
		.amdhsa_system_sgpr_workgroup_id_z 0
		.amdhsa_system_sgpr_workgroup_info 0
		.amdhsa_system_vgpr_workitem_id 1
		.amdhsa_next_free_vgpr 22
		.amdhsa_next_free_sgpr 23
		.amdhsa_accum_offset 24
		.amdhsa_reserve_vcc 1
		.amdhsa_float_round_mode_32 0
		.amdhsa_float_round_mode_16_64 0
		.amdhsa_float_denorm_mode_32 3
		.amdhsa_float_denorm_mode_16_64 3
		.amdhsa_dx10_clamp 1
		.amdhsa_ieee_mode 1
		.amdhsa_fp16_overflow 0
		.amdhsa_tg_split 0
		.amdhsa_exception_fp_ieee_invalid_op 0
		.amdhsa_exception_fp_denorm_src 0
		.amdhsa_exception_fp_ieee_div_zero 0
		.amdhsa_exception_fp_ieee_overflow 0
		.amdhsa_exception_fp_ieee_underflow 0
		.amdhsa_exception_fp_ieee_inexact 0
		.amdhsa_exception_int_div_zero 0
	.end_amdhsa_kernel
	.section	.text._ZN2at6native12_GLOBAL__N_133embedding_backward_feature_kernelIfflEEvPKT1_PKT_PS6_ili,"axG",@progbits,_ZN2at6native12_GLOBAL__N_133embedding_backward_feature_kernelIfflEEvPKT1_PKT_PS6_ili,comdat
.Lfunc_end3:
	.size	_ZN2at6native12_GLOBAL__N_133embedding_backward_feature_kernelIfflEEvPKT1_PKT_PS6_ili, .Lfunc_end3-_ZN2at6native12_GLOBAL__N_133embedding_backward_feature_kernelIfflEEvPKT1_PKT_PS6_ili
                                        ; -- End function
	.set _ZN2at6native12_GLOBAL__N_133embedding_backward_feature_kernelIfflEEvPKT1_PKT_PS6_ili.num_vgpr, 22
	.set _ZN2at6native12_GLOBAL__N_133embedding_backward_feature_kernelIfflEEvPKT1_PKT_PS6_ili.num_agpr, 0
	.set _ZN2at6native12_GLOBAL__N_133embedding_backward_feature_kernelIfflEEvPKT1_PKT_PS6_ili.numbered_sgpr, 23
	.set _ZN2at6native12_GLOBAL__N_133embedding_backward_feature_kernelIfflEEvPKT1_PKT_PS6_ili.num_named_barrier, 0
	.set _ZN2at6native12_GLOBAL__N_133embedding_backward_feature_kernelIfflEEvPKT1_PKT_PS6_ili.private_seg_size, 0
	.set _ZN2at6native12_GLOBAL__N_133embedding_backward_feature_kernelIfflEEvPKT1_PKT_PS6_ili.uses_vcc, 1
	.set _ZN2at6native12_GLOBAL__N_133embedding_backward_feature_kernelIfflEEvPKT1_PKT_PS6_ili.uses_flat_scratch, 0
	.set _ZN2at6native12_GLOBAL__N_133embedding_backward_feature_kernelIfflEEvPKT1_PKT_PS6_ili.has_dyn_sized_stack, 0
	.set _ZN2at6native12_GLOBAL__N_133embedding_backward_feature_kernelIfflEEvPKT1_PKT_PS6_ili.has_recursion, 0
	.set _ZN2at6native12_GLOBAL__N_133embedding_backward_feature_kernelIfflEEvPKT1_PKT_PS6_ili.has_indirect_call, 0
	.section	.AMDGPU.csdata,"",@progbits
; Kernel info:
; codeLenInByte = 816
; TotalNumSgprs: 29
; NumVgprs: 22
; NumAgprs: 0
; TotalNumVgprs: 22
; ScratchSize: 0
; MemoryBound: 0
; FloatMode: 240
; IeeeMode: 1
; LDSByteSize: 0 bytes/workgroup (compile time only)
; SGPRBlocks: 3
; VGPRBlocks: 2
; NumSGPRsForWavesPerEU: 29
; NumVGPRsForWavesPerEU: 22
; AccumOffset: 24
; Occupancy: 8
; WaveLimiterHint : 0
; COMPUTE_PGM_RSRC2:SCRATCH_EN: 0
; COMPUTE_PGM_RSRC2:USER_SGPR: 2
; COMPUTE_PGM_RSRC2:TRAP_HANDLER: 0
; COMPUTE_PGM_RSRC2:TGID_X_EN: 1
; COMPUTE_PGM_RSRC2:TGID_Y_EN: 0
; COMPUTE_PGM_RSRC2:TGID_Z_EN: 0
; COMPUTE_PGM_RSRC2:TIDIG_COMP_CNT: 1
; COMPUTE_PGM_RSRC3_GFX90A:ACCUM_OFFSET: 5
; COMPUTE_PGM_RSRC3_GFX90A:TG_SPLIT: 0
	.section	.text._ZN2at6native12_GLOBAL__N_133embedding_backward_feature_kernelIN3c104HalfEfiEEvPKT1_PKT_PS8_ili,"axG",@progbits,_ZN2at6native12_GLOBAL__N_133embedding_backward_feature_kernelIN3c104HalfEfiEEvPKT1_PKT_PS8_ili,comdat
	.globl	_ZN2at6native12_GLOBAL__N_133embedding_backward_feature_kernelIN3c104HalfEfiEEvPKT1_PKT_PS8_ili ; -- Begin function _ZN2at6native12_GLOBAL__N_133embedding_backward_feature_kernelIN3c104HalfEfiEEvPKT1_PKT_PS8_ili
	.p2align	8
	.type	_ZN2at6native12_GLOBAL__N_133embedding_backward_feature_kernelIN3c104HalfEfiEEvPKT1_PKT_PS8_ili,@function
_ZN2at6native12_GLOBAL__N_133embedding_backward_feature_kernelIN3c104HalfEfiEEvPKT1_PKT_PS8_ili: ; @_ZN2at6native12_GLOBAL__N_133embedding_backward_feature_kernelIN3c104HalfEfiEEvPKT1_PKT_PS8_ili
; %bb.0:
	s_load_dword s14, s[0:1], 0x18
	s_waitcnt lgkmcnt(0)
	s_cmp_lt_i32 s14, 1
	s_cbranch_scc1 .LBB4_18
; %bb.1:
	s_load_dwordx2 s[6:7], s[0:1], 0x20
	s_load_dword s3, s[0:1], 0x3c
	s_load_dword s15, s[0:1], 0x28
	s_load_dwordx4 s[8:11], s[0:1], 0x0
	s_load_dwordx2 s[4:5], s[0:1], 0x10
	v_and_b32_e32 v9, 0x3ff, v0
	s_waitcnt lgkmcnt(0)
	s_and_b32 s18, s3, 0xffff
	s_mul_i32 s2, s2, s18
	s_lshr_b32 s16, s3, 16
	v_add_u32_e32 v2, s2, v9
	v_bfe_u32 v8, v0, 10, 10
	s_lshl_b32 s0, s16, 8
	v_lshlrev_b32_e32 v1, 2, v9
	v_ashrrev_i32_e32 v3, 31, v2
	v_lshrrev_b32_e32 v0, 10, v0
	s_add_i32 s17, s0, 0
	v_mad_u32_u24 v10, v8, s18, v9
	v_lshlrev_b64 v[4:5], 1, v[2:3]
	v_add_u32_e32 v13, 0, v1
	v_lshlrev_b32_e64 v0, v0, 1
	s_mov_b32 s19, 0
	v_lshl_add_u32 v11, v10, 2, s17
	s_mul_i32 s18, s18, s16
	v_add_u32_e32 v12, s17, v1
	v_cmp_le_i32_e32 vcc, s6, v2
	v_cmp_gt_i32_e64 s[0:1], s6, v2
	v_lshl_add_u64 v[2:3], s[10:11], 0, v[4:5]
	v_lshl_add_u32 v14, v8, 8, v13
	v_lshl_add_u64 v[4:5], s[4:5], 0, v[4:5]
	v_ashrrev_i32_e32 v1, 31, v0
	s_branch .LBB4_3
.LBB4_2:                                ;   in Loop: Header=BB4_3 Depth=1
	s_cmp_lt_i32 s19, s14
	s_cbranch_scc0 .LBB4_18
.LBB4_3:                                ; =>This Loop Header: Depth=1
                                        ;     Child Loop BB4_7 Depth 2
                                        ;       Child Loop BB4_15 Depth 3
	s_mov_b32 s20, s19
	v_add_u32_e32 v6, s20, v10
	v_cmp_gt_i32_e64 s[2:3], s14, v6
	s_and_saveexec_b64 s[4:5], s[2:3]
	s_cbranch_execz .LBB4_5
; %bb.4:                                ;   in Loop: Header=BB4_3 Depth=1
	v_ashrrev_i32_e32 v7, 31, v6
	v_lshl_add_u64 v[6:7], v[6:7], 2, s[8:9]
	global_load_dword v6, v[6:7], off
	s_waitcnt vmcnt(0)
	ds_write_b32 v11, v6
.LBB4_5:                                ;   in Loop: Header=BB4_3 Depth=1
	s_or_b64 exec, exec, s[4:5]
	s_add_i32 s19, s20, s18
	s_min_u32 s21, s19, s14
	s_cmp_ge_i32 s20, s21
	s_mov_b32 s22, s20
	s_cbranch_scc0 .LBB4_7
	s_branch .LBB4_2
.LBB4_6:                                ;   in Loop: Header=BB4_7 Depth=2
	s_or_b64 exec, exec, s[10:11]
	s_add_i32 s22, s22, s16
	s_cmp_ge_i32 s22, s21
	s_cbranch_scc1 .LBB4_2
.LBB4_7:                                ;   Parent Loop BB4_3 Depth=1
                                        ; =>  This Loop Header: Depth=2
                                        ;       Child Loop BB4_15 Depth 3
	v_add_u32_e32 v6, s22, v8
	v_subrev_u32_e32 v7, s20, v6
	v_lshl_add_u32 v7, v7, 2, s17
	s_waitcnt lgkmcnt(0)
	s_barrier
	ds_read_b32 v15, v7
	v_cmp_le_i32_e64 s[2:3], s14, v6
	s_or_b64 s[10:11], vcc, s[2:3]
	s_waitcnt lgkmcnt(0)
	v_cmp_eq_u32_e64 s[4:5], s15, v15
	s_nor_b64 s[12:13], s[10:11], s[4:5]
	s_and_saveexec_b64 s[10:11], s[12:13]
	s_cbranch_execz .LBB4_9
; %bb.8:                                ;   in Loop: Header=BB4_7 Depth=2
	v_ashrrev_i32_e32 v7, 31, v6
	v_mul_lo_u32 v16, s7, v6
	v_mul_lo_u32 v17, s6, v7
	v_mad_u64_u32 v[6:7], s[12:13], s6, v6, 0
	v_add3_u32 v7, v7, v17, v16
	v_lshl_add_u64 v[6:7], v[6:7], 1, v[2:3]
	global_load_ushort v6, v[6:7], off
	s_waitcnt vmcnt(0)
	v_cvt_f32_f16_e32 v6, v6
	ds_write_b32 v14, v6
.LBB4_9:                                ;   in Loop: Header=BB4_7 Depth=2
	s_or_b64 exec, exec, s[10:11]
	s_nor_b64 s[2:3], s[2:3], s[4:5]
	s_waitcnt lgkmcnt(0)
	s_barrier
	s_and_saveexec_b64 s[10:11], s[2:3]
	s_cbranch_execz .LBB4_6
; %bb.10:                               ;   in Loop: Header=BB4_7 Depth=2
	s_sub_i32 s2, s21, s22
	s_min_u32 s2, s2, s16
	v_cmp_gt_u32_e64 s[2:3], s2, v9
	s_mov_b64 s[12:13], 0
	s_and_saveexec_b64 s[4:5], s[2:3]
	s_cbranch_execz .LBB4_12
; %bb.11:                               ;   in Loop: Header=BB4_7 Depth=2
	s_sub_i32 s2, s22, s20
	v_lshl_add_u32 v6, s2, 2, v12
	ds_read_b32 v6, v6
	s_waitcnt lgkmcnt(0)
	v_cmp_eq_u32_e64 s[2:3], v15, v6
	s_and_b64 s[12:13], s[2:3], exec
.LBB4_12:                               ;   in Loop: Header=BB4_7 Depth=2
	s_or_b64 exec, exec, s[4:5]
	v_cndmask_b32_e64 v6, 0, 1, s[12:13]
	v_cmp_ne_u32_e64 s[2:3], 0, v6
	s_cmp_lg_u64 s[2:3], 0
	s_ff1_i32_b64 s4, s[2:3]
	s_cselect_b64 s[12:13], -1, 0
	v_cmp_eq_u32_e64 s[4:5], s4, v8
	s_and_b64 s[4:5], s[12:13], s[4:5]
	s_and_b64 exec, exec, s[4:5]
	s_cbranch_execz .LBB4_6
; %bb.13:                               ;   in Loop: Header=BB4_7 Depth=2
	v_cmp_ne_u64_e64 s[4:5], s[2:3], v[0:1]
	s_and_saveexec_b64 s[12:13], s[4:5]
	s_cbranch_execz .LBB4_16
; %bb.14:                               ;   in Loop: Header=BB4_7 Depth=2
	ds_read_b32 v16, v14
	v_xor_b32_e32 v7, s3, v1
	v_xor_b32_e32 v6, s2, v0
	s_mov_b64 s[4:5], 0
.LBB4_15:                               ;   Parent Loop BB4_3 Depth=1
                                        ;     Parent Loop BB4_7 Depth=2
                                        ; =>    This Inner Loop Header: Depth=3
	v_ffbl_b32_e32 v17, v7
	v_ffbl_b32_e32 v18, v6
	v_add_u32_e32 v17, 32, v17
	v_min_u32_e32 v17, v18, v17
	v_lshl_add_u32 v19, v17, 8, v13
	v_lshlrev_b32_e64 v18, v17, 1
	ds_read_b32 v17, v19
	v_ashrrev_i32_e32 v19, 31, v18
	v_xor_b32_e32 v20, v6, v18
	v_xor_b32_e32 v21, v7, v19
	v_cmp_eq_u64_e64 s[2:3], v[6:7], v[18:19]
	s_or_b64 s[4:5], s[2:3], s[4:5]
	v_mov_b64_e32 v[6:7], v[20:21]
	s_waitcnt lgkmcnt(0)
	v_add_f32_e32 v16, v17, v16
	ds_write_b32 v14, v16
	s_andn2_b64 exec, exec, s[4:5]
	s_cbranch_execnz .LBB4_15
.LBB4_16:                               ;   in Loop: Header=BB4_7 Depth=2
	s_or_b64 exec, exec, s[12:13]
	s_and_b64 exec, exec, s[0:1]
	s_cbranch_execz .LBB4_6
; %bb.17:                               ;   in Loop: Header=BB4_7 Depth=2
	v_ashrrev_i32_e32 v6, 31, v15
	v_mul_lo_u32 v16, s7, v15
	v_mul_lo_u32 v17, s6, v6
	v_mad_u64_u32 v[6:7], s[2:3], s6, v15, 0
	v_add3_u32 v7, v7, v17, v16
	v_lshl_add_u64 v[6:7], v[6:7], 1, v[4:5]
	global_load_ushort v15, v[6:7], off
	ds_read_b32 v16, v14
	s_waitcnt lgkmcnt(0)
	v_cvt_f16_f32_e32 v16, v16
	s_waitcnt vmcnt(0)
	v_add_f16_e32 v15, v15, v16
	global_store_short v[6:7], v15, off
	s_branch .LBB4_6
.LBB4_18:
	s_endpgm
	.section	.rodata,"a",@progbits
	.p2align	6, 0x0
	.amdhsa_kernel _ZN2at6native12_GLOBAL__N_133embedding_backward_feature_kernelIN3c104HalfEfiEEvPKT1_PKT_PS8_ili
		.amdhsa_group_segment_fixed_size 0
		.amdhsa_private_segment_fixed_size 0
		.amdhsa_kernarg_size 304
		.amdhsa_user_sgpr_count 2
		.amdhsa_user_sgpr_dispatch_ptr 0
		.amdhsa_user_sgpr_queue_ptr 0
		.amdhsa_user_sgpr_kernarg_segment_ptr 1
		.amdhsa_user_sgpr_dispatch_id 0
		.amdhsa_user_sgpr_kernarg_preload_length 0
		.amdhsa_user_sgpr_kernarg_preload_offset 0
		.amdhsa_user_sgpr_private_segment_size 0
		.amdhsa_uses_dynamic_stack 0
		.amdhsa_enable_private_segment 0
		.amdhsa_system_sgpr_workgroup_id_x 1
		.amdhsa_system_sgpr_workgroup_id_y 0
		.amdhsa_system_sgpr_workgroup_id_z 0
		.amdhsa_system_sgpr_workgroup_info 0
		.amdhsa_system_vgpr_workitem_id 1
		.amdhsa_next_free_vgpr 22
		.amdhsa_next_free_sgpr 23
		.amdhsa_accum_offset 24
		.amdhsa_reserve_vcc 1
		.amdhsa_float_round_mode_32 0
		.amdhsa_float_round_mode_16_64 0
		.amdhsa_float_denorm_mode_32 3
		.amdhsa_float_denorm_mode_16_64 3
		.amdhsa_dx10_clamp 1
		.amdhsa_ieee_mode 1
		.amdhsa_fp16_overflow 0
		.amdhsa_tg_split 0
		.amdhsa_exception_fp_ieee_invalid_op 0
		.amdhsa_exception_fp_denorm_src 0
		.amdhsa_exception_fp_ieee_div_zero 0
		.amdhsa_exception_fp_ieee_overflow 0
		.amdhsa_exception_fp_ieee_underflow 0
		.amdhsa_exception_fp_ieee_inexact 0
		.amdhsa_exception_int_div_zero 0
	.end_amdhsa_kernel
	.section	.text._ZN2at6native12_GLOBAL__N_133embedding_backward_feature_kernelIN3c104HalfEfiEEvPKT1_PKT_PS8_ili,"axG",@progbits,_ZN2at6native12_GLOBAL__N_133embedding_backward_feature_kernelIN3c104HalfEfiEEvPKT1_PKT_PS8_ili,comdat
.Lfunc_end4:
	.size	_ZN2at6native12_GLOBAL__N_133embedding_backward_feature_kernelIN3c104HalfEfiEEvPKT1_PKT_PS8_ili, .Lfunc_end4-_ZN2at6native12_GLOBAL__N_133embedding_backward_feature_kernelIN3c104HalfEfiEEvPKT1_PKT_PS8_ili
                                        ; -- End function
	.set _ZN2at6native12_GLOBAL__N_133embedding_backward_feature_kernelIN3c104HalfEfiEEvPKT1_PKT_PS8_ili.num_vgpr, 22
	.set _ZN2at6native12_GLOBAL__N_133embedding_backward_feature_kernelIN3c104HalfEfiEEvPKT1_PKT_PS8_ili.num_agpr, 0
	.set _ZN2at6native12_GLOBAL__N_133embedding_backward_feature_kernelIN3c104HalfEfiEEvPKT1_PKT_PS8_ili.numbered_sgpr, 23
	.set _ZN2at6native12_GLOBAL__N_133embedding_backward_feature_kernelIN3c104HalfEfiEEvPKT1_PKT_PS8_ili.num_named_barrier, 0
	.set _ZN2at6native12_GLOBAL__N_133embedding_backward_feature_kernelIN3c104HalfEfiEEvPKT1_PKT_PS8_ili.private_seg_size, 0
	.set _ZN2at6native12_GLOBAL__N_133embedding_backward_feature_kernelIN3c104HalfEfiEEvPKT1_PKT_PS8_ili.uses_vcc, 1
	.set _ZN2at6native12_GLOBAL__N_133embedding_backward_feature_kernelIN3c104HalfEfiEEvPKT1_PKT_PS8_ili.uses_flat_scratch, 0
	.set _ZN2at6native12_GLOBAL__N_133embedding_backward_feature_kernelIN3c104HalfEfiEEvPKT1_PKT_PS8_ili.has_dyn_sized_stack, 0
	.set _ZN2at6native12_GLOBAL__N_133embedding_backward_feature_kernelIN3c104HalfEfiEEvPKT1_PKT_PS8_ili.has_recursion, 0
	.set _ZN2at6native12_GLOBAL__N_133embedding_backward_feature_kernelIN3c104HalfEfiEEvPKT1_PKT_PS8_ili.has_indirect_call, 0
	.section	.AMDGPU.csdata,"",@progbits
; Kernel info:
; codeLenInByte = 828
; TotalNumSgprs: 29
; NumVgprs: 22
; NumAgprs: 0
; TotalNumVgprs: 22
; ScratchSize: 0
; MemoryBound: 0
; FloatMode: 240
; IeeeMode: 1
; LDSByteSize: 0 bytes/workgroup (compile time only)
; SGPRBlocks: 3
; VGPRBlocks: 2
; NumSGPRsForWavesPerEU: 29
; NumVGPRsForWavesPerEU: 22
; AccumOffset: 24
; Occupancy: 8
; WaveLimiterHint : 0
; COMPUTE_PGM_RSRC2:SCRATCH_EN: 0
; COMPUTE_PGM_RSRC2:USER_SGPR: 2
; COMPUTE_PGM_RSRC2:TRAP_HANDLER: 0
; COMPUTE_PGM_RSRC2:TGID_X_EN: 1
; COMPUTE_PGM_RSRC2:TGID_Y_EN: 0
; COMPUTE_PGM_RSRC2:TGID_Z_EN: 0
; COMPUTE_PGM_RSRC2:TIDIG_COMP_CNT: 1
; COMPUTE_PGM_RSRC3_GFX90A:ACCUM_OFFSET: 5
; COMPUTE_PGM_RSRC3_GFX90A:TG_SPLIT: 0
	.section	.text._ZN2at6native12_GLOBAL__N_133embedding_backward_feature_kernelIN3c104HalfEflEEvPKT1_PKT_PS8_ili,"axG",@progbits,_ZN2at6native12_GLOBAL__N_133embedding_backward_feature_kernelIN3c104HalfEflEEvPKT1_PKT_PS8_ili,comdat
	.globl	_ZN2at6native12_GLOBAL__N_133embedding_backward_feature_kernelIN3c104HalfEflEEvPKT1_PKT_PS8_ili ; -- Begin function _ZN2at6native12_GLOBAL__N_133embedding_backward_feature_kernelIN3c104HalfEflEEvPKT1_PKT_PS8_ili
	.p2align	8
	.type	_ZN2at6native12_GLOBAL__N_133embedding_backward_feature_kernelIN3c104HalfEflEEvPKT1_PKT_PS8_ili,@function
_ZN2at6native12_GLOBAL__N_133embedding_backward_feature_kernelIN3c104HalfEflEEvPKT1_PKT_PS8_ili: ; @_ZN2at6native12_GLOBAL__N_133embedding_backward_feature_kernelIN3c104HalfEflEEvPKT1_PKT_PS8_ili
; %bb.0:
	s_load_dword s14, s[0:1], 0x18
	s_waitcnt lgkmcnt(0)
	s_cmp_lt_i32 s14, 1
	s_cbranch_scc1 .LBB5_18
; %bb.1:
	s_load_dwordx2 s[6:7], s[0:1], 0x20
	s_load_dword s3, s[0:1], 0x3c
	s_load_dword s15, s[0:1], 0x28
	s_load_dwordx4 s[8:11], s[0:1], 0x0
	s_load_dwordx2 s[4:5], s[0:1], 0x10
	v_and_b32_e32 v9, 0x3ff, v0
	s_waitcnt lgkmcnt(0)
	s_and_b32 s18, s3, 0xffff
	s_mul_i32 s2, s2, s18
	s_lshr_b32 s16, s3, 16
	v_add_u32_e32 v2, s2, v9
	v_bfe_u32 v8, v0, 10, 10
	s_lshl_b32 s0, s16, 8
	v_lshlrev_b32_e32 v1, 2, v9
	v_ashrrev_i32_e32 v3, 31, v2
	v_lshrrev_b32_e32 v0, 10, v0
	s_add_i32 s17, s0, 0
	v_mad_u32_u24 v10, v8, s18, v9
	v_lshlrev_b64 v[4:5], 1, v[2:3]
	v_add_u32_e32 v13, 0, v1
	v_lshlrev_b32_e64 v0, v0, 1
	s_mov_b32 s19, 0
	v_lshl_add_u32 v11, v10, 2, s17
	s_mul_i32 s18, s18, s16
	v_add_u32_e32 v12, s17, v1
	v_cmp_le_i32_e32 vcc, s6, v2
	v_cmp_gt_i32_e64 s[0:1], s6, v2
	v_lshl_add_u64 v[2:3], s[10:11], 0, v[4:5]
	v_lshl_add_u32 v14, v8, 8, v13
	v_lshl_add_u64 v[4:5], s[4:5], 0, v[4:5]
	v_ashrrev_i32_e32 v1, 31, v0
	s_branch .LBB5_3
.LBB5_2:                                ;   in Loop: Header=BB5_3 Depth=1
	s_cmp_lt_i32 s19, s14
	s_cbranch_scc0 .LBB5_18
.LBB5_3:                                ; =>This Loop Header: Depth=1
                                        ;     Child Loop BB5_7 Depth 2
                                        ;       Child Loop BB5_15 Depth 3
	s_mov_b32 s20, s19
	v_add_u32_e32 v6, s20, v10
	v_cmp_gt_i32_e64 s[2:3], s14, v6
	s_and_saveexec_b64 s[4:5], s[2:3]
	s_cbranch_execz .LBB5_5
; %bb.4:                                ;   in Loop: Header=BB5_3 Depth=1
	v_ashrrev_i32_e32 v7, 31, v6
	v_lshl_add_u64 v[6:7], v[6:7], 3, s[8:9]
	global_load_dword v6, v[6:7], off
	s_waitcnt vmcnt(0)
	ds_write_b32 v11, v6
.LBB5_5:                                ;   in Loop: Header=BB5_3 Depth=1
	s_or_b64 exec, exec, s[4:5]
	s_add_i32 s19, s20, s18
	s_min_u32 s21, s19, s14
	s_cmp_ge_i32 s20, s21
	s_mov_b32 s22, s20
	s_cbranch_scc0 .LBB5_7
	s_branch .LBB5_2
.LBB5_6:                                ;   in Loop: Header=BB5_7 Depth=2
	s_or_b64 exec, exec, s[10:11]
	s_add_i32 s22, s22, s16
	s_cmp_ge_i32 s22, s21
	s_cbranch_scc1 .LBB5_2
.LBB5_7:                                ;   Parent Loop BB5_3 Depth=1
                                        ; =>  This Loop Header: Depth=2
                                        ;       Child Loop BB5_15 Depth 3
	v_add_u32_e32 v6, s22, v8
	v_subrev_u32_e32 v7, s20, v6
	v_lshl_add_u32 v7, v7, 2, s17
	s_waitcnt lgkmcnt(0)
	s_barrier
	ds_read_b32 v15, v7
	v_cmp_le_i32_e64 s[2:3], s14, v6
	s_or_b64 s[10:11], vcc, s[2:3]
	s_waitcnt lgkmcnt(0)
	v_cmp_eq_u32_e64 s[4:5], s15, v15
	s_nor_b64 s[12:13], s[10:11], s[4:5]
	s_and_saveexec_b64 s[10:11], s[12:13]
	s_cbranch_execz .LBB5_9
; %bb.8:                                ;   in Loop: Header=BB5_7 Depth=2
	v_ashrrev_i32_e32 v7, 31, v6
	v_mul_lo_u32 v16, s7, v6
	v_mul_lo_u32 v17, s6, v7
	v_mad_u64_u32 v[6:7], s[12:13], s6, v6, 0
	v_add3_u32 v7, v7, v17, v16
	v_lshl_add_u64 v[6:7], v[6:7], 1, v[2:3]
	global_load_ushort v6, v[6:7], off
	s_waitcnt vmcnt(0)
	v_cvt_f32_f16_e32 v6, v6
	ds_write_b32 v14, v6
.LBB5_9:                                ;   in Loop: Header=BB5_7 Depth=2
	s_or_b64 exec, exec, s[10:11]
	s_nor_b64 s[2:3], s[2:3], s[4:5]
	s_waitcnt lgkmcnt(0)
	s_barrier
	s_and_saveexec_b64 s[10:11], s[2:3]
	s_cbranch_execz .LBB5_6
; %bb.10:                               ;   in Loop: Header=BB5_7 Depth=2
	s_sub_i32 s2, s21, s22
	s_min_u32 s2, s2, s16
	v_cmp_gt_u32_e64 s[2:3], s2, v9
	s_mov_b64 s[12:13], 0
	s_and_saveexec_b64 s[4:5], s[2:3]
	s_cbranch_execz .LBB5_12
; %bb.11:                               ;   in Loop: Header=BB5_7 Depth=2
	s_sub_i32 s2, s22, s20
	v_lshl_add_u32 v6, s2, 2, v12
	ds_read_b32 v6, v6
	s_waitcnt lgkmcnt(0)
	v_cmp_eq_u32_e64 s[2:3], v15, v6
	s_and_b64 s[12:13], s[2:3], exec
.LBB5_12:                               ;   in Loop: Header=BB5_7 Depth=2
	s_or_b64 exec, exec, s[4:5]
	v_cndmask_b32_e64 v6, 0, 1, s[12:13]
	v_cmp_ne_u32_e64 s[2:3], 0, v6
	s_cmp_lg_u64 s[2:3], 0
	s_ff1_i32_b64 s4, s[2:3]
	s_cselect_b64 s[12:13], -1, 0
	v_cmp_eq_u32_e64 s[4:5], s4, v8
	s_and_b64 s[4:5], s[12:13], s[4:5]
	s_and_b64 exec, exec, s[4:5]
	s_cbranch_execz .LBB5_6
; %bb.13:                               ;   in Loop: Header=BB5_7 Depth=2
	v_cmp_ne_u64_e64 s[4:5], s[2:3], v[0:1]
	s_and_saveexec_b64 s[12:13], s[4:5]
	s_cbranch_execz .LBB5_16
; %bb.14:                               ;   in Loop: Header=BB5_7 Depth=2
	ds_read_b32 v16, v14
	v_xor_b32_e32 v7, s3, v1
	v_xor_b32_e32 v6, s2, v0
	s_mov_b64 s[4:5], 0
.LBB5_15:                               ;   Parent Loop BB5_3 Depth=1
                                        ;     Parent Loop BB5_7 Depth=2
                                        ; =>    This Inner Loop Header: Depth=3
	v_ffbl_b32_e32 v17, v7
	v_ffbl_b32_e32 v18, v6
	v_add_u32_e32 v17, 32, v17
	v_min_u32_e32 v17, v18, v17
	v_lshl_add_u32 v19, v17, 8, v13
	v_lshlrev_b32_e64 v18, v17, 1
	ds_read_b32 v17, v19
	v_ashrrev_i32_e32 v19, 31, v18
	v_xor_b32_e32 v20, v6, v18
	v_xor_b32_e32 v21, v7, v19
	v_cmp_eq_u64_e64 s[2:3], v[6:7], v[18:19]
	s_or_b64 s[4:5], s[2:3], s[4:5]
	v_mov_b64_e32 v[6:7], v[20:21]
	s_waitcnt lgkmcnt(0)
	v_add_f32_e32 v16, v17, v16
	ds_write_b32 v14, v16
	s_andn2_b64 exec, exec, s[4:5]
	s_cbranch_execnz .LBB5_15
.LBB5_16:                               ;   in Loop: Header=BB5_7 Depth=2
	s_or_b64 exec, exec, s[12:13]
	s_and_b64 exec, exec, s[0:1]
	s_cbranch_execz .LBB5_6
; %bb.17:                               ;   in Loop: Header=BB5_7 Depth=2
	v_ashrrev_i32_e32 v6, 31, v15
	v_mul_lo_u32 v16, s7, v15
	v_mul_lo_u32 v17, s6, v6
	v_mad_u64_u32 v[6:7], s[2:3], s6, v15, 0
	v_add3_u32 v7, v7, v17, v16
	v_lshl_add_u64 v[6:7], v[6:7], 1, v[4:5]
	global_load_ushort v15, v[6:7], off
	ds_read_b32 v16, v14
	s_waitcnt lgkmcnt(0)
	v_cvt_f16_f32_e32 v16, v16
	s_waitcnt vmcnt(0)
	v_add_f16_e32 v15, v15, v16
	global_store_short v[6:7], v15, off
	s_branch .LBB5_6
.LBB5_18:
	s_endpgm
	.section	.rodata,"a",@progbits
	.p2align	6, 0x0
	.amdhsa_kernel _ZN2at6native12_GLOBAL__N_133embedding_backward_feature_kernelIN3c104HalfEflEEvPKT1_PKT_PS8_ili
		.amdhsa_group_segment_fixed_size 0
		.amdhsa_private_segment_fixed_size 0
		.amdhsa_kernarg_size 304
		.amdhsa_user_sgpr_count 2
		.amdhsa_user_sgpr_dispatch_ptr 0
		.amdhsa_user_sgpr_queue_ptr 0
		.amdhsa_user_sgpr_kernarg_segment_ptr 1
		.amdhsa_user_sgpr_dispatch_id 0
		.amdhsa_user_sgpr_kernarg_preload_length 0
		.amdhsa_user_sgpr_kernarg_preload_offset 0
		.amdhsa_user_sgpr_private_segment_size 0
		.amdhsa_uses_dynamic_stack 0
		.amdhsa_enable_private_segment 0
		.amdhsa_system_sgpr_workgroup_id_x 1
		.amdhsa_system_sgpr_workgroup_id_y 0
		.amdhsa_system_sgpr_workgroup_id_z 0
		.amdhsa_system_sgpr_workgroup_info 0
		.amdhsa_system_vgpr_workitem_id 1
		.amdhsa_next_free_vgpr 22
		.amdhsa_next_free_sgpr 23
		.amdhsa_accum_offset 24
		.amdhsa_reserve_vcc 1
		.amdhsa_float_round_mode_32 0
		.amdhsa_float_round_mode_16_64 0
		.amdhsa_float_denorm_mode_32 3
		.amdhsa_float_denorm_mode_16_64 3
		.amdhsa_dx10_clamp 1
		.amdhsa_ieee_mode 1
		.amdhsa_fp16_overflow 0
		.amdhsa_tg_split 0
		.amdhsa_exception_fp_ieee_invalid_op 0
		.amdhsa_exception_fp_denorm_src 0
		.amdhsa_exception_fp_ieee_div_zero 0
		.amdhsa_exception_fp_ieee_overflow 0
		.amdhsa_exception_fp_ieee_underflow 0
		.amdhsa_exception_fp_ieee_inexact 0
		.amdhsa_exception_int_div_zero 0
	.end_amdhsa_kernel
	.section	.text._ZN2at6native12_GLOBAL__N_133embedding_backward_feature_kernelIN3c104HalfEflEEvPKT1_PKT_PS8_ili,"axG",@progbits,_ZN2at6native12_GLOBAL__N_133embedding_backward_feature_kernelIN3c104HalfEflEEvPKT1_PKT_PS8_ili,comdat
.Lfunc_end5:
	.size	_ZN2at6native12_GLOBAL__N_133embedding_backward_feature_kernelIN3c104HalfEflEEvPKT1_PKT_PS8_ili, .Lfunc_end5-_ZN2at6native12_GLOBAL__N_133embedding_backward_feature_kernelIN3c104HalfEflEEvPKT1_PKT_PS8_ili
                                        ; -- End function
	.set _ZN2at6native12_GLOBAL__N_133embedding_backward_feature_kernelIN3c104HalfEflEEvPKT1_PKT_PS8_ili.num_vgpr, 22
	.set _ZN2at6native12_GLOBAL__N_133embedding_backward_feature_kernelIN3c104HalfEflEEvPKT1_PKT_PS8_ili.num_agpr, 0
	.set _ZN2at6native12_GLOBAL__N_133embedding_backward_feature_kernelIN3c104HalfEflEEvPKT1_PKT_PS8_ili.numbered_sgpr, 23
	.set _ZN2at6native12_GLOBAL__N_133embedding_backward_feature_kernelIN3c104HalfEflEEvPKT1_PKT_PS8_ili.num_named_barrier, 0
	.set _ZN2at6native12_GLOBAL__N_133embedding_backward_feature_kernelIN3c104HalfEflEEvPKT1_PKT_PS8_ili.private_seg_size, 0
	.set _ZN2at6native12_GLOBAL__N_133embedding_backward_feature_kernelIN3c104HalfEflEEvPKT1_PKT_PS8_ili.uses_vcc, 1
	.set _ZN2at6native12_GLOBAL__N_133embedding_backward_feature_kernelIN3c104HalfEflEEvPKT1_PKT_PS8_ili.uses_flat_scratch, 0
	.set _ZN2at6native12_GLOBAL__N_133embedding_backward_feature_kernelIN3c104HalfEflEEvPKT1_PKT_PS8_ili.has_dyn_sized_stack, 0
	.set _ZN2at6native12_GLOBAL__N_133embedding_backward_feature_kernelIN3c104HalfEflEEvPKT1_PKT_PS8_ili.has_recursion, 0
	.set _ZN2at6native12_GLOBAL__N_133embedding_backward_feature_kernelIN3c104HalfEflEEvPKT1_PKT_PS8_ili.has_indirect_call, 0
	.section	.AMDGPU.csdata,"",@progbits
; Kernel info:
; codeLenInByte = 828
; TotalNumSgprs: 29
; NumVgprs: 22
; NumAgprs: 0
; TotalNumVgprs: 22
; ScratchSize: 0
; MemoryBound: 0
; FloatMode: 240
; IeeeMode: 1
; LDSByteSize: 0 bytes/workgroup (compile time only)
; SGPRBlocks: 3
; VGPRBlocks: 2
; NumSGPRsForWavesPerEU: 29
; NumVGPRsForWavesPerEU: 22
; AccumOffset: 24
; Occupancy: 8
; WaveLimiterHint : 0
; COMPUTE_PGM_RSRC2:SCRATCH_EN: 0
; COMPUTE_PGM_RSRC2:USER_SGPR: 2
; COMPUTE_PGM_RSRC2:TRAP_HANDLER: 0
; COMPUTE_PGM_RSRC2:TGID_X_EN: 1
; COMPUTE_PGM_RSRC2:TGID_Y_EN: 0
; COMPUTE_PGM_RSRC2:TGID_Z_EN: 0
; COMPUTE_PGM_RSRC2:TIDIG_COMP_CNT: 1
; COMPUTE_PGM_RSRC3_GFX90A:ACCUM_OFFSET: 5
; COMPUTE_PGM_RSRC3_GFX90A:TG_SPLIT: 0
	.section	.text._ZN2at6native12_GLOBAL__N_133embedding_backward_feature_kernelIN3c108BFloat16EfiEEvPKT1_PKT_PS8_ili,"axG",@progbits,_ZN2at6native12_GLOBAL__N_133embedding_backward_feature_kernelIN3c108BFloat16EfiEEvPKT1_PKT_PS8_ili,comdat
	.globl	_ZN2at6native12_GLOBAL__N_133embedding_backward_feature_kernelIN3c108BFloat16EfiEEvPKT1_PKT_PS8_ili ; -- Begin function _ZN2at6native12_GLOBAL__N_133embedding_backward_feature_kernelIN3c108BFloat16EfiEEvPKT1_PKT_PS8_ili
	.p2align	8
	.type	_ZN2at6native12_GLOBAL__N_133embedding_backward_feature_kernelIN3c108BFloat16EfiEEvPKT1_PKT_PS8_ili,@function
_ZN2at6native12_GLOBAL__N_133embedding_backward_feature_kernelIN3c108BFloat16EfiEEvPKT1_PKT_PS8_ili: ; @_ZN2at6native12_GLOBAL__N_133embedding_backward_feature_kernelIN3c108BFloat16EfiEEvPKT1_PKT_PS8_ili
; %bb.0:
	s_load_dword s14, s[0:1], 0x18
	s_waitcnt lgkmcnt(0)
	s_cmp_lt_i32 s14, 1
	s_cbranch_scc1 .LBB6_18
; %bb.1:
	s_load_dwordx2 s[6:7], s[0:1], 0x20
	s_load_dword s3, s[0:1], 0x3c
	s_load_dword s15, s[0:1], 0x28
	s_load_dwordx4 s[8:11], s[0:1], 0x0
	s_load_dwordx2 s[4:5], s[0:1], 0x10
	v_and_b32_e32 v9, 0x3ff, v0
	s_waitcnt lgkmcnt(0)
	s_and_b32 s18, s3, 0xffff
	s_mul_i32 s2, s2, s18
	s_lshr_b32 s16, s3, 16
	v_add_u32_e32 v2, s2, v9
	v_bfe_u32 v8, v0, 10, 10
	s_lshl_b32 s0, s16, 8
	v_lshlrev_b32_e32 v1, 2, v9
	v_ashrrev_i32_e32 v3, 31, v2
	v_lshrrev_b32_e32 v0, 10, v0
	s_add_i32 s17, s0, 0
	v_mad_u32_u24 v10, v8, s18, v9
	v_lshlrev_b64 v[4:5], 1, v[2:3]
	v_add_u32_e32 v13, 0, v1
	v_lshlrev_b32_e64 v0, v0, 1
	s_mov_b32 s19, 0
	v_lshl_add_u32 v11, v10, 2, s17
	s_mul_i32 s18, s18, s16
	v_add_u32_e32 v12, s17, v1
	v_cmp_le_i32_e64 s[0:1], s6, v2
	v_cmp_gt_i32_e64 s[2:3], s6, v2
	v_lshl_add_u64 v[2:3], s[10:11], 0, v[4:5]
	v_lshl_add_u32 v14, v8, 8, v13
	v_lshl_add_u64 v[4:5], s[4:5], 0, v[4:5]
	v_ashrrev_i32_e32 v1, 31, v0
	s_movk_i32 s20, 0x7fff
	v_mov_b32_e32 v15, 0x7fc00000
	v_mov_b32_e32 v16, 0x7fc0
	s_branch .LBB6_3
.LBB6_2:                                ;   in Loop: Header=BB6_3 Depth=1
	s_cmp_lt_i32 s19, s14
	s_cbranch_scc0 .LBB6_18
.LBB6_3:                                ; =>This Loop Header: Depth=1
                                        ;     Child Loop BB6_7 Depth 2
                                        ;       Child Loop BB6_15 Depth 3
	s_mov_b32 s21, s19
	v_add_u32_e32 v6, s21, v10
	v_cmp_gt_i32_e32 vcc, s14, v6
	s_and_saveexec_b64 s[4:5], vcc
	s_cbranch_execz .LBB6_5
; %bb.4:                                ;   in Loop: Header=BB6_3 Depth=1
	v_ashrrev_i32_e32 v7, 31, v6
	v_lshl_add_u64 v[6:7], v[6:7], 2, s[8:9]
	global_load_dword v6, v[6:7], off
	s_waitcnt vmcnt(0)
	ds_write_b32 v11, v6
.LBB6_5:                                ;   in Loop: Header=BB6_3 Depth=1
	s_or_b64 exec, exec, s[4:5]
	s_add_i32 s19, s21, s18
	s_min_u32 s22, s19, s14
	s_cmp_ge_i32 s21, s22
	s_mov_b32 s23, s21
	s_cbranch_scc0 .LBB6_7
	s_branch .LBB6_2
.LBB6_6:                                ;   in Loop: Header=BB6_7 Depth=2
	s_or_b64 exec, exec, s[10:11]
	s_add_i32 s23, s23, s16
	s_cmp_ge_i32 s23, s22
	s_cbranch_scc1 .LBB6_2
.LBB6_7:                                ;   Parent Loop BB6_3 Depth=1
                                        ; =>  This Loop Header: Depth=2
                                        ;       Child Loop BB6_15 Depth 3
	v_add_u32_e32 v6, s23, v8
	v_subrev_u32_e32 v7, s21, v6
	v_lshl_add_u32 v7, v7, 2, s17
	s_waitcnt lgkmcnt(0)
	s_barrier
	ds_read_b32 v17, v7
	v_cmp_le_i32_e32 vcc, s14, v6
	s_or_b64 s[10:11], s[0:1], vcc
	s_waitcnt lgkmcnt(0)
	v_cmp_eq_u32_e64 s[4:5], s15, v17
	s_nor_b64 s[12:13], s[10:11], s[4:5]
	s_and_saveexec_b64 s[10:11], s[12:13]
	s_cbranch_execz .LBB6_9
; %bb.8:                                ;   in Loop: Header=BB6_7 Depth=2
	v_ashrrev_i32_e32 v7, 31, v6
	v_mul_lo_u32 v18, s7, v6
	v_mul_lo_u32 v19, s6, v7
	v_mad_u64_u32 v[6:7], s[12:13], s6, v6, 0
	v_add3_u32 v7, v7, v19, v18
	v_lshl_add_u64 v[6:7], v[6:7], 1, v[2:3]
	global_load_ushort v6, v[6:7], off
	s_waitcnt vmcnt(0)
	v_lshlrev_b32_e32 v6, 16, v6
	ds_write_b32 v14, v6
.LBB6_9:                                ;   in Loop: Header=BB6_7 Depth=2
	s_or_b64 exec, exec, s[10:11]
	s_nor_b64 s[4:5], vcc, s[4:5]
	s_waitcnt lgkmcnt(0)
	s_barrier
	s_and_saveexec_b64 s[10:11], s[4:5]
	s_cbranch_execz .LBB6_6
; %bb.10:                               ;   in Loop: Header=BB6_7 Depth=2
	s_sub_i32 s4, s22, s23
	s_min_u32 s4, s4, s16
	v_cmp_gt_u32_e32 vcc, s4, v9
	s_mov_b64 s[12:13], 0
	s_and_saveexec_b64 s[4:5], vcc
	s_cbranch_execz .LBB6_12
; %bb.11:                               ;   in Loop: Header=BB6_7 Depth=2
	s_sub_i32 s12, s23, s21
	v_lshl_add_u32 v6, s12, 2, v12
	ds_read_b32 v6, v6
	s_waitcnt lgkmcnt(0)
	v_cmp_eq_u32_e32 vcc, v17, v6
	s_and_b64 s[12:13], vcc, exec
.LBB6_12:                               ;   in Loop: Header=BB6_7 Depth=2
	s_or_b64 exec, exec, s[4:5]
	v_cndmask_b32_e64 v6, 0, 1, s[12:13]
	v_cmp_ne_u32_e32 vcc, 0, v6
	s_cmp_lg_u64 vcc, 0
	s_ff1_i32_b64 s4, vcc
	s_cselect_b64 s[12:13], -1, 0
	v_cmp_eq_u32_e64 s[4:5], s4, v8
	s_and_b64 s[4:5], s[12:13], s[4:5]
	s_and_b64 exec, exec, s[4:5]
	s_cbranch_execz .LBB6_6
; %bb.13:                               ;   in Loop: Header=BB6_7 Depth=2
	v_cmp_ne_u64_e64 s[4:5], vcc, v[0:1]
	s_and_saveexec_b64 s[12:13], s[4:5]
	s_cbranch_execz .LBB6_16
; %bb.14:                               ;   in Loop: Header=BB6_7 Depth=2
	ds_read_b32 v18, v14
	v_xor_b32_e32 v7, vcc_hi, v1
	v_xor_b32_e32 v6, vcc_lo, v0
	s_mov_b64 s[4:5], 0
.LBB6_15:                               ;   Parent Loop BB6_3 Depth=1
                                        ;     Parent Loop BB6_7 Depth=2
                                        ; =>    This Inner Loop Header: Depth=3
	v_ffbl_b32_e32 v19, v7
	v_ffbl_b32_e32 v20, v6
	v_add_u32_e32 v19, 32, v19
	v_min_u32_e32 v19, v20, v19
	v_lshl_add_u32 v21, v19, 8, v13
	v_lshlrev_b32_e64 v20, v19, 1
	ds_read_b32 v19, v21
	v_ashrrev_i32_e32 v21, 31, v20
	v_xor_b32_e32 v22, v6, v20
	v_xor_b32_e32 v23, v7, v21
	v_cmp_eq_u64_e32 vcc, v[6:7], v[20:21]
	s_or_b64 s[4:5], vcc, s[4:5]
	v_mov_b64_e32 v[6:7], v[22:23]
	s_waitcnt lgkmcnt(0)
	v_add_f32_e32 v18, v19, v18
	ds_write_b32 v14, v18
	s_andn2_b64 exec, exec, s[4:5]
	s_cbranch_execnz .LBB6_15
.LBB6_16:                               ;   in Loop: Header=BB6_7 Depth=2
	s_or_b64 exec, exec, s[12:13]
	s_and_b64 exec, exec, s[2:3]
	s_cbranch_execz .LBB6_6
; %bb.17:                               ;   in Loop: Header=BB6_7 Depth=2
	v_ashrrev_i32_e32 v6, 31, v17
	v_mul_lo_u32 v18, s7, v17
	v_mul_lo_u32 v19, s6, v6
	v_mad_u64_u32 v[6:7], s[4:5], s6, v17, 0
	v_add3_u32 v7, v7, v19, v18
	v_lshl_add_u64 v[6:7], v[6:7], 1, v[4:5]
	global_load_ushort v17, v[6:7], off
	ds_read_b32 v18, v14
	s_waitcnt lgkmcnt(0)
	v_bfe_u32 v19, v18, 16, 1
	v_add3_u32 v19, v18, v19, s20
	v_and_b32_e32 v19, 0xffff0000, v19
	v_cmp_o_f32_e32 vcc, v18, v18
	s_waitcnt vmcnt(0)
	v_lshlrev_b32_e32 v17, 16, v17
	v_cndmask_b32_e32 v18, v15, v19, vcc
	v_add_f32_e32 v17, v18, v17
	v_bfe_u32 v18, v17, 16, 1
	v_cmp_o_f32_e32 vcc, v17, v17
	v_add3_u32 v17, v17, v18, s20
	s_nop 0
	v_cndmask_b32_sdwa v17, v16, v17, vcc dst_sel:DWORD dst_unused:UNUSED_PAD src0_sel:DWORD src1_sel:WORD_1
	global_store_short v[6:7], v17, off
	s_branch .LBB6_6
.LBB6_18:
	s_endpgm
	.section	.rodata,"a",@progbits
	.p2align	6, 0x0
	.amdhsa_kernel _ZN2at6native12_GLOBAL__N_133embedding_backward_feature_kernelIN3c108BFloat16EfiEEvPKT1_PKT_PS8_ili
		.amdhsa_group_segment_fixed_size 0
		.amdhsa_private_segment_fixed_size 0
		.amdhsa_kernarg_size 304
		.amdhsa_user_sgpr_count 2
		.amdhsa_user_sgpr_dispatch_ptr 0
		.amdhsa_user_sgpr_queue_ptr 0
		.amdhsa_user_sgpr_kernarg_segment_ptr 1
		.amdhsa_user_sgpr_dispatch_id 0
		.amdhsa_user_sgpr_kernarg_preload_length 0
		.amdhsa_user_sgpr_kernarg_preload_offset 0
		.amdhsa_user_sgpr_private_segment_size 0
		.amdhsa_uses_dynamic_stack 0
		.amdhsa_enable_private_segment 0
		.amdhsa_system_sgpr_workgroup_id_x 1
		.amdhsa_system_sgpr_workgroup_id_y 0
		.amdhsa_system_sgpr_workgroup_id_z 0
		.amdhsa_system_sgpr_workgroup_info 0
		.amdhsa_system_vgpr_workitem_id 1
		.amdhsa_next_free_vgpr 24
		.amdhsa_next_free_sgpr 24
		.amdhsa_accum_offset 24
		.amdhsa_reserve_vcc 1
		.amdhsa_float_round_mode_32 0
		.amdhsa_float_round_mode_16_64 0
		.amdhsa_float_denorm_mode_32 3
		.amdhsa_float_denorm_mode_16_64 3
		.amdhsa_dx10_clamp 1
		.amdhsa_ieee_mode 1
		.amdhsa_fp16_overflow 0
		.amdhsa_tg_split 0
		.amdhsa_exception_fp_ieee_invalid_op 0
		.amdhsa_exception_fp_denorm_src 0
		.amdhsa_exception_fp_ieee_div_zero 0
		.amdhsa_exception_fp_ieee_overflow 0
		.amdhsa_exception_fp_ieee_underflow 0
		.amdhsa_exception_fp_ieee_inexact 0
		.amdhsa_exception_int_div_zero 0
	.end_amdhsa_kernel
	.section	.text._ZN2at6native12_GLOBAL__N_133embedding_backward_feature_kernelIN3c108BFloat16EfiEEvPKT1_PKT_PS8_ili,"axG",@progbits,_ZN2at6native12_GLOBAL__N_133embedding_backward_feature_kernelIN3c108BFloat16EfiEEvPKT1_PKT_PS8_ili,comdat
.Lfunc_end6:
	.size	_ZN2at6native12_GLOBAL__N_133embedding_backward_feature_kernelIN3c108BFloat16EfiEEvPKT1_PKT_PS8_ili, .Lfunc_end6-_ZN2at6native12_GLOBAL__N_133embedding_backward_feature_kernelIN3c108BFloat16EfiEEvPKT1_PKT_PS8_ili
                                        ; -- End function
	.set _ZN2at6native12_GLOBAL__N_133embedding_backward_feature_kernelIN3c108BFloat16EfiEEvPKT1_PKT_PS8_ili.num_vgpr, 24
	.set _ZN2at6native12_GLOBAL__N_133embedding_backward_feature_kernelIN3c108BFloat16EfiEEvPKT1_PKT_PS8_ili.num_agpr, 0
	.set _ZN2at6native12_GLOBAL__N_133embedding_backward_feature_kernelIN3c108BFloat16EfiEEvPKT1_PKT_PS8_ili.numbered_sgpr, 24
	.set _ZN2at6native12_GLOBAL__N_133embedding_backward_feature_kernelIN3c108BFloat16EfiEEvPKT1_PKT_PS8_ili.num_named_barrier, 0
	.set _ZN2at6native12_GLOBAL__N_133embedding_backward_feature_kernelIN3c108BFloat16EfiEEvPKT1_PKT_PS8_ili.private_seg_size, 0
	.set _ZN2at6native12_GLOBAL__N_133embedding_backward_feature_kernelIN3c108BFloat16EfiEEvPKT1_PKT_PS8_ili.uses_vcc, 1
	.set _ZN2at6native12_GLOBAL__N_133embedding_backward_feature_kernelIN3c108BFloat16EfiEEvPKT1_PKT_PS8_ili.uses_flat_scratch, 0
	.set _ZN2at6native12_GLOBAL__N_133embedding_backward_feature_kernelIN3c108BFloat16EfiEEvPKT1_PKT_PS8_ili.has_dyn_sized_stack, 0
	.set _ZN2at6native12_GLOBAL__N_133embedding_backward_feature_kernelIN3c108BFloat16EfiEEvPKT1_PKT_PS8_ili.has_recursion, 0
	.set _ZN2at6native12_GLOBAL__N_133embedding_backward_feature_kernelIN3c108BFloat16EfiEEvPKT1_PKT_PS8_ili.has_indirect_call, 0
	.section	.AMDGPU.csdata,"",@progbits
; Kernel info:
; codeLenInByte = 892
; TotalNumSgprs: 30
; NumVgprs: 24
; NumAgprs: 0
; TotalNumVgprs: 24
; ScratchSize: 0
; MemoryBound: 0
; FloatMode: 240
; IeeeMode: 1
; LDSByteSize: 0 bytes/workgroup (compile time only)
; SGPRBlocks: 3
; VGPRBlocks: 2
; NumSGPRsForWavesPerEU: 30
; NumVGPRsForWavesPerEU: 24
; AccumOffset: 24
; Occupancy: 8
; WaveLimiterHint : 0
; COMPUTE_PGM_RSRC2:SCRATCH_EN: 0
; COMPUTE_PGM_RSRC2:USER_SGPR: 2
; COMPUTE_PGM_RSRC2:TRAP_HANDLER: 0
; COMPUTE_PGM_RSRC2:TGID_X_EN: 1
; COMPUTE_PGM_RSRC2:TGID_Y_EN: 0
; COMPUTE_PGM_RSRC2:TGID_Z_EN: 0
; COMPUTE_PGM_RSRC2:TIDIG_COMP_CNT: 1
; COMPUTE_PGM_RSRC3_GFX90A:ACCUM_OFFSET: 5
; COMPUTE_PGM_RSRC3_GFX90A:TG_SPLIT: 0
	.section	.text._ZN2at6native12_GLOBAL__N_133embedding_backward_feature_kernelIN3c108BFloat16EflEEvPKT1_PKT_PS8_ili,"axG",@progbits,_ZN2at6native12_GLOBAL__N_133embedding_backward_feature_kernelIN3c108BFloat16EflEEvPKT1_PKT_PS8_ili,comdat
	.globl	_ZN2at6native12_GLOBAL__N_133embedding_backward_feature_kernelIN3c108BFloat16EflEEvPKT1_PKT_PS8_ili ; -- Begin function _ZN2at6native12_GLOBAL__N_133embedding_backward_feature_kernelIN3c108BFloat16EflEEvPKT1_PKT_PS8_ili
	.p2align	8
	.type	_ZN2at6native12_GLOBAL__N_133embedding_backward_feature_kernelIN3c108BFloat16EflEEvPKT1_PKT_PS8_ili,@function
_ZN2at6native12_GLOBAL__N_133embedding_backward_feature_kernelIN3c108BFloat16EflEEvPKT1_PKT_PS8_ili: ; @_ZN2at6native12_GLOBAL__N_133embedding_backward_feature_kernelIN3c108BFloat16EflEEvPKT1_PKT_PS8_ili
; %bb.0:
	s_load_dword s14, s[0:1], 0x18
	s_waitcnt lgkmcnt(0)
	s_cmp_lt_i32 s14, 1
	s_cbranch_scc1 .LBB7_18
; %bb.1:
	s_load_dwordx2 s[6:7], s[0:1], 0x20
	s_load_dword s3, s[0:1], 0x3c
	s_load_dword s15, s[0:1], 0x28
	s_load_dwordx4 s[8:11], s[0:1], 0x0
	s_load_dwordx2 s[4:5], s[0:1], 0x10
	v_and_b32_e32 v9, 0x3ff, v0
	s_waitcnt lgkmcnt(0)
	s_and_b32 s18, s3, 0xffff
	s_mul_i32 s2, s2, s18
	s_lshr_b32 s16, s3, 16
	v_add_u32_e32 v2, s2, v9
	v_bfe_u32 v8, v0, 10, 10
	s_lshl_b32 s0, s16, 8
	v_lshlrev_b32_e32 v1, 2, v9
	v_ashrrev_i32_e32 v3, 31, v2
	v_lshrrev_b32_e32 v0, 10, v0
	s_add_i32 s17, s0, 0
	v_mad_u32_u24 v10, v8, s18, v9
	v_lshlrev_b64 v[4:5], 1, v[2:3]
	v_add_u32_e32 v13, 0, v1
	v_lshlrev_b32_e64 v0, v0, 1
	s_mov_b32 s19, 0
	v_lshl_add_u32 v11, v10, 2, s17
	s_mul_i32 s18, s18, s16
	v_add_u32_e32 v12, s17, v1
	v_cmp_le_i32_e64 s[0:1], s6, v2
	v_cmp_gt_i32_e64 s[2:3], s6, v2
	v_lshl_add_u64 v[2:3], s[10:11], 0, v[4:5]
	v_lshl_add_u32 v14, v8, 8, v13
	v_lshl_add_u64 v[4:5], s[4:5], 0, v[4:5]
	v_ashrrev_i32_e32 v1, 31, v0
	s_movk_i32 s20, 0x7fff
	v_mov_b32_e32 v15, 0x7fc00000
	v_mov_b32_e32 v16, 0x7fc0
	s_branch .LBB7_3
.LBB7_2:                                ;   in Loop: Header=BB7_3 Depth=1
	s_cmp_lt_i32 s19, s14
	s_cbranch_scc0 .LBB7_18
.LBB7_3:                                ; =>This Loop Header: Depth=1
                                        ;     Child Loop BB7_7 Depth 2
                                        ;       Child Loop BB7_15 Depth 3
	s_mov_b32 s21, s19
	v_add_u32_e32 v6, s21, v10
	v_cmp_gt_i32_e32 vcc, s14, v6
	s_and_saveexec_b64 s[4:5], vcc
	s_cbranch_execz .LBB7_5
; %bb.4:                                ;   in Loop: Header=BB7_3 Depth=1
	v_ashrrev_i32_e32 v7, 31, v6
	v_lshl_add_u64 v[6:7], v[6:7], 3, s[8:9]
	global_load_dword v6, v[6:7], off
	s_waitcnt vmcnt(0)
	ds_write_b32 v11, v6
.LBB7_5:                                ;   in Loop: Header=BB7_3 Depth=1
	s_or_b64 exec, exec, s[4:5]
	s_add_i32 s19, s21, s18
	s_min_u32 s22, s19, s14
	s_cmp_ge_i32 s21, s22
	s_mov_b32 s23, s21
	s_cbranch_scc0 .LBB7_7
	s_branch .LBB7_2
.LBB7_6:                                ;   in Loop: Header=BB7_7 Depth=2
	s_or_b64 exec, exec, s[10:11]
	s_add_i32 s23, s23, s16
	s_cmp_ge_i32 s23, s22
	s_cbranch_scc1 .LBB7_2
.LBB7_7:                                ;   Parent Loop BB7_3 Depth=1
                                        ; =>  This Loop Header: Depth=2
                                        ;       Child Loop BB7_15 Depth 3
	v_add_u32_e32 v6, s23, v8
	v_subrev_u32_e32 v7, s21, v6
	v_lshl_add_u32 v7, v7, 2, s17
	s_waitcnt lgkmcnt(0)
	s_barrier
	ds_read_b32 v17, v7
	v_cmp_le_i32_e32 vcc, s14, v6
	s_or_b64 s[10:11], s[0:1], vcc
	s_waitcnt lgkmcnt(0)
	v_cmp_eq_u32_e64 s[4:5], s15, v17
	s_nor_b64 s[12:13], s[10:11], s[4:5]
	s_and_saveexec_b64 s[10:11], s[12:13]
	s_cbranch_execz .LBB7_9
; %bb.8:                                ;   in Loop: Header=BB7_7 Depth=2
	v_ashrrev_i32_e32 v7, 31, v6
	v_mul_lo_u32 v18, s7, v6
	v_mul_lo_u32 v19, s6, v7
	v_mad_u64_u32 v[6:7], s[12:13], s6, v6, 0
	v_add3_u32 v7, v7, v19, v18
	v_lshl_add_u64 v[6:7], v[6:7], 1, v[2:3]
	global_load_ushort v6, v[6:7], off
	s_waitcnt vmcnt(0)
	v_lshlrev_b32_e32 v6, 16, v6
	ds_write_b32 v14, v6
.LBB7_9:                                ;   in Loop: Header=BB7_7 Depth=2
	s_or_b64 exec, exec, s[10:11]
	s_nor_b64 s[4:5], vcc, s[4:5]
	s_waitcnt lgkmcnt(0)
	s_barrier
	s_and_saveexec_b64 s[10:11], s[4:5]
	s_cbranch_execz .LBB7_6
; %bb.10:                               ;   in Loop: Header=BB7_7 Depth=2
	s_sub_i32 s4, s22, s23
	s_min_u32 s4, s4, s16
	v_cmp_gt_u32_e32 vcc, s4, v9
	s_mov_b64 s[12:13], 0
	s_and_saveexec_b64 s[4:5], vcc
	s_cbranch_execz .LBB7_12
; %bb.11:                               ;   in Loop: Header=BB7_7 Depth=2
	s_sub_i32 s12, s23, s21
	v_lshl_add_u32 v6, s12, 2, v12
	ds_read_b32 v6, v6
	s_waitcnt lgkmcnt(0)
	v_cmp_eq_u32_e32 vcc, v17, v6
	s_and_b64 s[12:13], vcc, exec
.LBB7_12:                               ;   in Loop: Header=BB7_7 Depth=2
	s_or_b64 exec, exec, s[4:5]
	v_cndmask_b32_e64 v6, 0, 1, s[12:13]
	v_cmp_ne_u32_e32 vcc, 0, v6
	s_cmp_lg_u64 vcc, 0
	s_ff1_i32_b64 s4, vcc
	s_cselect_b64 s[12:13], -1, 0
	v_cmp_eq_u32_e64 s[4:5], s4, v8
	s_and_b64 s[4:5], s[12:13], s[4:5]
	s_and_b64 exec, exec, s[4:5]
	s_cbranch_execz .LBB7_6
; %bb.13:                               ;   in Loop: Header=BB7_7 Depth=2
	v_cmp_ne_u64_e64 s[4:5], vcc, v[0:1]
	s_and_saveexec_b64 s[12:13], s[4:5]
	s_cbranch_execz .LBB7_16
; %bb.14:                               ;   in Loop: Header=BB7_7 Depth=2
	ds_read_b32 v18, v14
	v_xor_b32_e32 v7, vcc_hi, v1
	v_xor_b32_e32 v6, vcc_lo, v0
	s_mov_b64 s[4:5], 0
.LBB7_15:                               ;   Parent Loop BB7_3 Depth=1
                                        ;     Parent Loop BB7_7 Depth=2
                                        ; =>    This Inner Loop Header: Depth=3
	v_ffbl_b32_e32 v19, v7
	v_ffbl_b32_e32 v20, v6
	v_add_u32_e32 v19, 32, v19
	v_min_u32_e32 v19, v20, v19
	v_lshl_add_u32 v21, v19, 8, v13
	v_lshlrev_b32_e64 v20, v19, 1
	ds_read_b32 v19, v21
	v_ashrrev_i32_e32 v21, 31, v20
	v_xor_b32_e32 v22, v6, v20
	v_xor_b32_e32 v23, v7, v21
	v_cmp_eq_u64_e32 vcc, v[6:7], v[20:21]
	s_or_b64 s[4:5], vcc, s[4:5]
	v_mov_b64_e32 v[6:7], v[22:23]
	s_waitcnt lgkmcnt(0)
	v_add_f32_e32 v18, v19, v18
	ds_write_b32 v14, v18
	s_andn2_b64 exec, exec, s[4:5]
	s_cbranch_execnz .LBB7_15
.LBB7_16:                               ;   in Loop: Header=BB7_7 Depth=2
	s_or_b64 exec, exec, s[12:13]
	s_and_b64 exec, exec, s[2:3]
	s_cbranch_execz .LBB7_6
; %bb.17:                               ;   in Loop: Header=BB7_7 Depth=2
	v_ashrrev_i32_e32 v6, 31, v17
	v_mul_lo_u32 v18, s7, v17
	v_mul_lo_u32 v19, s6, v6
	v_mad_u64_u32 v[6:7], s[4:5], s6, v17, 0
	v_add3_u32 v7, v7, v19, v18
	v_lshl_add_u64 v[6:7], v[6:7], 1, v[4:5]
	global_load_ushort v17, v[6:7], off
	ds_read_b32 v18, v14
	s_waitcnt lgkmcnt(0)
	v_bfe_u32 v19, v18, 16, 1
	v_add3_u32 v19, v18, v19, s20
	v_and_b32_e32 v19, 0xffff0000, v19
	v_cmp_o_f32_e32 vcc, v18, v18
	s_waitcnt vmcnt(0)
	v_lshlrev_b32_e32 v17, 16, v17
	v_cndmask_b32_e32 v18, v15, v19, vcc
	v_add_f32_e32 v17, v18, v17
	v_bfe_u32 v18, v17, 16, 1
	v_cmp_o_f32_e32 vcc, v17, v17
	v_add3_u32 v17, v17, v18, s20
	s_nop 0
	v_cndmask_b32_sdwa v17, v16, v17, vcc dst_sel:DWORD dst_unused:UNUSED_PAD src0_sel:DWORD src1_sel:WORD_1
	global_store_short v[6:7], v17, off
	s_branch .LBB7_6
.LBB7_18:
	s_endpgm
	.section	.rodata,"a",@progbits
	.p2align	6, 0x0
	.amdhsa_kernel _ZN2at6native12_GLOBAL__N_133embedding_backward_feature_kernelIN3c108BFloat16EflEEvPKT1_PKT_PS8_ili
		.amdhsa_group_segment_fixed_size 0
		.amdhsa_private_segment_fixed_size 0
		.amdhsa_kernarg_size 304
		.amdhsa_user_sgpr_count 2
		.amdhsa_user_sgpr_dispatch_ptr 0
		.amdhsa_user_sgpr_queue_ptr 0
		.amdhsa_user_sgpr_kernarg_segment_ptr 1
		.amdhsa_user_sgpr_dispatch_id 0
		.amdhsa_user_sgpr_kernarg_preload_length 0
		.amdhsa_user_sgpr_kernarg_preload_offset 0
		.amdhsa_user_sgpr_private_segment_size 0
		.amdhsa_uses_dynamic_stack 0
		.amdhsa_enable_private_segment 0
		.amdhsa_system_sgpr_workgroup_id_x 1
		.amdhsa_system_sgpr_workgroup_id_y 0
		.amdhsa_system_sgpr_workgroup_id_z 0
		.amdhsa_system_sgpr_workgroup_info 0
		.amdhsa_system_vgpr_workitem_id 1
		.amdhsa_next_free_vgpr 24
		.amdhsa_next_free_sgpr 24
		.amdhsa_accum_offset 24
		.amdhsa_reserve_vcc 1
		.amdhsa_float_round_mode_32 0
		.amdhsa_float_round_mode_16_64 0
		.amdhsa_float_denorm_mode_32 3
		.amdhsa_float_denorm_mode_16_64 3
		.amdhsa_dx10_clamp 1
		.amdhsa_ieee_mode 1
		.amdhsa_fp16_overflow 0
		.amdhsa_tg_split 0
		.amdhsa_exception_fp_ieee_invalid_op 0
		.amdhsa_exception_fp_denorm_src 0
		.amdhsa_exception_fp_ieee_div_zero 0
		.amdhsa_exception_fp_ieee_overflow 0
		.amdhsa_exception_fp_ieee_underflow 0
		.amdhsa_exception_fp_ieee_inexact 0
		.amdhsa_exception_int_div_zero 0
	.end_amdhsa_kernel
	.section	.text._ZN2at6native12_GLOBAL__N_133embedding_backward_feature_kernelIN3c108BFloat16EflEEvPKT1_PKT_PS8_ili,"axG",@progbits,_ZN2at6native12_GLOBAL__N_133embedding_backward_feature_kernelIN3c108BFloat16EflEEvPKT1_PKT_PS8_ili,comdat
.Lfunc_end7:
	.size	_ZN2at6native12_GLOBAL__N_133embedding_backward_feature_kernelIN3c108BFloat16EflEEvPKT1_PKT_PS8_ili, .Lfunc_end7-_ZN2at6native12_GLOBAL__N_133embedding_backward_feature_kernelIN3c108BFloat16EflEEvPKT1_PKT_PS8_ili
                                        ; -- End function
	.set _ZN2at6native12_GLOBAL__N_133embedding_backward_feature_kernelIN3c108BFloat16EflEEvPKT1_PKT_PS8_ili.num_vgpr, 24
	.set _ZN2at6native12_GLOBAL__N_133embedding_backward_feature_kernelIN3c108BFloat16EflEEvPKT1_PKT_PS8_ili.num_agpr, 0
	.set _ZN2at6native12_GLOBAL__N_133embedding_backward_feature_kernelIN3c108BFloat16EflEEvPKT1_PKT_PS8_ili.numbered_sgpr, 24
	.set _ZN2at6native12_GLOBAL__N_133embedding_backward_feature_kernelIN3c108BFloat16EflEEvPKT1_PKT_PS8_ili.num_named_barrier, 0
	.set _ZN2at6native12_GLOBAL__N_133embedding_backward_feature_kernelIN3c108BFloat16EflEEvPKT1_PKT_PS8_ili.private_seg_size, 0
	.set _ZN2at6native12_GLOBAL__N_133embedding_backward_feature_kernelIN3c108BFloat16EflEEvPKT1_PKT_PS8_ili.uses_vcc, 1
	.set _ZN2at6native12_GLOBAL__N_133embedding_backward_feature_kernelIN3c108BFloat16EflEEvPKT1_PKT_PS8_ili.uses_flat_scratch, 0
	.set _ZN2at6native12_GLOBAL__N_133embedding_backward_feature_kernelIN3c108BFloat16EflEEvPKT1_PKT_PS8_ili.has_dyn_sized_stack, 0
	.set _ZN2at6native12_GLOBAL__N_133embedding_backward_feature_kernelIN3c108BFloat16EflEEvPKT1_PKT_PS8_ili.has_recursion, 0
	.set _ZN2at6native12_GLOBAL__N_133embedding_backward_feature_kernelIN3c108BFloat16EflEEvPKT1_PKT_PS8_ili.has_indirect_call, 0
	.section	.AMDGPU.csdata,"",@progbits
; Kernel info:
; codeLenInByte = 892
; TotalNumSgprs: 30
; NumVgprs: 24
; NumAgprs: 0
; TotalNumVgprs: 24
; ScratchSize: 0
; MemoryBound: 0
; FloatMode: 240
; IeeeMode: 1
; LDSByteSize: 0 bytes/workgroup (compile time only)
; SGPRBlocks: 3
; VGPRBlocks: 2
; NumSGPRsForWavesPerEU: 30
; NumVGPRsForWavesPerEU: 24
; AccumOffset: 24
; Occupancy: 8
; WaveLimiterHint : 0
; COMPUTE_PGM_RSRC2:SCRATCH_EN: 0
; COMPUTE_PGM_RSRC2:USER_SGPR: 2
; COMPUTE_PGM_RSRC2:TRAP_HANDLER: 0
; COMPUTE_PGM_RSRC2:TGID_X_EN: 1
; COMPUTE_PGM_RSRC2:TGID_Y_EN: 0
; COMPUTE_PGM_RSRC2:TGID_Z_EN: 0
; COMPUTE_PGM_RSRC2:TIDIG_COMP_CNT: 1
; COMPUTE_PGM_RSRC3_GFX90A:ACCUM_OFFSET: 5
; COMPUTE_PGM_RSRC3_GFX90A:TG_SPLIT: 0
	.section	.text._ZN7rocprim17ROCPRIM_400000_NS6detail30init_device_scan_by_key_kernelINS1_19lookback_scan_stateINS0_5tupleIJibEEELb0ELb1EEEPKijNS1_16block_id_wrapperIjLb0EEEEEvT_jjPNSB_10value_typeET0_PNSt15iterator_traitsISE_E10value_typeEmT1_T2_,"axG",@progbits,_ZN7rocprim17ROCPRIM_400000_NS6detail30init_device_scan_by_key_kernelINS1_19lookback_scan_stateINS0_5tupleIJibEEELb0ELb1EEEPKijNS1_16block_id_wrapperIjLb0EEEEEvT_jjPNSB_10value_typeET0_PNSt15iterator_traitsISE_E10value_typeEmT1_T2_,comdat
	.protected	_ZN7rocprim17ROCPRIM_400000_NS6detail30init_device_scan_by_key_kernelINS1_19lookback_scan_stateINS0_5tupleIJibEEELb0ELb1EEEPKijNS1_16block_id_wrapperIjLb0EEEEEvT_jjPNSB_10value_typeET0_PNSt15iterator_traitsISE_E10value_typeEmT1_T2_ ; -- Begin function _ZN7rocprim17ROCPRIM_400000_NS6detail30init_device_scan_by_key_kernelINS1_19lookback_scan_stateINS0_5tupleIJibEEELb0ELb1EEEPKijNS1_16block_id_wrapperIjLb0EEEEEvT_jjPNSB_10value_typeET0_PNSt15iterator_traitsISE_E10value_typeEmT1_T2_
	.globl	_ZN7rocprim17ROCPRIM_400000_NS6detail30init_device_scan_by_key_kernelINS1_19lookback_scan_stateINS0_5tupleIJibEEELb0ELb1EEEPKijNS1_16block_id_wrapperIjLb0EEEEEvT_jjPNSB_10value_typeET0_PNSt15iterator_traitsISE_E10value_typeEmT1_T2_
	.p2align	8
	.type	_ZN7rocprim17ROCPRIM_400000_NS6detail30init_device_scan_by_key_kernelINS1_19lookback_scan_stateINS0_5tupleIJibEEELb0ELb1EEEPKijNS1_16block_id_wrapperIjLb0EEEEEvT_jjPNSB_10value_typeET0_PNSt15iterator_traitsISE_E10value_typeEmT1_T2_,@function
_ZN7rocprim17ROCPRIM_400000_NS6detail30init_device_scan_by_key_kernelINS1_19lookback_scan_stateINS0_5tupleIJibEEELb0ELb1EEEPKijNS1_16block_id_wrapperIjLb0EEEEEvT_jjPNSB_10value_typeET0_PNSt15iterator_traitsISE_E10value_typeEmT1_T2_: ; @_ZN7rocprim17ROCPRIM_400000_NS6detail30init_device_scan_by_key_kernelINS1_19lookback_scan_stateINS0_5tupleIJibEEELb0ELb1EEEPKijNS1_16block_id_wrapperIjLb0EEEEEvT_jjPNSB_10value_typeET0_PNSt15iterator_traitsISE_E10value_typeEmT1_T2_
; %bb.0:
	s_load_dword s3, s[0:1], 0x44
	s_load_dwordx8 s[4:11], s[0:1], 0x0
	s_load_dword s18, s[0:1], 0x38
	s_waitcnt lgkmcnt(0)
	s_and_b32 s19, s3, 0xffff
	s_mul_i32 s2, s2, s19
	s_cmp_eq_u64 s[8:9], 0
	v_add_u32_e32 v4, s2, v0
	s_cbranch_scc1 .LBB8_8
; %bb.1:
	s_cmp_lt_u32 s7, s6
	s_cselect_b32 s2, s7, 0
	s_mov_b32 s13, 0
	v_cmp_eq_u32_e32 vcc, s2, v4
	s_and_saveexec_b64 s[2:3], vcc
	s_cbranch_execz .LBB8_7
; %bb.2:
	s_add_i32 s12, s7, 64
	s_lshl_b64 s[12:13], s[12:13], 4
	s_add_u32 s16, s4, s12
	s_addc_u32 s17, s5, s13
	v_mov_b64_e32 v[0:1], s[16:17]
	;;#ASMSTART
	global_load_dwordx4 v[0:3], v[0:1] off sc1	
s_waitcnt vmcnt(0)
	;;#ASMEND
	v_mov_b32_e32 v7, 0
	v_and_b32_e32 v6, 0xff, v2
	s_mov_b64 s[14:15], 0
	v_cmp_eq_u64_e32 vcc, 0, v[6:7]
	s_and_saveexec_b64 s[12:13], vcc
	s_cbranch_execz .LBB8_6
; %bb.3:
	v_mov_b64_e32 v[8:9], s[16:17]
.LBB8_4:                                ; =>This Inner Loop Header: Depth=1
	;;#ASMSTART
	global_load_dwordx4 v[0:3], v[8:9] off sc1	
s_waitcnt vmcnt(0)
	;;#ASMEND
	s_nop 0
	v_and_b32_e32 v6, 0xff, v2
	v_cmp_ne_u64_e32 vcc, 0, v[6:7]
	s_or_b64 s[14:15], vcc, s[14:15]
	s_andn2_b64 exec, exec, s[14:15]
	s_cbranch_execnz .LBB8_4
; %bb.5:
	s_or_b64 exec, exec, s[14:15]
.LBB8_6:
	s_or_b64 exec, exec, s[12:13]
	v_mov_b32_e32 v2, 0
	global_store_dword v2, v0, s[8:9]
	global_store_byte v2, v1, s[8:9] offset:4
.LBB8_7:
	s_or_b64 exec, exec, s[2:3]
.LBB8_8:
	v_cmp_gt_u32_e32 vcc, s6, v4
	s_and_saveexec_b64 s[2:3], vcc
	s_cbranch_execz .LBB8_10
; %bb.9:
	v_add_u32_e32 v0, 64, v4
	v_mov_b32_e32 v1, 0
	v_lshl_add_u64 v[6:7], v[0:1], 4, s[4:5]
	v_mov_b32_e32 v0, v1
	v_mov_b32_e32 v2, v1
	;; [unrolled: 1-line block ×3, first 2 shown]
	global_store_dwordx4 v[6:7], v[0:3], off
.LBB8_10:
	s_or_b64 exec, exec, s[2:3]
	v_cmp_gt_u32_e32 vcc, 64, v4
	v_mov_b32_e32 v5, 0
	s_and_saveexec_b64 s[2:3], vcc
	s_cbranch_execz .LBB8_12
; %bb.11:
	v_lshl_add_u64 v[6:7], v[4:5], 4, s[4:5]
	v_mov_b32_e32 v2, 0xff
	v_mov_b32_e32 v0, v5
	;; [unrolled: 1-line block ×4, first 2 shown]
	global_store_dwordx4 v[6:7], v[0:3], off
.LBB8_12:
	s_or_b64 exec, exec, s[2:3]
	s_load_dwordx2 s[2:3], s[0:1], 0x28
	s_waitcnt lgkmcnt(0)
	v_cmp_gt_u64_e32 vcc, s[2:3], v[4:5]
	s_and_saveexec_b64 s[4:5], vcc
	s_cbranch_execz .LBB8_15
; %bb.13:
	s_load_dword s12, s[0:1], 0x30
	s_load_dwordx2 s[6:7], s[0:1], 0x20
	s_mov_b32 s5, 0
	s_mov_b32 s1, s5
	s_mul_i32 s0, s18, s19
	s_waitcnt lgkmcnt(0)
	s_add_i32 s4, s12, -1
	s_lshl_b64 s[4:5], s[4:5], 2
	s_add_u32 s4, s10, s4
	v_mad_u64_u32 v[0:1], s[8:9], s12, v4, 0
	s_addc_u32 s5, s11, s5
	v_lshl_add_u64 v[0:1], v[0:1], 2, s[4:5]
	s_mul_hi_u32 s5, s12, s0
	s_mul_i32 s4, s12, s0
	s_lshl_b64 s[4:5], s[4:5], 2
	v_lshl_add_u64 v[2:3], v[4:5], 2, s[6:7]
	s_lshl_b64 s[6:7], s[0:1], 2
	s_mov_b64 s[8:9], 0
.LBB8_14:                               ; =>This Inner Loop Header: Depth=1
	global_load_dword v6, v[0:1], off
	v_lshl_add_u64 v[4:5], v[4:5], 0, s[0:1]
	v_cmp_le_u64_e32 vcc, s[2:3], v[4:5]
	v_lshl_add_u64 v[0:1], v[0:1], 0, s[4:5]
	s_or_b64 s[8:9], vcc, s[8:9]
	s_waitcnt vmcnt(0)
	global_store_dword v[2:3], v6, off
	v_lshl_add_u64 v[2:3], v[2:3], 0, s[6:7]
	s_andn2_b64 exec, exec, s[8:9]
	s_cbranch_execnz .LBB8_14
.LBB8_15:
	s_endpgm
	.section	.rodata,"a",@progbits
	.p2align	6, 0x0
	.amdhsa_kernel _ZN7rocprim17ROCPRIM_400000_NS6detail30init_device_scan_by_key_kernelINS1_19lookback_scan_stateINS0_5tupleIJibEEELb0ELb1EEEPKijNS1_16block_id_wrapperIjLb0EEEEEvT_jjPNSB_10value_typeET0_PNSt15iterator_traitsISE_E10value_typeEmT1_T2_
		.amdhsa_group_segment_fixed_size 0
		.amdhsa_private_segment_fixed_size 0
		.amdhsa_kernarg_size 312
		.amdhsa_user_sgpr_count 2
		.amdhsa_user_sgpr_dispatch_ptr 0
		.amdhsa_user_sgpr_queue_ptr 0
		.amdhsa_user_sgpr_kernarg_segment_ptr 1
		.amdhsa_user_sgpr_dispatch_id 0
		.amdhsa_user_sgpr_kernarg_preload_length 0
		.amdhsa_user_sgpr_kernarg_preload_offset 0
		.amdhsa_user_sgpr_private_segment_size 0
		.amdhsa_uses_dynamic_stack 0
		.amdhsa_enable_private_segment 0
		.amdhsa_system_sgpr_workgroup_id_x 1
		.amdhsa_system_sgpr_workgroup_id_y 0
		.amdhsa_system_sgpr_workgroup_id_z 0
		.amdhsa_system_sgpr_workgroup_info 0
		.amdhsa_system_vgpr_workitem_id 0
		.amdhsa_next_free_vgpr 10
		.amdhsa_next_free_sgpr 20
		.amdhsa_accum_offset 12
		.amdhsa_reserve_vcc 1
		.amdhsa_float_round_mode_32 0
		.amdhsa_float_round_mode_16_64 0
		.amdhsa_float_denorm_mode_32 3
		.amdhsa_float_denorm_mode_16_64 3
		.amdhsa_dx10_clamp 1
		.amdhsa_ieee_mode 1
		.amdhsa_fp16_overflow 0
		.amdhsa_tg_split 0
		.amdhsa_exception_fp_ieee_invalid_op 0
		.amdhsa_exception_fp_denorm_src 0
		.amdhsa_exception_fp_ieee_div_zero 0
		.amdhsa_exception_fp_ieee_overflow 0
		.amdhsa_exception_fp_ieee_underflow 0
		.amdhsa_exception_fp_ieee_inexact 0
		.amdhsa_exception_int_div_zero 0
	.end_amdhsa_kernel
	.section	.text._ZN7rocprim17ROCPRIM_400000_NS6detail30init_device_scan_by_key_kernelINS1_19lookback_scan_stateINS0_5tupleIJibEEELb0ELb1EEEPKijNS1_16block_id_wrapperIjLb0EEEEEvT_jjPNSB_10value_typeET0_PNSt15iterator_traitsISE_E10value_typeEmT1_T2_,"axG",@progbits,_ZN7rocprim17ROCPRIM_400000_NS6detail30init_device_scan_by_key_kernelINS1_19lookback_scan_stateINS0_5tupleIJibEEELb0ELb1EEEPKijNS1_16block_id_wrapperIjLb0EEEEEvT_jjPNSB_10value_typeET0_PNSt15iterator_traitsISE_E10value_typeEmT1_T2_,comdat
.Lfunc_end8:
	.size	_ZN7rocprim17ROCPRIM_400000_NS6detail30init_device_scan_by_key_kernelINS1_19lookback_scan_stateINS0_5tupleIJibEEELb0ELb1EEEPKijNS1_16block_id_wrapperIjLb0EEEEEvT_jjPNSB_10value_typeET0_PNSt15iterator_traitsISE_E10value_typeEmT1_T2_, .Lfunc_end8-_ZN7rocprim17ROCPRIM_400000_NS6detail30init_device_scan_by_key_kernelINS1_19lookback_scan_stateINS0_5tupleIJibEEELb0ELb1EEEPKijNS1_16block_id_wrapperIjLb0EEEEEvT_jjPNSB_10value_typeET0_PNSt15iterator_traitsISE_E10value_typeEmT1_T2_
                                        ; -- End function
	.set _ZN7rocprim17ROCPRIM_400000_NS6detail30init_device_scan_by_key_kernelINS1_19lookback_scan_stateINS0_5tupleIJibEEELb0ELb1EEEPKijNS1_16block_id_wrapperIjLb0EEEEEvT_jjPNSB_10value_typeET0_PNSt15iterator_traitsISE_E10value_typeEmT1_T2_.num_vgpr, 10
	.set _ZN7rocprim17ROCPRIM_400000_NS6detail30init_device_scan_by_key_kernelINS1_19lookback_scan_stateINS0_5tupleIJibEEELb0ELb1EEEPKijNS1_16block_id_wrapperIjLb0EEEEEvT_jjPNSB_10value_typeET0_PNSt15iterator_traitsISE_E10value_typeEmT1_T2_.num_agpr, 0
	.set _ZN7rocprim17ROCPRIM_400000_NS6detail30init_device_scan_by_key_kernelINS1_19lookback_scan_stateINS0_5tupleIJibEEELb0ELb1EEEPKijNS1_16block_id_wrapperIjLb0EEEEEvT_jjPNSB_10value_typeET0_PNSt15iterator_traitsISE_E10value_typeEmT1_T2_.numbered_sgpr, 20
	.set _ZN7rocprim17ROCPRIM_400000_NS6detail30init_device_scan_by_key_kernelINS1_19lookback_scan_stateINS0_5tupleIJibEEELb0ELb1EEEPKijNS1_16block_id_wrapperIjLb0EEEEEvT_jjPNSB_10value_typeET0_PNSt15iterator_traitsISE_E10value_typeEmT1_T2_.num_named_barrier, 0
	.set _ZN7rocprim17ROCPRIM_400000_NS6detail30init_device_scan_by_key_kernelINS1_19lookback_scan_stateINS0_5tupleIJibEEELb0ELb1EEEPKijNS1_16block_id_wrapperIjLb0EEEEEvT_jjPNSB_10value_typeET0_PNSt15iterator_traitsISE_E10value_typeEmT1_T2_.private_seg_size, 0
	.set _ZN7rocprim17ROCPRIM_400000_NS6detail30init_device_scan_by_key_kernelINS1_19lookback_scan_stateINS0_5tupleIJibEEELb0ELb1EEEPKijNS1_16block_id_wrapperIjLb0EEEEEvT_jjPNSB_10value_typeET0_PNSt15iterator_traitsISE_E10value_typeEmT1_T2_.uses_vcc, 1
	.set _ZN7rocprim17ROCPRIM_400000_NS6detail30init_device_scan_by_key_kernelINS1_19lookback_scan_stateINS0_5tupleIJibEEELb0ELb1EEEPKijNS1_16block_id_wrapperIjLb0EEEEEvT_jjPNSB_10value_typeET0_PNSt15iterator_traitsISE_E10value_typeEmT1_T2_.uses_flat_scratch, 0
	.set _ZN7rocprim17ROCPRIM_400000_NS6detail30init_device_scan_by_key_kernelINS1_19lookback_scan_stateINS0_5tupleIJibEEELb0ELb1EEEPKijNS1_16block_id_wrapperIjLb0EEEEEvT_jjPNSB_10value_typeET0_PNSt15iterator_traitsISE_E10value_typeEmT1_T2_.has_dyn_sized_stack, 0
	.set _ZN7rocprim17ROCPRIM_400000_NS6detail30init_device_scan_by_key_kernelINS1_19lookback_scan_stateINS0_5tupleIJibEEELb0ELb1EEEPKijNS1_16block_id_wrapperIjLb0EEEEEvT_jjPNSB_10value_typeET0_PNSt15iterator_traitsISE_E10value_typeEmT1_T2_.has_recursion, 0
	.set _ZN7rocprim17ROCPRIM_400000_NS6detail30init_device_scan_by_key_kernelINS1_19lookback_scan_stateINS0_5tupleIJibEEELb0ELb1EEEPKijNS1_16block_id_wrapperIjLb0EEEEEvT_jjPNSB_10value_typeET0_PNSt15iterator_traitsISE_E10value_typeEmT1_T2_.has_indirect_call, 0
	.section	.AMDGPU.csdata,"",@progbits
; Kernel info:
; codeLenInByte = 540
; TotalNumSgprs: 26
; NumVgprs: 10
; NumAgprs: 0
; TotalNumVgprs: 10
; ScratchSize: 0
; MemoryBound: 0
; FloatMode: 240
; IeeeMode: 1
; LDSByteSize: 0 bytes/workgroup (compile time only)
; SGPRBlocks: 3
; VGPRBlocks: 1
; NumSGPRsForWavesPerEU: 26
; NumVGPRsForWavesPerEU: 10
; AccumOffset: 12
; Occupancy: 8
; WaveLimiterHint : 0
; COMPUTE_PGM_RSRC2:SCRATCH_EN: 0
; COMPUTE_PGM_RSRC2:USER_SGPR: 2
; COMPUTE_PGM_RSRC2:TRAP_HANDLER: 0
; COMPUTE_PGM_RSRC2:TGID_X_EN: 1
; COMPUTE_PGM_RSRC2:TGID_Y_EN: 0
; COMPUTE_PGM_RSRC2:TGID_Z_EN: 0
; COMPUTE_PGM_RSRC2:TIDIG_COMP_CNT: 0
; COMPUTE_PGM_RSRC3_GFX90A:ACCUM_OFFSET: 2
; COMPUTE_PGM_RSRC3_GFX90A:TG_SPLIT: 0
	.section	.text._ZN7rocprim17ROCPRIM_400000_NS6detail30init_device_scan_by_key_kernelINS1_19lookback_scan_stateINS0_5tupleIJibEEELb0ELb1EEENS1_16block_id_wrapperIjLb0EEEEEvT_jjPNS9_10value_typeET0_,"axG",@progbits,_ZN7rocprim17ROCPRIM_400000_NS6detail30init_device_scan_by_key_kernelINS1_19lookback_scan_stateINS0_5tupleIJibEEELb0ELb1EEENS1_16block_id_wrapperIjLb0EEEEEvT_jjPNS9_10value_typeET0_,comdat
	.protected	_ZN7rocprim17ROCPRIM_400000_NS6detail30init_device_scan_by_key_kernelINS1_19lookback_scan_stateINS0_5tupleIJibEEELb0ELb1EEENS1_16block_id_wrapperIjLb0EEEEEvT_jjPNS9_10value_typeET0_ ; -- Begin function _ZN7rocprim17ROCPRIM_400000_NS6detail30init_device_scan_by_key_kernelINS1_19lookback_scan_stateINS0_5tupleIJibEEELb0ELb1EEENS1_16block_id_wrapperIjLb0EEEEEvT_jjPNS9_10value_typeET0_
	.globl	_ZN7rocprim17ROCPRIM_400000_NS6detail30init_device_scan_by_key_kernelINS1_19lookback_scan_stateINS0_5tupleIJibEEELb0ELb1EEENS1_16block_id_wrapperIjLb0EEEEEvT_jjPNS9_10value_typeET0_
	.p2align	8
	.type	_ZN7rocprim17ROCPRIM_400000_NS6detail30init_device_scan_by_key_kernelINS1_19lookback_scan_stateINS0_5tupleIJibEEELb0ELb1EEENS1_16block_id_wrapperIjLb0EEEEEvT_jjPNS9_10value_typeET0_,@function
_ZN7rocprim17ROCPRIM_400000_NS6detail30init_device_scan_by_key_kernelINS1_19lookback_scan_stateINS0_5tupleIJibEEELb0ELb1EEENS1_16block_id_wrapperIjLb0EEEEEvT_jjPNS9_10value_typeET0_: ; @_ZN7rocprim17ROCPRIM_400000_NS6detail30init_device_scan_by_key_kernelINS1_19lookback_scan_stateINS0_5tupleIJibEEELb0ELb1EEENS1_16block_id_wrapperIjLb0EEEEEvT_jjPNS9_10value_typeET0_
; %bb.0:
	s_load_dword s3, s[0:1], 0x2c
	s_load_dwordx2 s[8:9], s[0:1], 0x10
	s_load_dwordx4 s[4:7], s[0:1], 0x0
	s_waitcnt lgkmcnt(0)
	s_and_b32 s0, s3, 0xffff
	s_mul_i32 s2, s2, s0
	s_cmp_eq_u64 s[8:9], 0
	v_add_u32_e32 v0, s2, v0
	s_cbranch_scc1 .LBB9_8
; %bb.1:
	s_cmp_lt_u32 s7, s6
	s_cselect_b32 s0, s7, 0
	s_mov_b32 s3, 0
	v_cmp_eq_u32_e32 vcc, s0, v0
	s_and_saveexec_b64 s[0:1], vcc
	s_cbranch_execz .LBB9_7
; %bb.2:
	s_add_i32 s2, s7, 64
	s_lshl_b64 s[2:3], s[2:3], 4
	s_add_u32 s12, s4, s2
	s_addc_u32 s13, s5, s3
	v_mov_b64_e32 v[2:3], s[12:13]
	;;#ASMSTART
	global_load_dwordx4 v[2:5], v[2:3] off sc1	
s_waitcnt vmcnt(0)
	;;#ASMEND
	v_mov_b32_e32 v7, 0
	v_and_b32_e32 v6, 0xff, v4
	s_mov_b64 s[10:11], 0
	v_cmp_eq_u64_e32 vcc, 0, v[6:7]
	s_and_saveexec_b64 s[2:3], vcc
	s_cbranch_execz .LBB9_6
; %bb.3:
	v_mov_b64_e32 v[8:9], s[12:13]
.LBB9_4:                                ; =>This Inner Loop Header: Depth=1
	;;#ASMSTART
	global_load_dwordx4 v[2:5], v[8:9] off sc1	
s_waitcnt vmcnt(0)
	;;#ASMEND
	s_nop 0
	v_and_b32_e32 v6, 0xff, v4
	v_cmp_ne_u64_e32 vcc, 0, v[6:7]
	s_or_b64 s[10:11], vcc, s[10:11]
	s_andn2_b64 exec, exec, s[10:11]
	s_cbranch_execnz .LBB9_4
; %bb.5:
	s_or_b64 exec, exec, s[10:11]
.LBB9_6:
	s_or_b64 exec, exec, s[2:3]
	v_mov_b32_e32 v1, 0
	global_store_dword v1, v2, s[8:9]
	global_store_byte v1, v3, s[8:9] offset:4
.LBB9_7:
	s_or_b64 exec, exec, s[0:1]
.LBB9_8:
	v_cmp_gt_u32_e32 vcc, s6, v0
	s_and_saveexec_b64 s[0:1], vcc
	s_cbranch_execnz .LBB9_11
; %bb.9:
	s_or_b64 exec, exec, s[0:1]
	v_cmp_gt_u32_e32 vcc, 64, v0
	s_and_saveexec_b64 s[0:1], vcc
	s_cbranch_execnz .LBB9_12
.LBB9_10:
	s_endpgm
.LBB9_11:
	v_add_u32_e32 v2, 64, v0
	v_mov_b32_e32 v3, 0
	v_lshl_add_u64 v[6:7], v[2:3], 4, s[4:5]
	v_mov_b32_e32 v2, v3
	v_mov_b32_e32 v4, v3
	;; [unrolled: 1-line block ×3, first 2 shown]
	global_store_dwordx4 v[6:7], v[2:5], off
	s_or_b64 exec, exec, s[0:1]
	v_cmp_gt_u32_e32 vcc, 64, v0
	s_and_saveexec_b64 s[0:1], vcc
	s_cbranch_execz .LBB9_10
.LBB9_12:
	v_mov_b32_e32 v1, 0
	v_lshl_add_u64 v[4:5], v[0:1], 4, s[4:5]
	v_mov_b32_e32 v2, 0xff
	v_mov_b32_e32 v0, v1
	;; [unrolled: 1-line block ×3, first 2 shown]
	global_store_dwordx4 v[4:5], v[0:3], off
	s_endpgm
	.section	.rodata,"a",@progbits
	.p2align	6, 0x0
	.amdhsa_kernel _ZN7rocprim17ROCPRIM_400000_NS6detail30init_device_scan_by_key_kernelINS1_19lookback_scan_stateINS0_5tupleIJibEEELb0ELb1EEENS1_16block_id_wrapperIjLb0EEEEEvT_jjPNS9_10value_typeET0_
		.amdhsa_group_segment_fixed_size 0
		.amdhsa_private_segment_fixed_size 0
		.amdhsa_kernarg_size 288
		.amdhsa_user_sgpr_count 2
		.amdhsa_user_sgpr_dispatch_ptr 0
		.amdhsa_user_sgpr_queue_ptr 0
		.amdhsa_user_sgpr_kernarg_segment_ptr 1
		.amdhsa_user_sgpr_dispatch_id 0
		.amdhsa_user_sgpr_kernarg_preload_length 0
		.amdhsa_user_sgpr_kernarg_preload_offset 0
		.amdhsa_user_sgpr_private_segment_size 0
		.amdhsa_uses_dynamic_stack 0
		.amdhsa_enable_private_segment 0
		.amdhsa_system_sgpr_workgroup_id_x 1
		.amdhsa_system_sgpr_workgroup_id_y 0
		.amdhsa_system_sgpr_workgroup_id_z 0
		.amdhsa_system_sgpr_workgroup_info 0
		.amdhsa_system_vgpr_workitem_id 0
		.amdhsa_next_free_vgpr 10
		.amdhsa_next_free_sgpr 14
		.amdhsa_accum_offset 12
		.amdhsa_reserve_vcc 1
		.amdhsa_float_round_mode_32 0
		.amdhsa_float_round_mode_16_64 0
		.amdhsa_float_denorm_mode_32 3
		.amdhsa_float_denorm_mode_16_64 3
		.amdhsa_dx10_clamp 1
		.amdhsa_ieee_mode 1
		.amdhsa_fp16_overflow 0
		.amdhsa_tg_split 0
		.amdhsa_exception_fp_ieee_invalid_op 0
		.amdhsa_exception_fp_denorm_src 0
		.amdhsa_exception_fp_ieee_div_zero 0
		.amdhsa_exception_fp_ieee_overflow 0
		.amdhsa_exception_fp_ieee_underflow 0
		.amdhsa_exception_fp_ieee_inexact 0
		.amdhsa_exception_int_div_zero 0
	.end_amdhsa_kernel
	.section	.text._ZN7rocprim17ROCPRIM_400000_NS6detail30init_device_scan_by_key_kernelINS1_19lookback_scan_stateINS0_5tupleIJibEEELb0ELb1EEENS1_16block_id_wrapperIjLb0EEEEEvT_jjPNS9_10value_typeET0_,"axG",@progbits,_ZN7rocprim17ROCPRIM_400000_NS6detail30init_device_scan_by_key_kernelINS1_19lookback_scan_stateINS0_5tupleIJibEEELb0ELb1EEENS1_16block_id_wrapperIjLb0EEEEEvT_jjPNS9_10value_typeET0_,comdat
.Lfunc_end9:
	.size	_ZN7rocprim17ROCPRIM_400000_NS6detail30init_device_scan_by_key_kernelINS1_19lookback_scan_stateINS0_5tupleIJibEEELb0ELb1EEENS1_16block_id_wrapperIjLb0EEEEEvT_jjPNS9_10value_typeET0_, .Lfunc_end9-_ZN7rocprim17ROCPRIM_400000_NS6detail30init_device_scan_by_key_kernelINS1_19lookback_scan_stateINS0_5tupleIJibEEELb0ELb1EEENS1_16block_id_wrapperIjLb0EEEEEvT_jjPNS9_10value_typeET0_
                                        ; -- End function
	.set _ZN7rocprim17ROCPRIM_400000_NS6detail30init_device_scan_by_key_kernelINS1_19lookback_scan_stateINS0_5tupleIJibEEELb0ELb1EEENS1_16block_id_wrapperIjLb0EEEEEvT_jjPNS9_10value_typeET0_.num_vgpr, 10
	.set _ZN7rocprim17ROCPRIM_400000_NS6detail30init_device_scan_by_key_kernelINS1_19lookback_scan_stateINS0_5tupleIJibEEELb0ELb1EEENS1_16block_id_wrapperIjLb0EEEEEvT_jjPNS9_10value_typeET0_.num_agpr, 0
	.set _ZN7rocprim17ROCPRIM_400000_NS6detail30init_device_scan_by_key_kernelINS1_19lookback_scan_stateINS0_5tupleIJibEEELb0ELb1EEENS1_16block_id_wrapperIjLb0EEEEEvT_jjPNS9_10value_typeET0_.numbered_sgpr, 14
	.set _ZN7rocprim17ROCPRIM_400000_NS6detail30init_device_scan_by_key_kernelINS1_19lookback_scan_stateINS0_5tupleIJibEEELb0ELb1EEENS1_16block_id_wrapperIjLb0EEEEEvT_jjPNS9_10value_typeET0_.num_named_barrier, 0
	.set _ZN7rocprim17ROCPRIM_400000_NS6detail30init_device_scan_by_key_kernelINS1_19lookback_scan_stateINS0_5tupleIJibEEELb0ELb1EEENS1_16block_id_wrapperIjLb0EEEEEvT_jjPNS9_10value_typeET0_.private_seg_size, 0
	.set _ZN7rocprim17ROCPRIM_400000_NS6detail30init_device_scan_by_key_kernelINS1_19lookback_scan_stateINS0_5tupleIJibEEELb0ELb1EEENS1_16block_id_wrapperIjLb0EEEEEvT_jjPNS9_10value_typeET0_.uses_vcc, 1
	.set _ZN7rocprim17ROCPRIM_400000_NS6detail30init_device_scan_by_key_kernelINS1_19lookback_scan_stateINS0_5tupleIJibEEELb0ELb1EEENS1_16block_id_wrapperIjLb0EEEEEvT_jjPNS9_10value_typeET0_.uses_flat_scratch, 0
	.set _ZN7rocprim17ROCPRIM_400000_NS6detail30init_device_scan_by_key_kernelINS1_19lookback_scan_stateINS0_5tupleIJibEEELb0ELb1EEENS1_16block_id_wrapperIjLb0EEEEEvT_jjPNS9_10value_typeET0_.has_dyn_sized_stack, 0
	.set _ZN7rocprim17ROCPRIM_400000_NS6detail30init_device_scan_by_key_kernelINS1_19lookback_scan_stateINS0_5tupleIJibEEELb0ELb1EEENS1_16block_id_wrapperIjLb0EEEEEvT_jjPNS9_10value_typeET0_.has_recursion, 0
	.set _ZN7rocprim17ROCPRIM_400000_NS6detail30init_device_scan_by_key_kernelINS1_19lookback_scan_stateINS0_5tupleIJibEEELb0ELb1EEENS1_16block_id_wrapperIjLb0EEEEEvT_jjPNS9_10value_typeET0_.has_indirect_call, 0
	.section	.AMDGPU.csdata,"",@progbits
; Kernel info:
; codeLenInByte = 376
; TotalNumSgprs: 20
; NumVgprs: 10
; NumAgprs: 0
; TotalNumVgprs: 10
; ScratchSize: 0
; MemoryBound: 0
; FloatMode: 240
; IeeeMode: 1
; LDSByteSize: 0 bytes/workgroup (compile time only)
; SGPRBlocks: 2
; VGPRBlocks: 1
; NumSGPRsForWavesPerEU: 20
; NumVGPRsForWavesPerEU: 10
; AccumOffset: 12
; Occupancy: 8
; WaveLimiterHint : 0
; COMPUTE_PGM_RSRC2:SCRATCH_EN: 0
; COMPUTE_PGM_RSRC2:USER_SGPR: 2
; COMPUTE_PGM_RSRC2:TRAP_HANDLER: 0
; COMPUTE_PGM_RSRC2:TGID_X_EN: 1
; COMPUTE_PGM_RSRC2:TGID_Y_EN: 0
; COMPUTE_PGM_RSRC2:TGID_Z_EN: 0
; COMPUTE_PGM_RSRC2:TIDIG_COMP_CNT: 0
; COMPUTE_PGM_RSRC3_GFX90A:ACCUM_OFFSET: 2
; COMPUTE_PGM_RSRC3_GFX90A:TG_SPLIT: 0
	.section	.text._ZN7rocprim17ROCPRIM_400000_NS6detail17trampoline_kernelINS0_14default_configENS1_27scan_by_key_config_selectorIiiEEZZNS1_16scan_by_key_implILNS1_25lookback_scan_determinismE0ELb0ES3_PKiN6hipcub16HIPCUB_304000_NS21ConstantInputIteratorIilEEPiiNSB_3SumENSB_8EqualityEiEE10hipError_tPvRmT2_T3_T4_T5_mT6_T7_P12ihipStream_tbENKUlT_T0_E_clISt17integral_constantIbLb0EESX_EEDaSS_ST_EUlSS_E_NS1_11comp_targetILNS1_3genE0ELNS1_11target_archE4294967295ELNS1_3gpuE0ELNS1_3repE0EEENS1_30default_config_static_selectorELNS0_4arch9wavefront6targetE1EEEvT1_,"axG",@progbits,_ZN7rocprim17ROCPRIM_400000_NS6detail17trampoline_kernelINS0_14default_configENS1_27scan_by_key_config_selectorIiiEEZZNS1_16scan_by_key_implILNS1_25lookback_scan_determinismE0ELb0ES3_PKiN6hipcub16HIPCUB_304000_NS21ConstantInputIteratorIilEEPiiNSB_3SumENSB_8EqualityEiEE10hipError_tPvRmT2_T3_T4_T5_mT6_T7_P12ihipStream_tbENKUlT_T0_E_clISt17integral_constantIbLb0EESX_EEDaSS_ST_EUlSS_E_NS1_11comp_targetILNS1_3genE0ELNS1_11target_archE4294967295ELNS1_3gpuE0ELNS1_3repE0EEENS1_30default_config_static_selectorELNS0_4arch9wavefront6targetE1EEEvT1_,comdat
	.protected	_ZN7rocprim17ROCPRIM_400000_NS6detail17trampoline_kernelINS0_14default_configENS1_27scan_by_key_config_selectorIiiEEZZNS1_16scan_by_key_implILNS1_25lookback_scan_determinismE0ELb0ES3_PKiN6hipcub16HIPCUB_304000_NS21ConstantInputIteratorIilEEPiiNSB_3SumENSB_8EqualityEiEE10hipError_tPvRmT2_T3_T4_T5_mT6_T7_P12ihipStream_tbENKUlT_T0_E_clISt17integral_constantIbLb0EESX_EEDaSS_ST_EUlSS_E_NS1_11comp_targetILNS1_3genE0ELNS1_11target_archE4294967295ELNS1_3gpuE0ELNS1_3repE0EEENS1_30default_config_static_selectorELNS0_4arch9wavefront6targetE1EEEvT1_ ; -- Begin function _ZN7rocprim17ROCPRIM_400000_NS6detail17trampoline_kernelINS0_14default_configENS1_27scan_by_key_config_selectorIiiEEZZNS1_16scan_by_key_implILNS1_25lookback_scan_determinismE0ELb0ES3_PKiN6hipcub16HIPCUB_304000_NS21ConstantInputIteratorIilEEPiiNSB_3SumENSB_8EqualityEiEE10hipError_tPvRmT2_T3_T4_T5_mT6_T7_P12ihipStream_tbENKUlT_T0_E_clISt17integral_constantIbLb0EESX_EEDaSS_ST_EUlSS_E_NS1_11comp_targetILNS1_3genE0ELNS1_11target_archE4294967295ELNS1_3gpuE0ELNS1_3repE0EEENS1_30default_config_static_selectorELNS0_4arch9wavefront6targetE1EEEvT1_
	.globl	_ZN7rocprim17ROCPRIM_400000_NS6detail17trampoline_kernelINS0_14default_configENS1_27scan_by_key_config_selectorIiiEEZZNS1_16scan_by_key_implILNS1_25lookback_scan_determinismE0ELb0ES3_PKiN6hipcub16HIPCUB_304000_NS21ConstantInputIteratorIilEEPiiNSB_3SumENSB_8EqualityEiEE10hipError_tPvRmT2_T3_T4_T5_mT6_T7_P12ihipStream_tbENKUlT_T0_E_clISt17integral_constantIbLb0EESX_EEDaSS_ST_EUlSS_E_NS1_11comp_targetILNS1_3genE0ELNS1_11target_archE4294967295ELNS1_3gpuE0ELNS1_3repE0EEENS1_30default_config_static_selectorELNS0_4arch9wavefront6targetE1EEEvT1_
	.p2align	8
	.type	_ZN7rocprim17ROCPRIM_400000_NS6detail17trampoline_kernelINS0_14default_configENS1_27scan_by_key_config_selectorIiiEEZZNS1_16scan_by_key_implILNS1_25lookback_scan_determinismE0ELb0ES3_PKiN6hipcub16HIPCUB_304000_NS21ConstantInputIteratorIilEEPiiNSB_3SumENSB_8EqualityEiEE10hipError_tPvRmT2_T3_T4_T5_mT6_T7_P12ihipStream_tbENKUlT_T0_E_clISt17integral_constantIbLb0EESX_EEDaSS_ST_EUlSS_E_NS1_11comp_targetILNS1_3genE0ELNS1_11target_archE4294967295ELNS1_3gpuE0ELNS1_3repE0EEENS1_30default_config_static_selectorELNS0_4arch9wavefront6targetE1EEEvT1_,@function
_ZN7rocprim17ROCPRIM_400000_NS6detail17trampoline_kernelINS0_14default_configENS1_27scan_by_key_config_selectorIiiEEZZNS1_16scan_by_key_implILNS1_25lookback_scan_determinismE0ELb0ES3_PKiN6hipcub16HIPCUB_304000_NS21ConstantInputIteratorIilEEPiiNSB_3SumENSB_8EqualityEiEE10hipError_tPvRmT2_T3_T4_T5_mT6_T7_P12ihipStream_tbENKUlT_T0_E_clISt17integral_constantIbLb0EESX_EEDaSS_ST_EUlSS_E_NS1_11comp_targetILNS1_3genE0ELNS1_11target_archE4294967295ELNS1_3gpuE0ELNS1_3repE0EEENS1_30default_config_static_selectorELNS0_4arch9wavefront6targetE1EEEvT1_: ; @_ZN7rocprim17ROCPRIM_400000_NS6detail17trampoline_kernelINS0_14default_configENS1_27scan_by_key_config_selectorIiiEEZZNS1_16scan_by_key_implILNS1_25lookback_scan_determinismE0ELb0ES3_PKiN6hipcub16HIPCUB_304000_NS21ConstantInputIteratorIilEEPiiNSB_3SumENSB_8EqualityEiEE10hipError_tPvRmT2_T3_T4_T5_mT6_T7_P12ihipStream_tbENKUlT_T0_E_clISt17integral_constantIbLb0EESX_EEDaSS_ST_EUlSS_E_NS1_11comp_targetILNS1_3genE0ELNS1_11target_archE4294967295ELNS1_3gpuE0ELNS1_3repE0EEENS1_30default_config_static_selectorELNS0_4arch9wavefront6targetE1EEEvT1_
; %bb.0:
	s_load_dword s8, s[0:1], 0x48
	s_load_dwordx2 s[50:51], s[0:1], 0x40
	s_load_dwordx4 s[44:47], s[0:1], 0x30
	s_load_dwordx4 s[4:7], s[0:1], 0x0
	s_load_dword s3, s[0:1], 0x10
	s_load_dwordx8 s[36:43], s[0:1], 0x50
	s_waitcnt lgkmcnt(0)
	s_mul_i32 s9, s51, s8
	s_mul_hi_u32 s10, s50, s8
	s_add_i32 s10, s10, s9
	s_lshl_b64 s[48:49], s[6:7], 2
	s_add_u32 s9, s4, s48
	s_addc_u32 s11, s5, s49
	s_cmp_lg_u64 s[40:41], 0
	s_mul_i32 s4, s2, 0xc00
	s_mov_b32 s5, 0
	s_cselect_b64 s[6:7], -1, 0
	s_lshl_b64 s[40:41], s[4:5], 2
	s_add_u32 s4, s9, s40
	s_mul_i32 s8, s50, s8
	s_addc_u32 s5, s11, s41
	s_add_u32 s8, s8, s2
	s_addc_u32 s9, s10, 0
	s_add_u32 s10, s36, -1
	s_addc_u32 s11, s37, -1
	v_mov_b64_e32 v[2:3], s[10:11]
	v_cmp_ge_u64_e64 s[30:31], s[8:9], v[2:3]
	s_mov_b64 s[16:17], 0
	s_mov_b64 s[12:13], -1
	s_and_b64 vcc, exec, s[30:31]
	s_mul_i32 s33, s10, 0xfffff400
	s_barrier
	s_cbranch_vccz .LBB10_28
; %bb.1:
	s_load_dword s12, s[4:5], 0x0
	s_add_i32 s47, s33, s46
	v_cmp_gt_u32_e32 vcc, s47, v0
	s_waitcnt lgkmcnt(0)
	v_mov_b32_e32 v1, s12
	s_and_saveexec_b64 s[10:11], vcc
	s_cbranch_execz .LBB10_3
; %bb.2:
	v_lshlrev_b32_e32 v1, 2, v0
	global_load_dword v1, v1, s[4:5]
.LBB10_3:
	s_or_b64 exec, exec, s[10:11]
	v_or_b32_e32 v2, 0x100, v0
	v_cmp_gt_u32_e32 vcc, s47, v2
	v_mov_b32_e32 v2, s12
	s_and_saveexec_b64 s[10:11], vcc
	s_cbranch_execz .LBB10_5
; %bb.4:
	v_lshlrev_b32_e32 v2, 2, v0
	global_load_dword v2, v2, s[4:5] offset:1024
.LBB10_5:
	s_or_b64 exec, exec, s[10:11]
	v_or_b32_e32 v3, 0x200, v0
	v_cmp_gt_u32_e32 vcc, s47, v3
	v_mov_b32_e32 v3, s12
	s_and_saveexec_b64 s[10:11], vcc
	s_cbranch_execz .LBB10_7
; %bb.6:
	v_lshlrev_b32_e32 v3, 2, v0
	global_load_dword v3, v3, s[4:5] offset:2048
.LBB10_7:
	;; [unrolled: 10-line block ×3, first 2 shown]
	s_or_b64 exec, exec, s[10:11]
	v_or_b32_e32 v6, 0x400, v0
	v_cmp_gt_u32_e32 vcc, s47, v6
	v_mov_b32_e32 v5, s12
	s_and_saveexec_b64 s[10:11], vcc
	s_cbranch_execz .LBB10_11
; %bb.10:
	v_lshlrev_b32_e32 v5, 2, v6
	global_load_dword v5, v5, s[4:5]
.LBB10_11:
	s_or_b64 exec, exec, s[10:11]
	v_or_b32_e32 v7, 0x500, v0
	v_cmp_gt_u32_e32 vcc, s47, v7
	v_mov_b32_e32 v6, s12
	s_and_saveexec_b64 s[10:11], vcc
	s_cbranch_execz .LBB10_13
; %bb.12:
	v_lshlrev_b32_e32 v6, 2, v7
	global_load_dword v6, v6, s[4:5]
.LBB10_13:
	;; [unrolled: 10-line block ×8, first 2 shown]
	s_or_b64 exec, exec, s[10:11]
	v_lshlrev_b32_e32 v14, 2, v0
	v_mad_u32_u24 v18, v0, 44, v14
	s_waitcnt vmcnt(0)
	ds_write2st64_b32 v14, v1, v2 offset1:4
	ds_write2st64_b32 v14, v3, v4 offset0:8 offset1:12
	ds_write2st64_b32 v14, v5, v6 offset0:16 offset1:20
	;; [unrolled: 1-line block ×5, first 2 shown]
	s_waitcnt lgkmcnt(0)
	s_barrier
	ds_read_b128 v[10:13], v18
	ds_read_b128 v[6:9], v18 offset:16
	ds_read_b128 v[2:5], v18 offset:32
	s_cmp_eq_u64 s[8:9], 0
	s_mov_b64 s[10:11], s[4:5]
	s_cbranch_scc1 .LBB10_31
; %bb.26:
	s_add_u32 s10, s4, -4
	s_addc_u32 s11, s5, -1
	s_andn2_b64 vcc, exec, s[6:7]
	s_cbranch_vccnz .LBB10_29
; %bb.27:
	s_lshl_b64 s[10:11], s[8:9], 2
	s_add_u32 s10, s42, s10
	s_addc_u32 s11, s43, s11
	s_add_u32 s10, s10, -4
	s_addc_u32 s11, s11, -1
	s_mov_b64 s[12:13], 0
	s_branch .LBB10_30
.LBB10_28:
                                        ; implicit-def: $sgpr10_sgpr11
                                        ; implicit-def: $vgpr61
                                        ; implicit-def: $vgpr16_vgpr17
                                        ; implicit-def: $vgpr14_vgpr15
                                        ; implicit-def: $vgpr42_vgpr43
                                        ; implicit-def: $vgpr44_vgpr45
                                        ; implicit-def: $vgpr46_vgpr47
                                        ; implicit-def: $vgpr48_vgpr49
                                        ; implicit-def: $vgpr50_vgpr51
                                        ; implicit-def: $vgpr52_vgpr53
                                        ; implicit-def: $vgpr54_vgpr55
                                        ; implicit-def: $vgpr56_vgpr57
                                        ; implicit-def: $vgpr38_vgpr39
                                        ; implicit-def: $vgpr36_vgpr37
                                        ; implicit-def: $vgpr34_vgpr35
                                        ; implicit-def: $vgpr32_vgpr33
                                        ; implicit-def: $vgpr30_vgpr31
                                        ; implicit-def: $vgpr28_vgpr29
                                        ; implicit-def: $vgpr26_vgpr27
                                        ; implicit-def: $vgpr24_vgpr25
                                        ; implicit-def: $vgpr22_vgpr23
                                        ; implicit-def: $vgpr20_vgpr21
	s_and_b64 vcc, exec, s[12:13]
	v_lshlrev_b32_e32 v18, 2, v0
	s_cbranch_vccnz .LBB10_56
	s_branch .LBB10_64
.LBB10_29:
	s_mov_b64 s[12:13], -1
.LBB10_30:
	s_andn2_b64 vcc, exec, s[12:13]
.LBB10_31:
	s_load_dword s10, s[10:11], 0x0
	s_movk_i32 s11, 0xffd4
	v_mad_i32_i24 v1, v0, s11, v18
	s_waitcnt lgkmcnt(0)
	ds_write_b32 v1, v5 offset:12288
	v_cmp_ne_u32_e32 vcc, 0, v0
	v_mov_b32_e32 v1, s10
	s_waitcnt lgkmcnt(0)
	s_barrier
	s_and_saveexec_b64 s[10:11], vcc
; %bb.32:
	v_mul_i32_i24_e32 v1, 0xffffffd4, v0
	v_add_u32_e32 v1, v18, v1
	ds_read_b32 v1, v1 offset:12284
; %bb.33:
	s_or_b64 exec, exec, s[10:11]
	v_mul_u32_u24_e32 v19, 12, v0
	v_mov_b32_e32 v15, s3
	s_waitcnt lgkmcnt(0)
	s_barrier
	ds_write2st64_b32 v14, v15, v15 offset1:4
	ds_write2st64_b32 v14, v15, v15 offset0:8 offset1:12
	ds_write2st64_b32 v14, v15, v15 offset0:16 offset1:20
	;; [unrolled: 1-line block ×5, first 2 shown]
	v_cmp_gt_u32_e32 vcc, s47, v19
	s_mov_b64 s[12:13], 0
	v_mov_b64_e32 v[16:17], 0
	v_mov_b64_e32 v[14:15], 0
	;; [unrolled: 1-line block ×20, first 2 shown]
	s_waitcnt lgkmcnt(0)
	s_barrier
                                        ; implicit-def: $sgpr10_sgpr11
                                        ; implicit-def: $vgpr61
	s_and_saveexec_b64 s[14:15], vcc
	s_cbranch_execz .LBB10_55
; %bb.34:
	ds_read_b32 v16, v18
	v_cmp_ne_u32_e32 vcc, v1, v10
	v_or_b32_e32 v1, 1, v19
	s_mov_b64 s[18:19], 0
	v_cndmask_b32_e64 v17, 0, 1, vcc
	v_cmp_gt_u32_e32 vcc, s47, v1
	v_mov_b64_e32 v[14:15], 0
	v_mov_b64_e32 v[42:43], 0
	;; [unrolled: 1-line block ×18, first 2 shown]
                                        ; implicit-def: $sgpr10_sgpr11
                                        ; implicit-def: $vgpr61
	s_and_saveexec_b64 s[16:17], vcc
	s_cbranch_execz .LBB10_54
; %bb.35:
	ds_read2_b32 v[14:15], v18 offset0:1 offset1:2
	v_cmp_ne_u32_e32 vcc, v10, v11
	v_or_b32_e32 v10, 2, v19
	s_mov_b64 s[20:21], 0
	v_cndmask_b32_e64 v1, 0, 1, vcc
	v_cmp_gt_u32_e32 vcc, s47, v10
	v_mov_b64_e32 v[42:43], 0
	v_mov_b64_e32 v[44:45], 0
	;; [unrolled: 1-line block ×16, first 2 shown]
                                        ; implicit-def: $sgpr10_sgpr11
                                        ; implicit-def: $vgpr61
	s_and_saveexec_b64 s[18:19], vcc
	s_cbranch_execz .LBB10_53
; %bb.36:
	v_cmp_ne_u32_e32 vcc, v11, v12
	v_or_b32_e32 v10, 3, v19
	s_mov_b64 s[22:23], 0
	v_cndmask_b32_e64 v43, 0, 1, vcc
	v_cmp_gt_u32_e32 vcc, s47, v10
	v_mov_b64_e32 v[44:45], 0
	v_mov_b64_e32 v[46:47], 0
	;; [unrolled: 1-line block ×14, first 2 shown]
                                        ; implicit-def: $sgpr10_sgpr11
                                        ; implicit-def: $vgpr61
	s_and_saveexec_b64 s[20:21], vcc
	s_cbranch_execz .LBB10_52
; %bb.37:
	ds_read2_b32 v[44:45], v18 offset0:3 offset1:4
	v_cmp_ne_u32_e32 vcc, v12, v13
	v_add_u32_e32 v11, 4, v19
	s_mov_b64 s[24:25], 0
	v_cndmask_b32_e64 v10, 0, 1, vcc
	v_cmp_gt_u32_e32 vcc, s47, v11
	v_mov_b64_e32 v[46:47], 0
	v_mov_b64_e32 v[48:49], 0
	v_mov_b64_e32 v[50:51], 0
	v_mov_b64_e32 v[52:53], 0
	v_mov_b64_e32 v[54:55], 0
	v_mov_b64_e32 v[56:57], 0
	v_mov_b64_e32 v[30:31], 0
	v_mov_b64_e32 v[28:29], 0
	v_mov_b64_e32 v[26:27], 0
	v_mov_b64_e32 v[24:25], 0
	v_mov_b64_e32 v[22:23], 0
	v_mov_b64_e32 v[20:21], 0
                                        ; implicit-def: $sgpr10_sgpr11
                                        ; implicit-def: $vgpr61
	s_and_saveexec_b64 s[22:23], vcc
	s_cbranch_execz .LBB10_51
; %bb.38:
	v_cmp_ne_u32_e32 vcc, v13, v6
	v_add_u32_e32 v11, 5, v19
	s_mov_b64 s[26:27], 0
	v_cndmask_b32_e64 v47, 0, 1, vcc
	v_cmp_gt_u32_e32 vcc, s47, v11
	v_mov_b64_e32 v[48:49], 0
	v_mov_b64_e32 v[50:51], 0
	;; [unrolled: 1-line block ×10, first 2 shown]
                                        ; implicit-def: $sgpr10_sgpr11
                                        ; implicit-def: $vgpr61
	s_and_saveexec_b64 s[24:25], vcc
	s_cbranch_execz .LBB10_50
; %bb.39:
	ds_read2_b32 v[48:49], v18 offset0:5 offset1:6
	v_cmp_ne_u32_e32 vcc, v6, v7
	v_add_u32_e32 v11, 6, v19
	s_mov_b64 s[28:29], 0
	v_cndmask_b32_e64 v6, 0, 1, vcc
	v_cmp_gt_u32_e32 vcc, s47, v11
	v_mov_b64_e32 v[50:51], 0
	v_mov_b64_e32 v[52:53], 0
	;; [unrolled: 1-line block ×8, first 2 shown]
                                        ; implicit-def: $sgpr10_sgpr11
                                        ; implicit-def: $vgpr61
	s_and_saveexec_b64 s[26:27], vcc
	s_cbranch_execz .LBB10_49
; %bb.40:
	v_cmp_ne_u32_e32 vcc, v7, v8
	v_add_u32_e32 v7, 7, v19
	s_mov_b64 s[34:35], 0
	v_cndmask_b32_e64 v51, 0, 1, vcc
	v_cmp_gt_u32_e32 vcc, s47, v7
	v_mov_b64_e32 v[52:53], 0
	v_mov_b64_e32 v[54:55], 0
	;; [unrolled: 1-line block ×6, first 2 shown]
                                        ; implicit-def: $sgpr10_sgpr11
                                        ; implicit-def: $vgpr61
	s_and_saveexec_b64 s[28:29], vcc
	s_cbranch_execz .LBB10_48
; %bb.41:
	ds_read2_b32 v[52:53], v18 offset0:7 offset1:8
	v_cmp_ne_u32_e32 vcc, v8, v9
	v_add_u32_e32 v8, 8, v19
	s_mov_b64 s[36:37], 0
	v_cndmask_b32_e64 v7, 0, 1, vcc
	v_cmp_gt_u32_e32 vcc, s47, v8
	v_mov_b64_e32 v[54:55], 0
	v_mov_b64_e32 v[56:57], 0
	;; [unrolled: 1-line block ×4, first 2 shown]
                                        ; implicit-def: $sgpr10_sgpr11
                                        ; implicit-def: $vgpr61
	s_and_saveexec_b64 s[34:35], vcc
	s_cbranch_execz .LBB10_47
; %bb.42:
	v_cmp_ne_u32_e32 vcc, v9, v2
	v_add_u32_e32 v8, 9, v19
	s_mov_b64 s[52:53], 0
	v_cndmask_b32_e64 v55, 0, 1, vcc
	v_cmp_gt_u32_e32 vcc, s47, v8
	v_mov_b64_e32 v[56:57], 0
	v_mov_b64_e32 v[20:21], 0
                                        ; implicit-def: $sgpr10_sgpr11
                                        ; implicit-def: $vgpr61
	s_and_saveexec_b64 s[36:37], vcc
	s_cbranch_execz .LBB10_46
; %bb.43:
	ds_read2_b32 v[56:57], v18 offset0:9 offset1:10
	v_cmp_ne_u32_e32 vcc, v2, v3
	v_add_u32_e32 v8, 10, v19
	v_mov_b64_e32 v[20:21], 0
	v_cndmask_b32_e64 v2, 0, 1, vcc
	v_cmp_gt_u32_e32 vcc, s47, v8
                                        ; implicit-def: $sgpr10_sgpr11
                                        ; implicit-def: $vgpr61
	s_and_saveexec_b64 s[54:55], vcc
	s_xor_b64 s[54:55], exec, s[54:55]
	s_cbranch_execz .LBB10_45
; %bb.44:
	ds_read_b32 v61, v18 offset:44
	v_cmp_ne_u32_e32 vcc, v3, v4
	v_add_u32_e32 v3, 11, v19
	v_cmp_ne_u32_e64 s[10:11], v4, v5
	v_cndmask_b32_e64 v21, 0, 1, vcc
	v_cmp_gt_u32_e32 vcc, s47, v3
	s_waitcnt lgkmcnt(1)
	v_mov_b32_e32 v20, v57
	s_and_b64 s[52:53], vcc, exec
.LBB10_45:
	s_or_b64 exec, exec, s[54:55]
	s_waitcnt lgkmcnt(0)
	v_mov_b32_e32 v57, v2
	s_and_b64 s[52:53], s[52:53], exec
.LBB10_46:
	s_or_b64 exec, exec, s[36:37]
	s_waitcnt lgkmcnt(0)
	v_mov_b32_e32 v54, v53
	s_and_b64 s[36:37], s[52:53], exec
	v_mov_b64_e32 v[22:23], v[56:57]
.LBB10_47:
	s_or_b64 exec, exec, s[34:35]
	s_waitcnt lgkmcnt(0)
	v_mov_b32_e32 v53, v7
	s_and_b64 s[34:35], s[36:37], exec
	v_mov_b64_e32 v[24:25], v[54:55]
.LBB10_48:
	s_or_b64 exec, exec, s[28:29]
	s_waitcnt lgkmcnt(0)
	v_mov_b32_e32 v50, v49
	s_and_b64 s[28:29], s[34:35], exec
	v_mov_b64_e32 v[26:27], v[52:53]
.LBB10_49:
	s_or_b64 exec, exec, s[26:27]
	s_waitcnt lgkmcnt(0)
	v_mov_b32_e32 v49, v6
	s_and_b64 s[26:27], s[28:29], exec
	v_mov_b64_e32 v[28:29], v[50:51]
.LBB10_50:
	s_or_b64 exec, exec, s[24:25]
	s_waitcnt lgkmcnt(0)
	v_mov_b32_e32 v46, v45
	s_and_b64 s[24:25], s[26:27], exec
	v_mov_b64_e32 v[30:31], v[48:49]
.LBB10_51:
	s_or_b64 exec, exec, s[22:23]
	s_waitcnt lgkmcnt(0)
	v_mov_b32_e32 v45, v10
	s_and_b64 s[22:23], s[24:25], exec
	v_mov_b64_e32 v[32:33], v[46:47]
.LBB10_52:
	s_or_b64 exec, exec, s[20:21]
	s_waitcnt lgkmcnt(0)
	v_mov_b32_e32 v42, v15
	s_and_b64 s[20:21], s[22:23], exec
	v_mov_b64_e32 v[34:35], v[44:45]
.LBB10_53:
	s_or_b64 exec, exec, s[18:19]
	s_waitcnt lgkmcnt(0)
	v_mov_b32_e32 v15, v1
	s_and_b64 s[18:19], s[20:21], exec
	v_mov_b64_e32 v[36:37], v[42:43]
.LBB10_54:
	s_or_b64 exec, exec, s[16:17]
	s_and_b64 s[16:17], s[18:19], exec
	v_mov_b64_e32 v[38:39], v[14:15]
.LBB10_55:
	s_or_b64 exec, exec, s[14:15]
	s_and_b64 vcc, exec, s[12:13]
	v_lshlrev_b32_e32 v18, 2, v0
	s_cbranch_vccz .LBB10_64
.LBB10_56:
	v_mov_b32_e32 v19, 0
	v_lshl_add_u64 v[2:3], s[4:5], 0, v[18:19]
	v_add_co_u32_e32 v4, vcc, 0x1000, v2
	global_load_dword v6, v18, s[4:5]
	global_load_dword v7, v18, s[4:5] offset:1024
	global_load_dword v8, v18, s[4:5] offset:2048
	;; [unrolled: 1-line block ×3, first 2 shown]
	v_addc_co_u32_e32 v5, vcc, 0, v3, vcc
	v_add_co_u32_e32 v2, vcc, 0x2000, v2
	v_mad_u32_u24 v1, v0, 44, v18
	s_nop 0
	v_addc_co_u32_e32 v3, vcc, 0, v3, vcc
	global_load_dword v10, v[4:5], off
	global_load_dword v11, v[4:5], off offset:1024
	global_load_dword v12, v[4:5], off offset:2048
	;; [unrolled: 1-line block ×3, first 2 shown]
	global_load_dword v14, v[2:3], off
	global_load_dword v15, v[2:3], off offset:1024
	s_waitcnt lgkmcnt(0)
	global_load_dword v16, v[2:3], off offset:2048
	global_load_dword v17, v[2:3], off offset:3072
	s_cmp_eq_u64 s[8:9], 0
	s_waitcnt vmcnt(10)
	ds_write2st64_b32 v18, v6, v7 offset1:4
	s_waitcnt vmcnt(8)
	ds_write2st64_b32 v18, v8, v9 offset0:8 offset1:12
	s_waitcnt vmcnt(6)
	ds_write2st64_b32 v18, v10, v11 offset0:16 offset1:20
	s_waitcnt vmcnt(4)
	ds_write2st64_b32 v18, v12, v13 offset0:24 offset1:28
	s_waitcnt vmcnt(2)
	ds_write2st64_b32 v18, v14, v15 offset0:32 offset1:36
	s_waitcnt vmcnt(0)
	ds_write2st64_b32 v18, v16, v17 offset0:40 offset1:44
	s_waitcnt lgkmcnt(0)
	s_barrier
	ds_read_b128 v[10:13], v1
	ds_read_b128 v[6:9], v1 offset:16
	ds_read_b128 v[2:5], v1 offset:32
	s_cbranch_scc1 .LBB10_61
; %bb.57:
	s_add_u32 s4, s4, -4
	s_addc_u32 s5, s5, -1
	s_andn2_b64 vcc, exec, s[6:7]
	s_cbranch_vccnz .LBB10_59
; %bb.58:
	s_lshl_b64 s[4:5], s[8:9], 2
	s_add_u32 s4, s42, s4
	s_addc_u32 s5, s43, s5
	s_add_u32 s4, s4, -4
	s_addc_u32 s5, s5, -1
	s_mov_b64 s[6:7], 0
	s_branch .LBB10_60
.LBB10_59:
	s_mov_b64 s[6:7], -1
.LBB10_60:
	s_andn2_b64 vcc, exec, s[6:7]
.LBB10_61:
	s_load_dword s4, s[4:5], 0x0
	s_movk_i32 s5, 0xffd4
	v_mad_i32_i24 v14, v0, s5, v1
	s_waitcnt lgkmcnt(0)
	ds_write_b32 v14, v5 offset:12288
	v_cmp_ne_u32_e32 vcc, 0, v0
	v_mov_b32_e32 v14, s4
	s_waitcnt lgkmcnt(0)
	s_barrier
	s_and_saveexec_b64 s[4:5], vcc
; %bb.62:
	v_mul_i32_i24_e32 v14, 0xffffffd4, v0
	v_add_u32_e32 v14, v1, v14
	ds_read_b32 v14, v14 offset:12284
; %bb.63:
	s_or_b64 exec, exec, s[4:5]
	s_waitcnt lgkmcnt(0)
	v_cmp_ne_u32_e32 vcc, v14, v10
	v_cmp_ne_u32_e64 s[10:11], v4, v5
	v_mov_b32_e32 v5, s3
	v_cndmask_b32_e64 v17, 0, 1, vcc
	v_cmp_ne_u32_e32 vcc, v10, v11
	s_barrier
	s_nop 0
	v_cndmask_b32_e64 v15, 0, 1, vcc
	v_cmp_ne_u32_e32 vcc, v11, v12
	ds_write2st64_b32 v18, v5, v5 offset1:4
	ds_write2st64_b32 v18, v5, v5 offset0:8 offset1:12
	ds_write2st64_b32 v18, v5, v5 offset0:16 offset1:20
	;; [unrolled: 1-line block ×5, first 2 shown]
	v_cndmask_b32_e64 v43, 0, 1, vcc
	v_cmp_ne_u32_e32 vcc, v12, v13
	s_waitcnt lgkmcnt(0)
	s_barrier
	v_cndmask_b32_e64 v45, 0, 1, vcc
	v_cmp_ne_u32_e32 vcc, v13, v6
	ds_read_b128 v[20:23], v1
	ds_read_b128 v[24:27], v1 offset:16
	ds_read_b128 v[58:61], v1 offset:32
	v_cndmask_b32_e64 v47, 0, 1, vcc
	v_cmp_ne_u32_e32 vcc, v6, v7
	s_waitcnt lgkmcnt(2)
	v_mov_b32_e32 v14, v21
	v_mov_b32_e32 v42, v22
	v_cndmask_b32_e64 v49, 0, 1, vcc
	v_cmp_ne_u32_e32 vcc, v7, v8
	v_mov_b32_e32 v44, v23
	s_waitcnt lgkmcnt(1)
	v_mov_b32_e32 v46, v24
	v_cndmask_b32_e64 v51, 0, 1, vcc
	v_cmp_ne_u32_e32 vcc, v8, v9
	v_mov_b32_e32 v48, v25
	v_mov_b32_e32 v50, v26
	v_cndmask_b32_e64 v53, 0, 1, vcc
	v_cmp_ne_u32_e32 vcc, v9, v2
	v_mov_b32_e32 v52, v27
	s_waitcnt lgkmcnt(0)
	v_mov_b32_e32 v54, v58
	v_cndmask_b32_e64 v55, 0, 1, vcc
	v_cmp_ne_u32_e32 vcc, v2, v3
	v_mov_b32_e32 v56, v59
	v_mov_b32_e32 v16, v20
	v_cndmask_b32_e64 v57, 0, 1, vcc
	v_cmp_ne_u32_e32 vcc, v3, v4
	v_mov_b32_e32 v20, v60
	s_mov_b64 s[16:17], -1
	v_cndmask_b32_e64 v21, 0, 1, vcc
	v_mov_b64_e32 v[38:39], v[14:15]
	v_mov_b64_e32 v[36:37], v[42:43]
	;; [unrolled: 1-line block ×9, first 2 shown]
.LBB10_64:
	v_mov_b64_e32 v[40:41], 0
	s_and_saveexec_b64 s[4:5], s[16:17]
	s_cbranch_execz .LBB10_66
; %bb.65:
	v_cndmask_b32_e64 v41, 0, 1, s[10:11]
	v_mov_b32_e32 v40, v61
	v_mov_b64_e32 v[22:23], v[56:57]
	v_mov_b64_e32 v[24:25], v[54:55]
	;; [unrolled: 1-line block ×9, first 2 shown]
.LBB10_66:
	s_or_b64 exec, exec, s[4:5]
	s_mov_b32 s24, 0
	s_cmp_lg_u32 s2, 0
	v_or_b32_e32 v42, v27, v25
	v_or_b32_e32 v19, v23, v21
	v_lshrrev_b32_e32 v1, 2, v0
	v_cmp_gt_u32_e32 vcc, 64, v0
	s_waitcnt lgkmcnt(0)
	s_barrier
	s_cbranch_scc0 .LBB10_96
; %bb.67:
	s_mov_b32 s25, 1
	v_cmp_gt_u64_e64 s[4:5], s[24:25], v[38:39]
	v_cmp_gt_u64_e64 s[6:7], s[24:25], v[36:37]
	v_cmp_gt_u64_e64 s[8:9], s[24:25], v[34:35]
	v_cndmask_b32_e64 v2, 0, v16, s[4:5]
	v_add_u32_e32 v2, v2, v38
	v_cndmask_b32_e64 v2, 0, v2, s[6:7]
	v_add_u32_e32 v2, v2, v36
	v_cndmask_b32_e64 v2, 0, v2, s[8:9]
	v_add_u32_e32 v2, v2, v34
	v_cmp_gt_u64_e64 s[10:11], s[24:25], v[32:33]
	v_cmp_gt_u64_e64 s[12:13], s[24:25], v[30:31]
	v_cmp_gt_u64_e64 s[14:15], s[24:25], v[28:29]
	v_cndmask_b32_e64 v2, 0, v2, s[10:11]
	v_add_u32_e32 v2, v2, v32
	v_cndmask_b32_e64 v2, 0, v2, s[12:13]
	v_add_u32_e32 v2, v2, v30
	v_cndmask_b32_e64 v2, 0, v2, s[14:15]
	v_add_u32_e32 v2, v2, v28
	;; [unrolled: 9-line block ×3, first 2 shown]
	v_cmp_gt_u64_e64 s[22:23], s[24:25], v[20:21]
	v_or3_b32 v3, v42, v29, v31
	v_or3_b32 v3, v3, v33, v35
	v_cndmask_b32_e64 v2, 0, v2, s[22:23]
	v_add_u32_e32 v2, v2, v20
	v_cmp_gt_u64_e64 s[24:25], s[24:25], v[40:41]
	v_or3_b32 v3, v3, v37, v39
	s_nop 0
	v_cndmask_b32_e64 v2, 0, v2, s[24:25]
	v_add_u32_e32 v14, v2, v40
	v_or3_b32 v2, v41, v19, v3
	v_and_b32_e32 v3, 0xff, v2
	v_mov_b32_e32 v2, 0
	v_cmp_eq_u64_e64 s[26:27], 0, v[2:3]
	v_and_b32_e32 v2, 56, v1
	v_lshl_add_u32 v2, v0, 3, v2
	v_cndmask_b32_e64 v15, 1, v17, s[26:27]
	ds_write_b32 v2, v14
	ds_write_b8 v2, v15 offset:4
	s_waitcnt lgkmcnt(0)
	s_barrier
	s_and_saveexec_b64 s[28:29], vcc
	s_cbranch_execz .LBB10_79
; %bb.68:
	v_and_b32_e32 v2, 0xf8, v0
	v_lshlrev_b32_e32 v3, 5, v0
	v_add_u32_e32 v4, v2, v3
	ds_read2_b32 v[6:7], v4 offset0:2 offset1:4
	ds_read_b64 v[2:3], v4
	ds_read_u8 v8, v4 offset:12
	ds_read_u8 v9, v4 offset:20
	ds_read_b32 v10, v4 offset:24
	ds_read_u8 v11, v4 offset:28
	s_waitcnt lgkmcnt(4)
	v_and_b32_e32 v5, 1, v3
	s_waitcnt lgkmcnt(3)
	v_cmp_eq_u16_e64 s[26:27], 0, v8
	s_nop 1
	v_cndmask_b32_e64 v12, 0, v2, s[26:27]
	v_add_u32_e32 v6, v12, v6
	s_waitcnt lgkmcnt(2)
	v_cmp_eq_u16_e64 s[26:27], 0, v9
	s_nop 1
	v_cndmask_b32_e64 v6, 0, v6, s[26:27]
	v_add_u32_e32 v6, v6, v7
	v_or_b32_e32 v7, v9, v8
	v_cmp_eq_u16_e64 s[26:27], 0, v7
	s_nop 1
	v_cndmask_b32_e64 v8, 1, v5, s[26:27]
	s_waitcnt lgkmcnt(0)
	v_cmp_eq_u16_e64 s[26:27], 0, v11
	s_nop 1
	v_cndmask_b32_e64 v6, 0, v6, s[26:27]
	v_add_u32_e32 v7, v6, v10
	v_and_b32_e32 v6, 1, v11
	v_cmp_eq_u32_e64 s[26:27], 1, v6
	v_and_b32_e32 v6, 0xffffff00, v3
	v_mov_b32_dpp v12, v7 row_shr:1 row_mask:0xf bank_mask:0xf
	v_cndmask_b32_e64 v9, v8, 1, s[26:27]
	v_mbcnt_lo_u32_b32 v8, -1, 0
	v_mbcnt_hi_u32_b32 v8, -1, v8
	v_and_b32_e32 v11, 15, v8
	v_or_b32_sdwa v10, v6, v9 dst_sel:DWORD dst_unused:UNUSED_PAD src0_sel:DWORD src1_sel:WORD_0
	v_cmp_ne_u32_e64 s[26:27], 0, v11
	s_nop 0
	v_mov_b32_dpp v13, v10 row_shr:1 row_mask:0xf bank_mask:0xf
	s_and_saveexec_b64 s[34:35], s[26:27]
; %bb.69:
	v_and_b32_e32 v10, 1, v9
	v_and_b32_e32 v13, 1, v13
	v_cmp_eq_u32_e64 s[26:27], 1, v10
	s_nop 1
	v_cndmask_b32_e64 v13, v13, 1, s[26:27]
	v_cmp_eq_u16_e64 s[26:27], 0, v9
	v_or_b32_sdwa v10, v6, v13 dst_sel:DWORD dst_unused:UNUSED_PAD src0_sel:DWORD src1_sel:WORD_0
	s_nop 0
	v_cndmask_b32_e64 v9, 0, v12, s[26:27]
	v_add_u32_e32 v7, v9, v7
	v_mov_b32_e32 v9, v13
; %bb.70:
	s_or_b64 exec, exec, s[34:35]
	v_mov_b32_dpp v12, v7 row_shr:2 row_mask:0xf bank_mask:0xf
	v_mov_b32_dpp v13, v10 row_shr:2 row_mask:0xf bank_mask:0xf
	v_cmp_lt_u32_e64 s[26:27], 1, v11
	s_and_saveexec_b64 s[34:35], s[26:27]
; %bb.71:
	v_and_b32_e32 v10, 1, v9
	v_and_b32_e32 v13, 1, v13
	v_cmp_eq_u32_e64 s[26:27], 1, v10
	s_nop 1
	v_cndmask_b32_e64 v13, v13, 1, s[26:27]
	v_cmp_eq_u16_e64 s[26:27], 0, v9
	v_or_b32_sdwa v10, v6, v13 dst_sel:DWORD dst_unused:UNUSED_PAD src0_sel:DWORD src1_sel:WORD_0
	s_nop 0
	v_cndmask_b32_e64 v9, 0, v12, s[26:27]
	v_add_u32_e32 v7, v9, v7
	v_mov_b32_e32 v9, v13
; %bb.72:
	s_or_b64 exec, exec, s[34:35]
	v_mov_b32_dpp v12, v7 row_shr:4 row_mask:0xf bank_mask:0xf
	v_mov_b32_dpp v13, v10 row_shr:4 row_mask:0xf bank_mask:0xf
	v_cmp_lt_u32_e64 s[26:27], 3, v11
	;; [unrolled: 18-line block ×3, first 2 shown]
	s_and_saveexec_b64 s[34:35], s[26:27]
; %bb.75:
	v_and_b32_e32 v10, 1, v9
	v_and_b32_e32 v11, 1, v13
	v_cmp_eq_u32_e64 s[26:27], 1, v10
	s_nop 1
	v_cndmask_b32_e64 v11, v11, 1, s[26:27]
	v_cmp_eq_u16_e64 s[26:27], 0, v9
	v_or_b32_sdwa v10, v6, v11 dst_sel:DWORD dst_unused:UNUSED_PAD src0_sel:DWORD src1_sel:WORD_0
	s_nop 0
	v_cndmask_b32_e64 v9, 0, v12, s[26:27]
	v_add_u32_e32 v7, v9, v7
	v_mov_b32_e32 v9, v11
; %bb.76:
	s_or_b64 exec, exec, s[34:35]
	v_and_b32_e32 v13, 16, v8
	v_mov_b32_dpp v11, v7 row_bcast:15 row_mask:0xf bank_mask:0xf
	v_mov_b32_dpp v12, v10 row_bcast:15 row_mask:0xf bank_mask:0xf
	v_cmp_ne_u32_e64 s[26:27], 0, v13
	s_and_saveexec_b64 s[34:35], s[26:27]
; %bb.77:
	v_and_b32_e32 v10, 1, v9
	v_and_b32_e32 v12, 1, v12
	v_cmp_eq_u32_e64 s[26:27], 1, v10
	s_nop 1
	v_cndmask_b32_e64 v12, v12, 1, s[26:27]
	v_cmp_eq_u16_e64 s[26:27], 0, v9
	v_or_b32_sdwa v10, v6, v12 dst_sel:DWORD dst_unused:UNUSED_PAD src0_sel:DWORD src1_sel:WORD_0
	s_nop 0
	v_cndmask_b32_e64 v9, 0, v11, s[26:27]
	v_add_u32_e32 v7, v9, v7
	v_mov_b32_e32 v9, v12
; %bb.78:
	s_or_b64 exec, exec, s[34:35]
	v_mov_b32_dpp v10, v10 row_bcast:31 row_mask:0xf bank_mask:0xf
	v_and_b32_e32 v12, 1, v9
	v_and_b32_e32 v10, 1, v10
	v_cmp_eq_u32_e64 s[26:27], 1, v12
	v_mov_b32_e32 v12, 0
	v_cmp_eq_u16_sdwa s[34:35], v9, v12 src0_sel:BYTE_0 src1_sel:DWORD
	v_cndmask_b32_e64 v10, v10, 1, s[26:27]
	v_cmp_lt_u32_e64 s[26:27], 31, v8
	v_mov_b32_dpp v11, v7 row_bcast:31 row_mask:0xf bank_mask:0xf
	s_movk_i32 s3, 0xff
	v_cndmask_b32_e64 v9, v9, v10, s[26:27]
	s_and_b64 s[26:27], s[26:27], s[34:35]
	v_cndmask_b32_e64 v10, 0, v11, s[26:27]
	v_add_u32_e32 v7, v10, v7
	v_add_u32_e32 v10, -1, v8
	v_and_b32_e32 v11, 64, v8
	v_cmp_lt_i32_e64 s[26:27], v10, v11
	v_and_or_b32 v6, v9, s3, v6
	s_nop 0
	v_cndmask_b32_e64 v8, v10, v8, s[26:27]
	v_lshlrev_b32_e32 v8, 2, v8
	ds_bpermute_b32 v7, v8, v7
	ds_bpermute_b32 v6, v8, v6
	v_cmp_eq_u16_sdwa s[26:27], v3, v12 src0_sel:BYTE_0 src1_sel:DWORD
	; wave barrier
	s_waitcnt lgkmcnt(1)
	s_nop 0
	v_cndmask_b32_e64 v3, 0, v7, s[26:27]
	v_add_u32_e32 v2, v3, v2
	s_waitcnt lgkmcnt(0)
	v_and_b32_e32 v3, 1, v6
	v_cmp_eq_u32_e64 s[26:27], 1, v5
	s_nop 1
	v_cndmask_b32_e64 v3, v3, 1, s[26:27]
	v_cmp_eq_u32_e64 s[26:27], 0, v0
	s_nop 1
	v_cndmask_b32_e64 v5, v2, v14, s[26:27]
	v_cndmask_b32_e64 v6, v3, v15, s[26:27]
	ds_write_b32 v4, v5
	ds_write_b8 v4, v6 offset:4
	; wave barrier
	ds_read_u8 v7, v4 offset:12
	ds_read2_b32 v[2:3], v4 offset0:2 offset1:4
	ds_read_u8 v8, v4 offset:20
	ds_read_b32 v9, v4 offset:24
	ds_read_u8 v10, v4 offset:28
	s_waitcnt lgkmcnt(4)
	v_cmp_eq_u16_e64 s[26:27], 0, v7
	s_nop 1
	v_cndmask_b32_e64 v5, 0, v5, s[26:27]
	s_waitcnt lgkmcnt(3)
	v_add_u32_e32 v2, v5, v2
	v_and_b32_e32 v5, 1, v7
	v_cmp_eq_u32_e64 s[26:27], 1, v5
	s_nop 1
	v_cndmask_b32_e64 v5, v6, 1, s[26:27]
	s_waitcnt lgkmcnt(2)
	v_cmp_eq_u16_e64 s[26:27], 0, v8
	ds_write_b8 v4, v5 offset:12
	s_nop 0
	v_cndmask_b32_e64 v6, 0, v2, s[26:27]
	v_add_u32_e32 v3, v6, v3
	v_and_b32_e32 v6, 1, v8
	v_cmp_eq_u32_e64 s[26:27], 1, v6
	s_nop 1
	v_cndmask_b32_e64 v5, v5, 1, s[26:27]
	s_waitcnt lgkmcnt(1)
	v_cmp_eq_u16_e64 s[26:27], 0, v10
	ds_write2_b32 v4, v2, v3 offset0:2 offset1:4
	ds_write_b8 v4, v5 offset:20
	v_cndmask_b32_e64 v2, 0, v3, s[26:27]
	v_and_b32_e32 v3, 1, v10
	v_add_u32_e32 v2, v2, v9
	v_cmp_eq_u32_e64 s[26:27], 1, v3
	s_nop 1
	v_cndmask_b32_e64 v3, v5, 1, s[26:27]
	ds_write_b32 v4, v2 offset:24
	ds_write_b8 v4, v3 offset:28
.LBB10_79:
	s_or_b64 exec, exec, s[28:29]
	v_cmp_eq_u32_e64 s[26:27], 0, v0
	v_cmp_ne_u32_e64 s[28:29], 0, v0
	s_waitcnt lgkmcnt(0)
	s_barrier
	s_and_saveexec_b64 s[34:35], s[28:29]
	s_cbranch_execz .LBB10_81
; %bb.80:
	v_add_u32_e32 v2, -1, v0
	v_lshrrev_b32_e32 v3, 2, v2
	v_and_b32_e32 v3, 0x3ffffff8, v3
	v_lshl_add_u32 v2, v2, 3, v3
	ds_read_b32 v14, v2
	ds_read_u8 v15, v2 offset:4
.LBB10_81:
	s_or_b64 exec, exec, s[34:35]
	s_and_saveexec_b64 s[36:37], vcc
	s_cbranch_execz .LBB10_101
; %bb.82:
	v_mov_b32_e32 v5, 0
	ds_read_b64 v[2:3], v5 offset:2096
	v_mbcnt_lo_u32_b32 v4, -1, 0
	v_mbcnt_hi_u32_b32 v53, -1, v4
	s_mov_b32 s43, 0
	v_cmp_eq_u32_e64 s[28:29], 0, v53
	s_and_saveexec_b64 s[34:35], s[28:29]
	s_cbranch_execz .LBB10_84
; %bb.83:
	s_add_i32 s42, s2, 64
	s_lshl_b64 s[42:43], s[42:43], 4
	s_add_u32 s42, s44, s42
	s_addc_u32 s43, s45, s43
	v_mov_b32_e32 v4, 1
	v_mov_b64_e32 v[6:7], s[42:43]
	s_waitcnt lgkmcnt(0)
	;;#ASMSTART
	global_store_dwordx4 v[6:7], v[2:5] off sc1	
s_waitcnt vmcnt(0)
	;;#ASMEND
.LBB10_84:
	s_or_b64 exec, exec, s[34:35]
	v_xad_u32 v10, v53, -1, s2
	v_add_u32_e32 v4, 64, v10
	v_lshl_add_u64 v[12:13], v[4:5], 4, s[44:45]
	;;#ASMSTART
	global_load_dwordx4 v[6:9], v[12:13] off sc1	
s_waitcnt vmcnt(0)
	;;#ASMEND
	s_nop 0
	v_and_b32_e32 v7, 0xff, v7
	v_cmp_eq_u16_sdwa s[42:43], v8, v5 src0_sel:BYTE_0 src1_sel:DWORD
	s_and_saveexec_b64 s[34:35], s[42:43]
	s_cbranch_execz .LBB10_88
; %bb.85:
	s_mov_b64 s[42:43], 0
	v_mov_b32_e32 v4, 0
.LBB10_86:                              ; =>This Inner Loop Header: Depth=1
	;;#ASMSTART
	global_load_dwordx4 v[6:9], v[12:13] off sc1	
s_waitcnt vmcnt(0)
	;;#ASMEND
	s_nop 0
	v_cmp_ne_u16_sdwa s[52:53], v8, v4 src0_sel:BYTE_0 src1_sel:DWORD
	s_or_b64 s[42:43], s[52:53], s[42:43]
	s_andn2_b64 exec, exec, s[42:43]
	s_cbranch_execnz .LBB10_86
; %bb.87:
	s_or_b64 exec, exec, s[42:43]
	v_and_b32_e32 v7, 0xff, v7
.LBB10_88:
	s_or_b64 exec, exec, s[34:35]
	v_mov_b32_e32 v43, 2
	v_cmp_eq_u16_sdwa s[34:35], v8, v43 src0_sel:BYTE_0 src1_sel:DWORD
	v_lshlrev_b64 v[4:5], v53, -1
	v_and_b32_e32 v44, 63, v53
	v_and_b32_e32 v9, s35, v5
	v_or_b32_e32 v9, 0x80000000, v9
	v_and_b32_e32 v11, s34, v4
	v_ffbl_b32_e32 v9, v9
	v_add_u32_e32 v9, 32, v9
	v_ffbl_b32_e32 v11, v11
	v_cmp_ne_u32_e32 vcc, 63, v44
	v_min_u32_e32 v9, v11, v9
	s_mov_b32 s42, 0
	v_addc_co_u32_e32 v11, vcc, 0, v53, vcc
	v_lshlrev_b32_e32 v45, 2, v11
	ds_bpermute_b32 v11, v45, v7
	ds_bpermute_b32 v12, v45, v6
	v_and_b32_e32 v13, 1, v7
	s_mov_b32 s43, 1
	v_cmp_eq_u32_e32 vcc, 1, v13
	s_waitcnt lgkmcnt(1)
	v_and_b32_e32 v11, 1, v11
	v_cmp_lt_u32_e64 s[34:35], v44, v9
	v_cndmask_b32_e64 v11, v11, 1, vcc
	v_cmp_gt_u64_e32 vcc, s[42:43], v[6:7]
	s_and_b64 vcc, s[34:35], vcc
	v_and_b32_e32 v13, 0xffff, v11
	v_cndmask_b32_e64 v48, v7, v11, s[34:35]
	s_waitcnt lgkmcnt(0)
	v_cndmask_b32_e32 v11, 0, v12, vcc
	v_cmp_gt_u32_e32 vcc, 62, v44
	v_cndmask_b32_e64 v7, v7, v13, s[34:35]
	v_add_u32_e32 v6, v11, v6
	v_cndmask_b32_e64 v12, 0, 2, vcc
	v_add_lshl_u32 v46, v12, v53, 2
	ds_bpermute_b32 v12, v46, v7
	ds_bpermute_b32 v13, v46, v6
	v_and_b32_e32 v11, 1, v48
	v_cmp_eq_u32_e32 vcc, 1, v11
	v_mov_b32_e32 v11, 0
	s_waitcnt lgkmcnt(1)
	v_and_b32_e32 v12, 1, v12
	v_add_u32_e32 v47, 2, v44
	v_cndmask_b32_e64 v12, v12, 1, vcc
	v_cmp_eq_u16_sdwa vcc, v48, v11 src0_sel:BYTE_0 src1_sel:DWORD
	v_and_b32_e32 v49, 0xffff, v12
	v_add_u32_e32 v57, 32, v44
	s_waitcnt lgkmcnt(0)
	v_cndmask_b32_e32 v13, 0, v13, vcc
	v_cmp_gt_u32_e32 vcc, v47, v9
	s_nop 1
	v_cndmask_b32_e32 v12, v12, v48, vcc
	v_cndmask_b32_e64 v13, v13, 0, vcc
	v_cndmask_b32_e32 v7, v49, v7, vcc
	v_cmp_gt_u32_e32 vcc, 60, v44
	v_add_u32_e32 v6, v13, v6
	v_and_b32_e32 v51, 1, v12
	v_cndmask_b32_e64 v48, 0, 4, vcc
	v_add_lshl_u32 v48, v48, v53, 2
	ds_bpermute_b32 v50, v48, v7
	ds_bpermute_b32 v13, v48, v6
	v_cmp_eq_u32_e32 vcc, 1, v51
	v_add_u32_e32 v49, 4, v44
	s_waitcnt lgkmcnt(1)
	v_and_b32_e32 v50, 1, v50
	v_cndmask_b32_e64 v50, v50, 1, vcc
	v_cmp_eq_u16_sdwa vcc, v12, v11 src0_sel:BYTE_0 src1_sel:DWORD
	v_and_b32_e32 v51, 0xffff, v50
	s_waitcnt lgkmcnt(0)
	v_cndmask_b32_e32 v13, 0, v13, vcc
	v_cmp_gt_u32_e32 vcc, v49, v9
	s_nop 1
	v_cndmask_b32_e32 v12, v50, v12, vcc
	v_cndmask_b32_e64 v13, v13, 0, vcc
	v_cndmask_b32_e32 v7, v51, v7, vcc
	v_cmp_gt_u32_e32 vcc, 56, v44
	v_add_u32_e32 v6, v13, v6
	v_and_b32_e32 v54, 1, v12
	v_cndmask_b32_e64 v50, 0, 8, vcc
	v_add_lshl_u32 v50, v50, v53, 2
	ds_bpermute_b32 v52, v50, v7
	ds_bpermute_b32 v13, v50, v6
	v_cmp_eq_u32_e32 vcc, 1, v54
	v_add_u32_e32 v51, 8, v44
	s_waitcnt lgkmcnt(1)
	v_and_b32_e32 v52, 1, v52
	v_cndmask_b32_e64 v52, v52, 1, vcc
	v_cmp_eq_u16_sdwa vcc, v12, v11 src0_sel:BYTE_0 src1_sel:DWORD
	v_and_b32_e32 v54, 0xffff, v52
	;; [unrolled: 21-line block ×3, first 2 shown]
	s_waitcnt lgkmcnt(0)
	v_cndmask_b32_e32 v13, 0, v13, vcc
	v_cmp_gt_u32_e32 vcc, v54, v9
	s_nop 1
	v_cndmask_b32_e32 v12, v55, v12, vcc
	v_mov_b32_e32 v55, 0x80
	v_cndmask_b32_e32 v7, v56, v7, vcc
	v_lshl_or_b32 v56, v53, 2, v55
	v_cndmask_b32_e64 v13, v13, 0, vcc
	ds_bpermute_b32 v7, v56, v7
	v_add_u32_e32 v6, v13, v6
	ds_bpermute_b32 v13, v56, v6
	v_and_b32_e32 v53, 1, v12
	v_cmp_eq_u32_e32 vcc, 1, v53
	s_waitcnt lgkmcnt(1)
	v_and_b32_e32 v7, 1, v7
	v_cndmask_b32_e64 v7, v7, 1, vcc
	v_cmp_eq_u16_sdwa vcc, v12, v11 src0_sel:BYTE_0 src1_sel:DWORD
	s_waitcnt lgkmcnt(0)
	s_nop 0
	v_cndmask_b32_e32 v13, 0, v13, vcc
	v_cmp_gt_u32_e32 vcc, v57, v9
	s_nop 1
	v_cndmask_b32_e64 v9, v13, 0, vcc
	v_cndmask_b32_e32 v7, v7, v12, vcc
	v_add_u32_e32 v6, v9, v6
	s_branch .LBB10_92
.LBB10_89:                              ;   in Loop: Header=BB10_92 Depth=1
	s_or_b64 exec, exec, s[52:53]
	v_and_b32_e32 v7, 0xff, v7
.LBB10_90:                              ;   in Loop: Header=BB10_92 Depth=1
	s_or_b64 exec, exec, s[34:35]
	v_cmp_eq_u16_sdwa s[34:35], v8, v43 src0_sel:BYTE_0 src1_sel:DWORD
	ds_bpermute_b32 v13, v45, v7
	v_and_b32_e32 v58, 1, v7
	v_and_b32_e32 v9, s35, v5
	v_or_b32_e32 v9, 0x80000000, v9
	v_and_b32_e32 v12, s34, v4
	v_ffbl_b32_e32 v9, v9
	v_add_u32_e32 v9, 32, v9
	v_ffbl_b32_e32 v12, v12
	v_min_u32_e32 v9, v12, v9
	ds_bpermute_b32 v12, v45, v6
	s_waitcnt lgkmcnt(1)
	v_and_b32_e32 v13, 1, v13
	v_cmp_eq_u32_e32 vcc, 1, v58
	v_cmp_lt_u32_e64 s[34:35], v44, v9
	v_subrev_u32_e32 v10, 64, v10
	v_cndmask_b32_e64 v13, v13, 1, vcc
	v_cmp_gt_u64_e32 vcc, s[42:43], v[6:7]
	v_and_b32_e32 v58, 0xffff, v13
	v_cndmask_b32_e64 v13, v7, v13, s[34:35]
	v_cndmask_b32_e64 v7, v7, v58, s[34:35]
	s_and_b64 vcc, s[34:35], vcc
	ds_bpermute_b32 v58, v46, v7
	s_waitcnt lgkmcnt(1)
	v_cndmask_b32_e32 v12, 0, v12, vcc
	v_add_u32_e32 v6, v12, v6
	ds_bpermute_b32 v12, v46, v6
	v_and_b32_e32 v59, 1, v13
	s_waitcnt lgkmcnt(1)
	v_and_b32_e32 v58, 1, v58
	v_cmp_eq_u32_e32 vcc, 1, v59
	s_mov_b64 s[34:35], 0
	s_nop 0
	v_cndmask_b32_e64 v58, v58, 1, vcc
	v_cmp_eq_u16_sdwa vcc, v13, v11 src0_sel:BYTE_0 src1_sel:DWORD
	v_and_b32_e32 v59, 0xffff, v58
	s_waitcnt lgkmcnt(0)
	v_cndmask_b32_e32 v12, 0, v12, vcc
	v_cmp_gt_u32_e32 vcc, v47, v9
	s_nop 1
	v_cndmask_b32_e32 v7, v59, v7, vcc
	v_cndmask_b32_e32 v13, v58, v13, vcc
	ds_bpermute_b32 v58, v48, v7
	v_cndmask_b32_e64 v12, v12, 0, vcc
	v_add_u32_e32 v6, v12, v6
	ds_bpermute_b32 v12, v48, v6
	v_and_b32_e32 v59, 1, v13
	s_waitcnt lgkmcnt(1)
	v_and_b32_e32 v58, 1, v58
	v_cmp_eq_u32_e32 vcc, 1, v59
	s_nop 1
	v_cndmask_b32_e64 v58, v58, 1, vcc
	v_cmp_eq_u16_sdwa vcc, v13, v11 src0_sel:BYTE_0 src1_sel:DWORD
	v_and_b32_e32 v59, 0xffff, v58
	s_waitcnt lgkmcnt(0)
	v_cndmask_b32_e32 v12, 0, v12, vcc
	v_cmp_gt_u32_e32 vcc, v49, v9
	s_nop 1
	v_cndmask_b32_e32 v7, v59, v7, vcc
	v_cndmask_b32_e32 v13, v58, v13, vcc
	ds_bpermute_b32 v58, v50, v7
	v_cndmask_b32_e64 v12, v12, 0, vcc
	v_add_u32_e32 v6, v12, v6
	ds_bpermute_b32 v12, v50, v6
	v_and_b32_e32 v59, 1, v13
	s_waitcnt lgkmcnt(1)
	v_and_b32_e32 v58, 1, v58
	v_cmp_eq_u32_e32 vcc, 1, v59
	;; [unrolled: 18-line block ×3, first 2 shown]
	s_nop 1
	v_cndmask_b32_e64 v58, v58, 1, vcc
	v_cmp_eq_u16_sdwa vcc, v13, v11 src0_sel:BYTE_0 src1_sel:DWORD
	v_and_b32_e32 v59, 0xffff, v58
	s_waitcnt lgkmcnt(0)
	v_cndmask_b32_e32 v12, 0, v12, vcc
	v_cmp_gt_u32_e32 vcc, v54, v9
	s_nop 1
	v_cndmask_b32_e64 v12, v12, 0, vcc
	v_cndmask_b32_e32 v7, v59, v7, vcc
	ds_bpermute_b32 v7, v56, v7
	v_add_u32_e32 v6, v12, v6
	ds_bpermute_b32 v12, v56, v6
	v_cndmask_b32_e32 v13, v58, v13, vcc
	v_and_b32_e32 v58, 1, v13
	v_cmp_eq_u32_e32 vcc, 1, v58
	s_waitcnt lgkmcnt(1)
	s_nop 0
	v_cndmask_b32_e64 v7, v7, 1, vcc
	v_cmp_eq_u16_sdwa vcc, v13, v11 src0_sel:BYTE_0 src1_sel:DWORD
	s_waitcnt lgkmcnt(0)
	s_nop 0
	v_cndmask_b32_e32 v12, 0, v12, vcc
	v_cmp_gt_u32_e32 vcc, v57, v9
	s_nop 1
	v_cndmask_b32_e64 v9, v12, 0, vcc
	v_cndmask_b32_e32 v7, v7, v13, vcc
	v_add_u32_e32 v6, v9, v6
	v_cmp_eq_u16_sdwa vcc, v53, v11 src0_sel:BYTE_0 src1_sel:DWORD
	v_and_b32_e32 v9, 1, v53
	v_and_b32_e32 v7, 1, v7
	v_cndmask_b32_e32 v6, 0, v6, vcc
	v_cmp_eq_u32_e32 vcc, 1, v9
	v_add_u32_e32 v6, v6, v55
	s_nop 0
	v_cndmask_b32_e64 v7, v7, 1, vcc
.LBB10_91:                              ;   in Loop: Header=BB10_92 Depth=1
	s_and_b64 vcc, exec, s[34:35]
	s_cbranch_vccnz .LBB10_97
.LBB10_92:                              ; =>This Loop Header: Depth=1
                                        ;     Child Loop BB10_95 Depth 2
	v_cmp_ne_u16_sdwa s[34:35], v8, v43 src0_sel:BYTE_0 src1_sel:DWORD
	v_mov_b32_e32 v53, v7
	v_mov_b32_e32 v55, v6
	s_cmp_lg_u64 s[34:35], exec
	s_mov_b64 s[34:35], -1
                                        ; implicit-def: $vgpr7
                                        ; implicit-def: $vgpr6
                                        ; implicit-def: $vgpr8
	s_cbranch_scc1 .LBB10_91
; %bb.93:                               ;   in Loop: Header=BB10_92 Depth=1
	v_lshl_add_u64 v[12:13], v[10:11], 4, s[44:45]
	;;#ASMSTART
	global_load_dwordx4 v[6:9], v[12:13] off sc1	
s_waitcnt vmcnt(0)
	;;#ASMEND
	s_nop 0
	v_and_b32_e32 v7, 0xff, v7
	v_cmp_eq_u16_sdwa s[52:53], v8, v11 src0_sel:BYTE_0 src1_sel:DWORD
	s_and_saveexec_b64 s[34:35], s[52:53]
	s_cbranch_execz .LBB10_90
; %bb.94:                               ;   in Loop: Header=BB10_92 Depth=1
	s_mov_b64 s[52:53], 0
.LBB10_95:                              ;   Parent Loop BB10_92 Depth=1
                                        ; =>  This Inner Loop Header: Depth=2
	;;#ASMSTART
	global_load_dwordx4 v[6:9], v[12:13] off sc1	
s_waitcnt vmcnt(0)
	;;#ASMEND
	s_nop 0
	v_cmp_ne_u16_sdwa s[54:55], v8, v11 src0_sel:BYTE_0 src1_sel:DWORD
	s_or_b64 s[52:53], s[54:55], s[52:53]
	s_andn2_b64 exec, exec, s[52:53]
	s_cbranch_execnz .LBB10_95
	s_branch .LBB10_89
.LBB10_96:
                                        ; implicit-def: $vgpr13
                                        ; implicit-def: $vgpr9
                                        ; implicit-def: $vgpr5
                                        ; implicit-def: $vgpr14_vgpr15
	s_load_dwordx2 s[26:27], s[0:1], 0x20
	s_cbranch_execnz .LBB10_102
	s_branch .LBB10_121
.LBB10_97:
	s_and_saveexec_b64 s[34:35], s[28:29]
	s_cbranch_execz .LBB10_99
; %bb.98:
	s_mov_b32 s3, 0
	v_mov_b32_e32 v5, 0
	s_add_i32 s2, s2, 64
	v_cmp_eq_u32_sdwa vcc, v3, v5 src0_sel:BYTE_0 src1_sel:DWORD
	s_lshl_b64 s[2:3], s[2:3], 4
	v_and_b32_e32 v3, 1, v3
	v_cndmask_b32_e32 v4, 0, v55, vcc
	s_add_u32 s2, s44, s2
	v_add_u32_e32 v2, v4, v2
	s_addc_u32 s3, s45, s3
	v_and_b32_e32 v4, 1, v53
	v_cmp_eq_u32_e32 vcc, 1, v3
	v_mov_b64_e32 v[6:7], s[2:3]
	s_nop 0
	v_cndmask_b32_e64 v3, v4, 1, vcc
	v_mov_b32_e32 v4, 2
	;;#ASMSTART
	global_store_dwordx4 v[6:7], v[2:5] off sc1	
s_waitcnt vmcnt(0)
	;;#ASMEND
.LBB10_99:
	s_or_b64 exec, exec, s[34:35]
	s_and_b64 exec, exec, s[26:27]
	s_cbranch_execz .LBB10_101
; %bb.100:
	v_mov_b32_e32 v2, 0
	ds_write_b32 v2, v55
	ds_write_b8 v2, v53 offset:4
.LBB10_101:
	s_or_b64 exec, exec, s[36:37]
	s_mov_b32 s2, 0
	v_mov_b32_e32 v2, 0
	s_mov_b32 s3, 1
	s_waitcnt lgkmcnt(0)
	s_barrier
	ds_read_b32 v3, v2
	v_cmp_gt_u64_e32 vcc, s[2:3], v[16:17]
	v_and_b32_e32 v5, 1, v17
	s_nop 0
	v_cndmask_b32_e32 v4, 0, v14, vcc
	v_cmp_eq_u32_e32 vcc, 1, v5
	v_cndmask_b32_e64 v4, v4, 0, s[26:27]
	s_nop 0
	v_cndmask_b32_e64 v5, v15, 1, vcc
	v_cndmask_b32_e64 v5, v5, v17, s[26:27]
	v_cmp_eq_u16_sdwa vcc, v5, v2 src0_sel:BYTE_0 src1_sel:DWORD
	s_waitcnt lgkmcnt(0)
	s_nop 0
	v_cndmask_b32_e32 v2, 0, v3, vcc
	v_add3_u32 v2, v4, v16, v2
	v_cndmask_b32_e64 v3, 0, v2, s[4:5]
	v_add_u32_e32 v3, v3, v38
	v_cndmask_b32_e64 v4, 0, v3, s[6:7]
	v_add_u32_e32 v4, v4, v36
	;; [unrolled: 2-line block ×11, first 2 shown]
	v_mov_b64_e32 v[14:15], v[2:3]
	s_load_dwordx2 s[26:27], s[0:1], 0x20
	s_branch .LBB10_121
.LBB10_102:
	s_cmp_lg_u64 s[50:51], 0
	s_cselect_b64 s[0:1], -1, 0
	s_cmp_lg_u64 s[38:39], 0
	s_cselect_b64 s[2:3], -1, 0
	s_and_b64 s[2:3], s[0:1], s[2:3]
	v_cmp_eq_u32_e32 vcc, 0, v0
	s_mov_b32 s24, 0
	v_cmp_ne_u32_e64 s[0:1], 0, v0
	s_and_b64 s[2:3], vcc, s[2:3]
	s_and_saveexec_b64 s[4:5], s[2:3]
	s_cbranch_execz .LBB10_104
; %bb.103:
	v_mov_b32_e32 v2, 0
	global_load_dword v4, v2, s[38:39]
	global_load_ubyte v5, v2, s[38:39] offset:4
	s_mov_b32 s25, 1
	v_and_b32_e32 v3, 1, v17
	v_cmp_gt_u64_e64 s[2:3], s[24:25], v[16:17]
	s_waitcnt vmcnt(0)
	v_and_b32_e32 v5, 1, v5
	v_cndmask_b32_e64 v4, 0, v4, s[2:3]
	v_cmp_eq_u64_e64 s[2:3], 0, v[2:3]
	v_add_u32_e32 v16, v4, v16
	s_nop 0
	v_cndmask_b32_e64 v17, 1, v5, s[2:3]
.LBB10_104:
	s_or_b64 exec, exec, s[4:5]
	s_mov_b32 s25, 1
	v_cmp_gt_u64_e64 s[4:5], s[24:25], v[38:39]
	v_cmp_gt_u64_e64 s[6:7], s[24:25], v[36:37]
	;; [unrolled: 1-line block ×3, first 2 shown]
	v_cndmask_b32_e64 v2, 0, v16, s[4:5]
	v_add_u32_e32 v3, v2, v38
	v_cndmask_b32_e64 v2, 0, v3, s[6:7]
	v_add_u32_e32 v4, v2, v36
	;; [unrolled: 2-line block ×3, first 2 shown]
	v_cmp_gt_u64_e64 s[10:11], s[24:25], v[32:33]
	v_cmp_gt_u64_e64 s[12:13], s[24:25], v[30:31]
	;; [unrolled: 1-line block ×3, first 2 shown]
	v_cndmask_b32_e64 v2, 0, v5, s[10:11]
	v_add_u32_e32 v6, v2, v32
	v_cndmask_b32_e64 v2, 0, v6, s[12:13]
	v_add_u32_e32 v7, v2, v30
	;; [unrolled: 2-line block ×3, first 2 shown]
	v_cmp_gt_u64_e64 s[16:17], s[24:25], v[26:27]
	v_cmp_gt_u64_e64 s[18:19], s[24:25], v[24:25]
	v_or3_b32 v10, v42, v29, v31
	v_cndmask_b32_e64 v2, 0, v8, s[16:17]
	v_add_u32_e32 v9, v2, v26
	v_cndmask_b32_e64 v2, 0, v9, s[18:19]
	v_or3_b32 v10, v10, v33, v35
	v_or3_b32 v14, v10, v37, v39
	v_add_u32_e32 v10, v2, v24
	v_cmp_gt_u64_e64 s[20:21], s[24:25], v[22:23]
	v_cmp_gt_u64_e64 s[22:23], s[24:25], v[20:21]
	;; [unrolled: 1-line block ×3, first 2 shown]
	v_cndmask_b32_e64 v2, 0, v10, s[20:21]
	v_add_u32_e32 v11, v2, v22
	v_cndmask_b32_e64 v2, 0, v11, s[22:23]
	v_add_u32_e32 v12, v2, v20
	;; [unrolled: 2-line block ×3, first 2 shown]
	v_or3_b32 v2, v41, v19, v14
	v_and_b32_e32 v15, 0xff, v2
	v_mov_b32_e32 v14, 0
	v_cmp_eq_u64_e64 s[2:3], 0, v[14:15]
	v_and_b32_e32 v1, 56, v1
	v_lshl_add_u32 v1, v0, 3, v1
	v_cndmask_b32_e64 v2, 1, v17, s[2:3]
	v_cmp_gt_u32_e64 s[2:3], 64, v0
	ds_write_b32 v1, v13
	ds_write_b8 v1, v2 offset:4
	s_waitcnt lgkmcnt(0)
	s_barrier
	s_and_saveexec_b64 s[28:29], s[2:3]
	s_cbranch_execz .LBB10_116
; %bb.105:
	v_and_b32_e32 v1, 0xf8, v0
	v_lshlrev_b32_e32 v14, 5, v0
	v_add_u32_e32 v1, v1, v14
	ds_read2_b32 v[42:43], v1 offset0:2 offset1:4
	ds_read_b64 v[14:15], v1
	ds_read_u8 v21, v1 offset:12
	ds_read_u8 v23, v1 offset:20
	ds_read_b32 v25, v1 offset:24
	ds_read_u8 v27, v1 offset:28
	s_waitcnt lgkmcnt(4)
	v_and_b32_e32 v19, 1, v15
	s_waitcnt lgkmcnt(3)
	v_cmp_eq_u16_e64 s[2:3], 0, v21
	s_waitcnt lgkmcnt(2)
	v_or_b32_e32 v21, v23, v21
	v_cndmask_b32_e64 v29, 0, v14, s[2:3]
	v_add_u32_e32 v29, v29, v42
	v_cmp_eq_u16_e64 s[2:3], 0, v23
	s_nop 1
	v_cndmask_b32_e64 v29, 0, v29, s[2:3]
	v_cmp_eq_u16_e64 s[2:3], 0, v21
	v_add_u32_e32 v29, v29, v43
	s_nop 0
	v_cndmask_b32_e64 v21, 1, v19, s[2:3]
	s_waitcnt lgkmcnt(0)
	v_cmp_eq_u16_e64 s[2:3], 0, v27
	s_nop 1
	v_cndmask_b32_e64 v23, 0, v29, s[2:3]
	v_add_u32_e32 v23, v23, v25
	v_and_b32_e32 v25, 1, v27
	v_cmp_eq_u32_e64 s[2:3], 1, v25
	v_mbcnt_lo_u32_b32 v25, -1, 0
	v_mbcnt_hi_u32_b32 v25, -1, v25
	v_cndmask_b32_e64 v27, v21, 1, s[2:3]
	v_and_b32_e32 v21, 0xffffff00, v15
	v_and_b32_e32 v31, 15, v25
	v_or_b32_sdwa v29, v21, v27 dst_sel:DWORD dst_unused:UNUSED_PAD src0_sel:DWORD src1_sel:WORD_0
	v_mov_b32_dpp v33, v23 row_shr:1 row_mask:0xf bank_mask:0xf
	v_cmp_ne_u32_e64 s[2:3], 0, v31
	v_mov_b32_dpp v35, v29 row_shr:1 row_mask:0xf bank_mask:0xf
	s_and_saveexec_b64 s[34:35], s[2:3]
; %bb.106:
	v_and_b32_e32 v29, 1, v27
	v_and_b32_e32 v35, 1, v35
	v_cmp_eq_u32_e64 s[2:3], 1, v29
	s_nop 1
	v_cndmask_b32_e64 v35, v35, 1, s[2:3]
	v_cmp_eq_u16_e64 s[2:3], 0, v27
	v_or_b32_sdwa v29, v21, v35 dst_sel:DWORD dst_unused:UNUSED_PAD src0_sel:DWORD src1_sel:WORD_0
	s_nop 0
	v_cndmask_b32_e64 v27, 0, v33, s[2:3]
	v_add_u32_e32 v23, v27, v23
	v_mov_b32_e32 v27, v35
; %bb.107:
	s_or_b64 exec, exec, s[34:35]
	v_mov_b32_dpp v33, v23 row_shr:2 row_mask:0xf bank_mask:0xf
	v_mov_b32_dpp v35, v29 row_shr:2 row_mask:0xf bank_mask:0xf
	v_cmp_lt_u32_e64 s[2:3], 1, v31
	s_and_saveexec_b64 s[34:35], s[2:3]
; %bb.108:
	v_and_b32_e32 v29, 1, v27
	v_and_b32_e32 v35, 1, v35
	v_cmp_eq_u32_e64 s[2:3], 1, v29
	s_nop 1
	v_cndmask_b32_e64 v35, v35, 1, s[2:3]
	v_cmp_eq_u16_e64 s[2:3], 0, v27
	v_or_b32_sdwa v29, v21, v35 dst_sel:DWORD dst_unused:UNUSED_PAD src0_sel:DWORD src1_sel:WORD_0
	s_nop 0
	v_cndmask_b32_e64 v27, 0, v33, s[2:3]
	v_add_u32_e32 v23, v27, v23
	v_mov_b32_e32 v27, v35
; %bb.109:
	s_or_b64 exec, exec, s[34:35]
	v_mov_b32_dpp v33, v23 row_shr:4 row_mask:0xf bank_mask:0xf
	v_mov_b32_dpp v35, v29 row_shr:4 row_mask:0xf bank_mask:0xf
	v_cmp_lt_u32_e64 s[2:3], 3, v31
	;; [unrolled: 18-line block ×3, first 2 shown]
	s_and_saveexec_b64 s[34:35], s[2:3]
; %bb.112:
	v_and_b32_e32 v29, 1, v27
	v_and_b32_e32 v31, 1, v35
	v_cmp_eq_u32_e64 s[2:3], 1, v29
	s_nop 1
	v_cndmask_b32_e64 v31, v31, 1, s[2:3]
	v_cmp_eq_u16_e64 s[2:3], 0, v27
	v_or_b32_sdwa v29, v21, v31 dst_sel:DWORD dst_unused:UNUSED_PAD src0_sel:DWORD src1_sel:WORD_0
	s_nop 0
	v_cndmask_b32_e64 v27, 0, v33, s[2:3]
	v_add_u32_e32 v23, v27, v23
	v_mov_b32_e32 v27, v31
; %bb.113:
	s_or_b64 exec, exec, s[34:35]
	v_and_b32_e32 v35, 16, v25
	v_mov_b32_dpp v31, v23 row_bcast:15 row_mask:0xf bank_mask:0xf
	v_mov_b32_dpp v33, v29 row_bcast:15 row_mask:0xf bank_mask:0xf
	v_cmp_ne_u32_e64 s[2:3], 0, v35
	s_and_saveexec_b64 s[34:35], s[2:3]
; %bb.114:
	v_and_b32_e32 v29, 1, v27
	v_and_b32_e32 v33, 1, v33
	v_cmp_eq_u32_e64 s[2:3], 1, v29
	s_nop 1
	v_cndmask_b32_e64 v33, v33, 1, s[2:3]
	v_cmp_eq_u16_e64 s[2:3], 0, v27
	v_or_b32_sdwa v29, v21, v33 dst_sel:DWORD dst_unused:UNUSED_PAD src0_sel:DWORD src1_sel:WORD_0
	s_nop 0
	v_cndmask_b32_e64 v27, 0, v31, s[2:3]
	v_add_u32_e32 v23, v27, v23
	v_mov_b32_e32 v27, v33
; %bb.115:
	s_or_b64 exec, exec, s[34:35]
	v_mov_b32_dpp v29, v29 row_bcast:31 row_mask:0xf bank_mask:0xf
	v_and_b32_e32 v33, 1, v27
	v_and_b32_e32 v29, 1, v29
	v_cmp_eq_u32_e64 s[2:3], 1, v33
	v_mov_b32_e32 v33, 0
	v_cmp_eq_u16_sdwa s[34:35], v27, v33 src0_sel:BYTE_0 src1_sel:DWORD
	v_cndmask_b32_e64 v29, v29, 1, s[2:3]
	v_cmp_lt_u32_e64 s[2:3], 31, v25
	v_mov_b32_dpp v31, v23 row_bcast:31 row_mask:0xf bank_mask:0xf
	s_movk_i32 s36, 0xff
	v_cndmask_b32_e64 v27, v27, v29, s[2:3]
	s_and_b64 s[2:3], s[2:3], s[34:35]
	v_cndmask_b32_e64 v29, 0, v31, s[2:3]
	v_add_u32_e32 v23, v29, v23
	v_add_u32_e32 v29, -1, v25
	v_and_b32_e32 v31, 64, v25
	v_cmp_lt_i32_e64 s[2:3], v29, v31
	v_and_or_b32 v21, v27, s36, v21
	s_nop 0
	v_cndmask_b32_e64 v25, v29, v25, s[2:3]
	v_lshlrev_b32_e32 v25, 2, v25
	ds_bpermute_b32 v23, v25, v23
	ds_bpermute_b32 v21, v25, v21
	v_cmp_eq_u16_sdwa s[2:3], v15, v33 src0_sel:BYTE_0 src1_sel:DWORD
	; wave barrier
	s_waitcnt lgkmcnt(1)
	s_nop 0
	v_cndmask_b32_e64 v15, 0, v23, s[2:3]
	v_add_u32_e32 v14, v15, v14
	s_waitcnt lgkmcnt(0)
	v_and_b32_e32 v15, 1, v21
	v_cmp_eq_u32_e64 s[2:3], 1, v19
	v_cndmask_b32_e32 v19, v14, v13, vcc
	s_nop 0
	v_cndmask_b32_e64 v15, v15, 1, s[2:3]
	v_cndmask_b32_e32 v2, v15, v2, vcc
	ds_write_b32 v1, v19
	ds_write_b8 v1, v2 offset:4
	; wave barrier
	ds_read_u8 v21, v1 offset:12
	ds_read2_b32 v[14:15], v1 offset0:2 offset1:4
	ds_read_u8 v23, v1 offset:20
	ds_read_b32 v25, v1 offset:24
	ds_read_u8 v27, v1 offset:28
	s_waitcnt lgkmcnt(4)
	v_cmp_eq_u16_e64 s[2:3], 0, v21
	s_nop 1
	v_cndmask_b32_e64 v19, 0, v19, s[2:3]
	s_waitcnt lgkmcnt(3)
	v_add_u32_e32 v14, v19, v14
	v_and_b32_e32 v19, 1, v21
	v_cmp_eq_u32_e64 s[2:3], 1, v19
	s_nop 1
	v_cndmask_b32_e64 v2, v2, 1, s[2:3]
	s_waitcnt lgkmcnt(2)
	v_cmp_eq_u16_e64 s[2:3], 0, v23
	ds_write_b8 v1, v2 offset:12
	s_nop 0
	v_cndmask_b32_e64 v19, 0, v14, s[2:3]
	v_add_u32_e32 v15, v19, v15
	v_and_b32_e32 v19, 1, v23
	v_cmp_eq_u32_e64 s[2:3], 1, v19
	s_nop 1
	v_cndmask_b32_e64 v2, v2, 1, s[2:3]
	s_waitcnt lgkmcnt(1)
	v_cmp_eq_u16_e64 s[2:3], 0, v27
	ds_write2_b32 v1, v14, v15 offset0:2 offset1:4
	ds_write_b8 v1, v2 offset:20
	v_cndmask_b32_e64 v14, 0, v15, s[2:3]
	v_and_b32_e32 v15, 1, v27
	v_add_u32_e32 v14, v14, v25
	v_cmp_eq_u32_e64 s[2:3], 1, v15
	s_nop 1
	v_cndmask_b32_e64 v2, v2, 1, s[2:3]
	ds_write_b32 v1, v14 offset:24
	ds_write_b8 v1, v2 offset:28
.LBB10_116:
	s_or_b64 exec, exec, s[28:29]
	v_mov_b32_e32 v2, v16
	v_mov_b64_e32 v[14:15], v[2:3]
	s_waitcnt lgkmcnt(0)
	s_barrier
	s_and_saveexec_b64 s[2:3], s[0:1]
	s_cbranch_execz .LBB10_118
; %bb.117:
	v_add_u32_e32 v1, -1, v0
	v_lshrrev_b32_e32 v2, 2, v1
	v_and_b32_e32 v2, 0x3ffffff8, v2
	v_lshl_add_u32 v1, v1, 3, v2
	ds_read_b32 v1, v1
	v_and_b32_e32 v3, 0xff, v17
	v_mov_b32_e32 v2, 0
	v_cmp_eq_u64_e64 s[0:1], 0, v[2:3]
	;;#ASMSTART
	;;#ASMEND
	s_waitcnt lgkmcnt(0)
	s_nop 0
	v_cndmask_b32_e64 v1, 0, v1, s[0:1]
	v_add_u32_e32 v14, v1, v16
	v_cndmask_b32_e64 v1, 0, v14, s[4:5]
	v_add_u32_e32 v15, v1, v38
	v_cndmask_b32_e64 v1, 0, v15, s[6:7]
	v_add_u32_e32 v4, v1, v36
	v_cndmask_b32_e64 v1, 0, v4, s[8:9]
	v_add_u32_e32 v5, v1, v34
	v_cndmask_b32_e64 v1, 0, v5, s[10:11]
	v_add_u32_e32 v6, v1, v32
	v_cndmask_b32_e64 v1, 0, v6, s[12:13]
	v_add_u32_e32 v7, v1, v30
	v_cndmask_b32_e64 v1, 0, v7, s[14:15]
	v_add_u32_e32 v8, v1, v28
	v_cndmask_b32_e64 v1, 0, v8, s[16:17]
	v_add_u32_e32 v9, v1, v26
	v_cndmask_b32_e64 v1, 0, v9, s[18:19]
	v_add_u32_e32 v10, v1, v24
	v_cndmask_b32_e64 v1, 0, v10, s[20:21]
	v_add_u32_e32 v11, v1, v22
	v_cndmask_b32_e64 v1, 0, v11, s[22:23]
	v_add_u32_e32 v12, v1, v20
	v_cndmask_b32_e64 v1, 0, v12, s[24:25]
	v_add_u32_e32 v13, v1, v40
	v_mov_b32_e32 v16, v14
	v_mov_b32_e32 v3, v15
.LBB10_118:
	s_or_b64 exec, exec, s[2:3]
	s_and_saveexec_b64 s[0:1], vcc
	s_cbranch_execz .LBB10_120
; %bb.119:
	v_mov_b32_e32 v23, 0
	ds_read_b32 v20, v23 offset:2096
	ds_read_u8 v21, v23 offset:2100
	s_add_u32 s2, s44, 0x400
	s_addc_u32 s3, s45, 0
	v_mov_b32_e32 v22, 2
	v_mov_b64_e32 v[24:25], s[2:3]
	s_waitcnt lgkmcnt(0)
	;;#ASMSTART
	global_store_dwordx4 v[24:25], v[20:23] off sc1	
s_waitcnt vmcnt(0)
	;;#ASMEND
.LBB10_120:
	s_or_b64 exec, exec, s[0:1]
	v_mov_b32_e32 v2, v16
.LBB10_121:
	s_waitcnt lgkmcnt(0)
	s_add_u32 s0, s26, s48
	s_addc_u32 s1, s27, s49
	s_add_u32 s0, s0, s40
	s_addc_u32 s1, s1, s41
	s_and_b64 vcc, exec, s[30:31]
	s_cbranch_vccz .LBB10_161
; %bb.122:
	s_add_i32 s33, s33, s46
	v_mul_u32_u24_e32 v1, 12, v0
	v_cmp_gt_u32_e32 vcc, s33, v1
	s_and_saveexec_b64 s[2:3], vcc
	s_cbranch_execz .LBB10_138
; %bb.123:
	v_or_b32_e32 v16, 1, v1
	v_cmp_gt_u32_e32 vcc, s33, v16
	s_and_saveexec_b64 s[4:5], vcc
	s_cbranch_execz .LBB10_137
; %bb.124:
	v_or_b32_e32 v16, 2, v1
	;; [unrolled: 5-line block ×3, first 2 shown]
	v_cmp_gt_u32_e32 vcc, s33, v16
	s_and_saveexec_b64 s[8:9], vcc
	s_cbranch_execz .LBB10_135
; %bb.126:
	v_add_u32_e32 v16, 4, v1
	v_cmp_gt_u32_e32 vcc, s33, v16
	s_and_saveexec_b64 s[10:11], vcc
	s_cbranch_execz .LBB10_134
; %bb.127:
	v_add_u32_e32 v16, 5, v1
	v_cmp_gt_u32_e32 vcc, s33, v16
	s_and_saveexec_b64 s[12:13], vcc
	s_cbranch_execz .LBB10_133
; %bb.128:
	v_add_u32_e32 v16, 6, v1
	v_cmp_gt_u32_e32 vcc, s33, v16
	s_and_saveexec_b64 s[14:15], vcc
	s_cbranch_execz .LBB10_132
; %bb.129:
	v_add_u32_e32 v16, 7, v1
	v_cmp_gt_u32_e32 vcc, s33, v16
	s_and_saveexec_b64 s[16:17], vcc
; %bb.130:
	v_add_u32_e32 v16, 8, v1
	v_cmp_gt_u32_e32 vcc, s33, v16
	s_and_saveexec_b64 s[18:19], vcc
	s_or_b64 exec, exec, s[18:19]
; %bb.131:
	s_or_b64 exec, exec, s[16:17]
.LBB10_132:
	s_or_b64 exec, exec, s[14:15]
.LBB10_133:
	s_or_b64 exec, exec, s[12:13]
.LBB10_134:
	s_or_b64 exec, exec, s[10:11]
.LBB10_135:
	s_or_b64 exec, exec, s[8:9]
.LBB10_136:
	s_or_b64 exec, exec, s[6:7]
.LBB10_137:
	s_or_b64 exec, exec, s[4:5]
.LBB10_138:
	s_or_b64 exec, exec, s[2:3]
	v_lshlrev_b32_e32 v1, 2, v1
	s_movk_i32 s2, 0xffd4
	v_mad_i32_i24 v16, v0, s2, v1
	s_barrier
	ds_write_b128 v1, v[2:5]
	ds_write_b128 v1, v[6:9] offset:16
	ds_write_b128 v1, v[10:13] offset:32
	s_waitcnt lgkmcnt(0)
	s_barrier
	ds_read2st64_b32 v[26:27], v16 offset0:4 offset1:8
	ds_read2st64_b32 v[24:25], v16 offset0:12 offset1:16
	;; [unrolled: 1-line block ×5, first 2 shown]
	ds_read_b32 v29, v16 offset:11264
	v_mov_b32_e32 v19, 0
	v_lshl_add_u64 v[16:17], s[0:1], 0, v[18:19]
	v_cmp_gt_u32_e32 vcc, s33, v0
	s_and_saveexec_b64 s[2:3], vcc
	s_cbranch_execz .LBB10_140
; %bb.139:
	v_mul_i32_i24_e32 v19, 0xffffffd4, v0
	v_add_u32_e32 v1, v1, v19
	ds_read_b32 v1, v1
	s_waitcnt lgkmcnt(0)
	global_store_dword v[16:17], v1, off
.LBB10_140:
	s_or_b64 exec, exec, s[2:3]
	v_or_b32_e32 v1, 0x100, v0
	v_cmp_gt_u32_e32 vcc, s33, v1
	s_and_saveexec_b64 s[2:3], vcc
	s_cbranch_execz .LBB10_142
; %bb.141:
	s_waitcnt lgkmcnt(5)
	global_store_dword v[16:17], v26, off offset:1024
.LBB10_142:
	s_or_b64 exec, exec, s[2:3]
	v_or_b32_e32 v1, 0x200, v0
	v_cmp_gt_u32_e32 vcc, s33, v1
	s_and_saveexec_b64 s[2:3], vcc
	s_cbranch_execz .LBB10_144
; %bb.143:
	s_waitcnt lgkmcnt(5)
	global_store_dword v[16:17], v27, off offset:2048
.LBB10_144:
	;; [unrolled: 9-line block ×3, first 2 shown]
	s_or_b64 exec, exec, s[2:3]
	v_or_b32_e32 v1, 0x400, v0
	v_cmp_gt_u32_e32 vcc, s33, v1
	s_and_saveexec_b64 s[2:3], vcc
	s_cbranch_execz .LBB10_148
; %bb.147:
	s_waitcnt lgkmcnt(5)
	v_add_co_u32_e32 v26, vcc, 0x1000, v16
	s_nop 1
	v_addc_co_u32_e32 v27, vcc, 0, v17, vcc
	s_waitcnt lgkmcnt(4)
	global_store_dword v[26:27], v25, off
.LBB10_148:
	s_or_b64 exec, exec, s[2:3]
	v_or_b32_e32 v1, 0x500, v0
	v_cmp_gt_u32_e32 vcc, s33, v1
	s_and_saveexec_b64 s[2:3], vcc
	s_cbranch_execz .LBB10_150
; %bb.149:
	s_waitcnt lgkmcnt(4)
	v_add_co_u32_e32 v24, vcc, 0x1000, v16
	s_nop 1
	v_addc_co_u32_e32 v25, vcc, 0, v17, vcc
	s_waitcnt lgkmcnt(3)
	global_store_dword v[24:25], v22, off offset:1024
.LBB10_150:
	s_or_b64 exec, exec, s[2:3]
	v_or_b32_e32 v1, 0x600, v0
	v_cmp_gt_u32_e32 vcc, s33, v1
	s_and_saveexec_b64 s[2:3], vcc
	s_cbranch_execz .LBB10_152
; %bb.151:
	s_waitcnt lgkmcnt(4)
	v_add_co_u32_e32 v24, vcc, 0x1000, v16
	s_nop 1
	v_addc_co_u32_e32 v25, vcc, 0, v17, vcc
	s_waitcnt lgkmcnt(3)
	global_store_dword v[24:25], v23, off offset:2048
.LBB10_152:
	;; [unrolled: 13-line block ×3, first 2 shown]
	s_or_b64 exec, exec, s[2:3]
	v_or_b32_e32 v1, 0x800, v0
	v_cmp_gt_u32_e32 vcc, s33, v1
	s_and_saveexec_b64 s[2:3], vcc
	s_cbranch_execz .LBB10_156
; %bb.155:
	s_waitcnt lgkmcnt(3)
	v_add_co_u32_e32 v22, vcc, 0x2000, v16
	s_nop 1
	v_addc_co_u32_e32 v23, vcc, 0, v17, vcc
	s_waitcnt lgkmcnt(2)
	global_store_dword v[22:23], v21, off
.LBB10_156:
	s_or_b64 exec, exec, s[2:3]
	v_or_b32_e32 v1, 0x900, v0
	v_cmp_gt_u32_e32 vcc, s33, v1
	s_and_saveexec_b64 s[2:3], vcc
	s_cbranch_execz .LBB10_158
; %bb.157:
	s_waitcnt lgkmcnt(2)
	v_add_co_u32_e32 v20, vcc, 0x2000, v16
	s_nop 1
	v_addc_co_u32_e32 v21, vcc, 0, v17, vcc
	s_waitcnt lgkmcnt(1)
	global_store_dword v[20:21], v2, off offset:1024
.LBB10_158:
	s_or_b64 exec, exec, s[2:3]
	v_or_b32_e32 v1, 0xa00, v0
	v_cmp_gt_u32_e32 vcc, s33, v1
	s_and_saveexec_b64 s[2:3], vcc
	s_cbranch_execz .LBB10_160
; %bb.159:
	v_add_co_u32_e32 v16, vcc, 0x2000, v16
	s_nop 1
	v_addc_co_u32_e32 v17, vcc, 0, v17, vcc
	s_waitcnt lgkmcnt(1)
	global_store_dword v[16:17], v3, off offset:2048
.LBB10_160:
	s_or_b64 exec, exec, s[2:3]
	v_or_b32_e32 v1, 0xb00, v0
	v_cmp_gt_u32_e64 s[2:3], s33, v1
	s_branch .LBB10_163
.LBB10_161:
	s_mov_b64 s[2:3], 0
                                        ; implicit-def: $vgpr29
	s_cbranch_execz .LBB10_163
; %bb.162:
	v_mul_u32_u24_e32 v1, 48, v0
	v_mov_b32_e32 v16, v4
	v_mov_b32_e32 v17, v5
	s_waitcnt lgkmcnt(0)
	s_barrier
	ds_write_b128 v1, v[14:17]
	ds_write_b128 v1, v[6:9] offset:16
	ds_write_b128 v1, v[10:13] offset:32
	v_mul_i32_i24_e32 v1, 0xffffffd4, v0
	v_mad_u32_u24 v1, v0, 48, v1
	v_mov_b32_e32 v19, 0
	s_waitcnt lgkmcnt(0)
	s_barrier
	ds_read2st64_b32 v[2:3], v1 offset1:4
	ds_read2st64_b32 v[4:5], v1 offset0:8 offset1:12
	ds_read2st64_b32 v[6:7], v1 offset0:16 offset1:20
	;; [unrolled: 1-line block ×5, first 2 shown]
	v_lshl_add_u64 v[12:13], s[0:1], 0, v[18:19]
	s_movk_i32 s4, 0x1000
	s_waitcnt lgkmcnt(5)
	global_store_dword v18, v2, s[0:1]
	global_store_dword v18, v3, s[0:1] offset:1024
	s_waitcnt lgkmcnt(4)
	global_store_dword v18, v4, s[0:1] offset:2048
	global_store_dword v18, v5, s[0:1] offset:3072
	v_add_co_u32_e32 v2, vcc, s4, v12
	s_or_b64 s[2:3], s[2:3], exec
	s_nop 0
	v_addc_co_u32_e32 v3, vcc, 0, v13, vcc
	s_waitcnt lgkmcnt(3)
	global_store_dword v[2:3], v6, off
	global_store_dword v[2:3], v7, off offset:1024
	s_waitcnt lgkmcnt(2)
	global_store_dword v[2:3], v8, off offset:2048
	global_store_dword v[2:3], v9, off offset:3072
	v_add_co_u32_e32 v2, vcc, 0x2000, v12
	s_nop 1
	v_addc_co_u32_e32 v3, vcc, 0, v13, vcc
	s_waitcnt lgkmcnt(1)
	global_store_dword v[2:3], v10, off
	global_store_dword v[2:3], v11, off offset:1024
	s_waitcnt lgkmcnt(0)
	global_store_dword v[2:3], v28, off offset:2048
.LBB10_163:
	s_and_saveexec_b64 s[4:5], s[2:3]
	s_cbranch_execnz .LBB10_165
; %bb.164:
	s_endpgm
.LBB10_165:
	v_lshlrev_b32_e32 v0, 2, v0
	v_mov_b32_e32 v1, 0
	v_lshl_add_u64 v[0:1], s[0:1], 0, v[0:1]
	v_add_co_u32_e32 v0, vcc, 0x2000, v0
	s_nop 1
	v_addc_co_u32_e32 v1, vcc, 0, v1, vcc
	s_waitcnt lgkmcnt(0)
	global_store_dword v[0:1], v29, off offset:3072
	s_endpgm
	.section	.rodata,"a",@progbits
	.p2align	6, 0x0
	.amdhsa_kernel _ZN7rocprim17ROCPRIM_400000_NS6detail17trampoline_kernelINS0_14default_configENS1_27scan_by_key_config_selectorIiiEEZZNS1_16scan_by_key_implILNS1_25lookback_scan_determinismE0ELb0ES3_PKiN6hipcub16HIPCUB_304000_NS21ConstantInputIteratorIilEEPiiNSB_3SumENSB_8EqualityEiEE10hipError_tPvRmT2_T3_T4_T5_mT6_T7_P12ihipStream_tbENKUlT_T0_E_clISt17integral_constantIbLb0EESX_EEDaSS_ST_EUlSS_E_NS1_11comp_targetILNS1_3genE0ELNS1_11target_archE4294967295ELNS1_3gpuE0ELNS1_3repE0EEENS1_30default_config_static_selectorELNS0_4arch9wavefront6targetE1EEEvT1_
		.amdhsa_group_segment_fixed_size 14336
		.amdhsa_private_segment_fixed_size 0
		.amdhsa_kernarg_size 120
		.amdhsa_user_sgpr_count 2
		.amdhsa_user_sgpr_dispatch_ptr 0
		.amdhsa_user_sgpr_queue_ptr 0
		.amdhsa_user_sgpr_kernarg_segment_ptr 1
		.amdhsa_user_sgpr_dispatch_id 0
		.amdhsa_user_sgpr_kernarg_preload_length 0
		.amdhsa_user_sgpr_kernarg_preload_offset 0
		.amdhsa_user_sgpr_private_segment_size 0
		.amdhsa_uses_dynamic_stack 0
		.amdhsa_enable_private_segment 0
		.amdhsa_system_sgpr_workgroup_id_x 1
		.amdhsa_system_sgpr_workgroup_id_y 0
		.amdhsa_system_sgpr_workgroup_id_z 0
		.amdhsa_system_sgpr_workgroup_info 0
		.amdhsa_system_vgpr_workitem_id 0
		.amdhsa_next_free_vgpr 62
		.amdhsa_next_free_sgpr 56
		.amdhsa_accum_offset 64
		.amdhsa_reserve_vcc 1
		.amdhsa_float_round_mode_32 0
		.amdhsa_float_round_mode_16_64 0
		.amdhsa_float_denorm_mode_32 3
		.amdhsa_float_denorm_mode_16_64 3
		.amdhsa_dx10_clamp 1
		.amdhsa_ieee_mode 1
		.amdhsa_fp16_overflow 0
		.amdhsa_tg_split 0
		.amdhsa_exception_fp_ieee_invalid_op 0
		.amdhsa_exception_fp_denorm_src 0
		.amdhsa_exception_fp_ieee_div_zero 0
		.amdhsa_exception_fp_ieee_overflow 0
		.amdhsa_exception_fp_ieee_underflow 0
		.amdhsa_exception_fp_ieee_inexact 0
		.amdhsa_exception_int_div_zero 0
	.end_amdhsa_kernel
	.section	.text._ZN7rocprim17ROCPRIM_400000_NS6detail17trampoline_kernelINS0_14default_configENS1_27scan_by_key_config_selectorIiiEEZZNS1_16scan_by_key_implILNS1_25lookback_scan_determinismE0ELb0ES3_PKiN6hipcub16HIPCUB_304000_NS21ConstantInputIteratorIilEEPiiNSB_3SumENSB_8EqualityEiEE10hipError_tPvRmT2_T3_T4_T5_mT6_T7_P12ihipStream_tbENKUlT_T0_E_clISt17integral_constantIbLb0EESX_EEDaSS_ST_EUlSS_E_NS1_11comp_targetILNS1_3genE0ELNS1_11target_archE4294967295ELNS1_3gpuE0ELNS1_3repE0EEENS1_30default_config_static_selectorELNS0_4arch9wavefront6targetE1EEEvT1_,"axG",@progbits,_ZN7rocprim17ROCPRIM_400000_NS6detail17trampoline_kernelINS0_14default_configENS1_27scan_by_key_config_selectorIiiEEZZNS1_16scan_by_key_implILNS1_25lookback_scan_determinismE0ELb0ES3_PKiN6hipcub16HIPCUB_304000_NS21ConstantInputIteratorIilEEPiiNSB_3SumENSB_8EqualityEiEE10hipError_tPvRmT2_T3_T4_T5_mT6_T7_P12ihipStream_tbENKUlT_T0_E_clISt17integral_constantIbLb0EESX_EEDaSS_ST_EUlSS_E_NS1_11comp_targetILNS1_3genE0ELNS1_11target_archE4294967295ELNS1_3gpuE0ELNS1_3repE0EEENS1_30default_config_static_selectorELNS0_4arch9wavefront6targetE1EEEvT1_,comdat
.Lfunc_end10:
	.size	_ZN7rocprim17ROCPRIM_400000_NS6detail17trampoline_kernelINS0_14default_configENS1_27scan_by_key_config_selectorIiiEEZZNS1_16scan_by_key_implILNS1_25lookback_scan_determinismE0ELb0ES3_PKiN6hipcub16HIPCUB_304000_NS21ConstantInputIteratorIilEEPiiNSB_3SumENSB_8EqualityEiEE10hipError_tPvRmT2_T3_T4_T5_mT6_T7_P12ihipStream_tbENKUlT_T0_E_clISt17integral_constantIbLb0EESX_EEDaSS_ST_EUlSS_E_NS1_11comp_targetILNS1_3genE0ELNS1_11target_archE4294967295ELNS1_3gpuE0ELNS1_3repE0EEENS1_30default_config_static_selectorELNS0_4arch9wavefront6targetE1EEEvT1_, .Lfunc_end10-_ZN7rocprim17ROCPRIM_400000_NS6detail17trampoline_kernelINS0_14default_configENS1_27scan_by_key_config_selectorIiiEEZZNS1_16scan_by_key_implILNS1_25lookback_scan_determinismE0ELb0ES3_PKiN6hipcub16HIPCUB_304000_NS21ConstantInputIteratorIilEEPiiNSB_3SumENSB_8EqualityEiEE10hipError_tPvRmT2_T3_T4_T5_mT6_T7_P12ihipStream_tbENKUlT_T0_E_clISt17integral_constantIbLb0EESX_EEDaSS_ST_EUlSS_E_NS1_11comp_targetILNS1_3genE0ELNS1_11target_archE4294967295ELNS1_3gpuE0ELNS1_3repE0EEENS1_30default_config_static_selectorELNS0_4arch9wavefront6targetE1EEEvT1_
                                        ; -- End function
	.set _ZN7rocprim17ROCPRIM_400000_NS6detail17trampoline_kernelINS0_14default_configENS1_27scan_by_key_config_selectorIiiEEZZNS1_16scan_by_key_implILNS1_25lookback_scan_determinismE0ELb0ES3_PKiN6hipcub16HIPCUB_304000_NS21ConstantInputIteratorIilEEPiiNSB_3SumENSB_8EqualityEiEE10hipError_tPvRmT2_T3_T4_T5_mT6_T7_P12ihipStream_tbENKUlT_T0_E_clISt17integral_constantIbLb0EESX_EEDaSS_ST_EUlSS_E_NS1_11comp_targetILNS1_3genE0ELNS1_11target_archE4294967295ELNS1_3gpuE0ELNS1_3repE0EEENS1_30default_config_static_selectorELNS0_4arch9wavefront6targetE1EEEvT1_.num_vgpr, 62
	.set _ZN7rocprim17ROCPRIM_400000_NS6detail17trampoline_kernelINS0_14default_configENS1_27scan_by_key_config_selectorIiiEEZZNS1_16scan_by_key_implILNS1_25lookback_scan_determinismE0ELb0ES3_PKiN6hipcub16HIPCUB_304000_NS21ConstantInputIteratorIilEEPiiNSB_3SumENSB_8EqualityEiEE10hipError_tPvRmT2_T3_T4_T5_mT6_T7_P12ihipStream_tbENKUlT_T0_E_clISt17integral_constantIbLb0EESX_EEDaSS_ST_EUlSS_E_NS1_11comp_targetILNS1_3genE0ELNS1_11target_archE4294967295ELNS1_3gpuE0ELNS1_3repE0EEENS1_30default_config_static_selectorELNS0_4arch9wavefront6targetE1EEEvT1_.num_agpr, 0
	.set _ZN7rocprim17ROCPRIM_400000_NS6detail17trampoline_kernelINS0_14default_configENS1_27scan_by_key_config_selectorIiiEEZZNS1_16scan_by_key_implILNS1_25lookback_scan_determinismE0ELb0ES3_PKiN6hipcub16HIPCUB_304000_NS21ConstantInputIteratorIilEEPiiNSB_3SumENSB_8EqualityEiEE10hipError_tPvRmT2_T3_T4_T5_mT6_T7_P12ihipStream_tbENKUlT_T0_E_clISt17integral_constantIbLb0EESX_EEDaSS_ST_EUlSS_E_NS1_11comp_targetILNS1_3genE0ELNS1_11target_archE4294967295ELNS1_3gpuE0ELNS1_3repE0EEENS1_30default_config_static_selectorELNS0_4arch9wavefront6targetE1EEEvT1_.numbered_sgpr, 56
	.set _ZN7rocprim17ROCPRIM_400000_NS6detail17trampoline_kernelINS0_14default_configENS1_27scan_by_key_config_selectorIiiEEZZNS1_16scan_by_key_implILNS1_25lookback_scan_determinismE0ELb0ES3_PKiN6hipcub16HIPCUB_304000_NS21ConstantInputIteratorIilEEPiiNSB_3SumENSB_8EqualityEiEE10hipError_tPvRmT2_T3_T4_T5_mT6_T7_P12ihipStream_tbENKUlT_T0_E_clISt17integral_constantIbLb0EESX_EEDaSS_ST_EUlSS_E_NS1_11comp_targetILNS1_3genE0ELNS1_11target_archE4294967295ELNS1_3gpuE0ELNS1_3repE0EEENS1_30default_config_static_selectorELNS0_4arch9wavefront6targetE1EEEvT1_.num_named_barrier, 0
	.set _ZN7rocprim17ROCPRIM_400000_NS6detail17trampoline_kernelINS0_14default_configENS1_27scan_by_key_config_selectorIiiEEZZNS1_16scan_by_key_implILNS1_25lookback_scan_determinismE0ELb0ES3_PKiN6hipcub16HIPCUB_304000_NS21ConstantInputIteratorIilEEPiiNSB_3SumENSB_8EqualityEiEE10hipError_tPvRmT2_T3_T4_T5_mT6_T7_P12ihipStream_tbENKUlT_T0_E_clISt17integral_constantIbLb0EESX_EEDaSS_ST_EUlSS_E_NS1_11comp_targetILNS1_3genE0ELNS1_11target_archE4294967295ELNS1_3gpuE0ELNS1_3repE0EEENS1_30default_config_static_selectorELNS0_4arch9wavefront6targetE1EEEvT1_.private_seg_size, 0
	.set _ZN7rocprim17ROCPRIM_400000_NS6detail17trampoline_kernelINS0_14default_configENS1_27scan_by_key_config_selectorIiiEEZZNS1_16scan_by_key_implILNS1_25lookback_scan_determinismE0ELb0ES3_PKiN6hipcub16HIPCUB_304000_NS21ConstantInputIteratorIilEEPiiNSB_3SumENSB_8EqualityEiEE10hipError_tPvRmT2_T3_T4_T5_mT6_T7_P12ihipStream_tbENKUlT_T0_E_clISt17integral_constantIbLb0EESX_EEDaSS_ST_EUlSS_E_NS1_11comp_targetILNS1_3genE0ELNS1_11target_archE4294967295ELNS1_3gpuE0ELNS1_3repE0EEENS1_30default_config_static_selectorELNS0_4arch9wavefront6targetE1EEEvT1_.uses_vcc, 1
	.set _ZN7rocprim17ROCPRIM_400000_NS6detail17trampoline_kernelINS0_14default_configENS1_27scan_by_key_config_selectorIiiEEZZNS1_16scan_by_key_implILNS1_25lookback_scan_determinismE0ELb0ES3_PKiN6hipcub16HIPCUB_304000_NS21ConstantInputIteratorIilEEPiiNSB_3SumENSB_8EqualityEiEE10hipError_tPvRmT2_T3_T4_T5_mT6_T7_P12ihipStream_tbENKUlT_T0_E_clISt17integral_constantIbLb0EESX_EEDaSS_ST_EUlSS_E_NS1_11comp_targetILNS1_3genE0ELNS1_11target_archE4294967295ELNS1_3gpuE0ELNS1_3repE0EEENS1_30default_config_static_selectorELNS0_4arch9wavefront6targetE1EEEvT1_.uses_flat_scratch, 0
	.set _ZN7rocprim17ROCPRIM_400000_NS6detail17trampoline_kernelINS0_14default_configENS1_27scan_by_key_config_selectorIiiEEZZNS1_16scan_by_key_implILNS1_25lookback_scan_determinismE0ELb0ES3_PKiN6hipcub16HIPCUB_304000_NS21ConstantInputIteratorIilEEPiiNSB_3SumENSB_8EqualityEiEE10hipError_tPvRmT2_T3_T4_T5_mT6_T7_P12ihipStream_tbENKUlT_T0_E_clISt17integral_constantIbLb0EESX_EEDaSS_ST_EUlSS_E_NS1_11comp_targetILNS1_3genE0ELNS1_11target_archE4294967295ELNS1_3gpuE0ELNS1_3repE0EEENS1_30default_config_static_selectorELNS0_4arch9wavefront6targetE1EEEvT1_.has_dyn_sized_stack, 0
	.set _ZN7rocprim17ROCPRIM_400000_NS6detail17trampoline_kernelINS0_14default_configENS1_27scan_by_key_config_selectorIiiEEZZNS1_16scan_by_key_implILNS1_25lookback_scan_determinismE0ELb0ES3_PKiN6hipcub16HIPCUB_304000_NS21ConstantInputIteratorIilEEPiiNSB_3SumENSB_8EqualityEiEE10hipError_tPvRmT2_T3_T4_T5_mT6_T7_P12ihipStream_tbENKUlT_T0_E_clISt17integral_constantIbLb0EESX_EEDaSS_ST_EUlSS_E_NS1_11comp_targetILNS1_3genE0ELNS1_11target_archE4294967295ELNS1_3gpuE0ELNS1_3repE0EEENS1_30default_config_static_selectorELNS0_4arch9wavefront6targetE1EEEvT1_.has_recursion, 0
	.set _ZN7rocprim17ROCPRIM_400000_NS6detail17trampoline_kernelINS0_14default_configENS1_27scan_by_key_config_selectorIiiEEZZNS1_16scan_by_key_implILNS1_25lookback_scan_determinismE0ELb0ES3_PKiN6hipcub16HIPCUB_304000_NS21ConstantInputIteratorIilEEPiiNSB_3SumENSB_8EqualityEiEE10hipError_tPvRmT2_T3_T4_T5_mT6_T7_P12ihipStream_tbENKUlT_T0_E_clISt17integral_constantIbLb0EESX_EEDaSS_ST_EUlSS_E_NS1_11comp_targetILNS1_3genE0ELNS1_11target_archE4294967295ELNS1_3gpuE0ELNS1_3repE0EEENS1_30default_config_static_selectorELNS0_4arch9wavefront6targetE1EEEvT1_.has_indirect_call, 0
	.section	.AMDGPU.csdata,"",@progbits
; Kernel info:
; codeLenInByte = 9968
; TotalNumSgprs: 62
; NumVgprs: 62
; NumAgprs: 0
; TotalNumVgprs: 62
; ScratchSize: 0
; MemoryBound: 0
; FloatMode: 240
; IeeeMode: 1
; LDSByteSize: 14336 bytes/workgroup (compile time only)
; SGPRBlocks: 7
; VGPRBlocks: 7
; NumSGPRsForWavesPerEU: 62
; NumVGPRsForWavesPerEU: 62
; AccumOffset: 64
; Occupancy: 8
; WaveLimiterHint : 1
; COMPUTE_PGM_RSRC2:SCRATCH_EN: 0
; COMPUTE_PGM_RSRC2:USER_SGPR: 2
; COMPUTE_PGM_RSRC2:TRAP_HANDLER: 0
; COMPUTE_PGM_RSRC2:TGID_X_EN: 1
; COMPUTE_PGM_RSRC2:TGID_Y_EN: 0
; COMPUTE_PGM_RSRC2:TGID_Z_EN: 0
; COMPUTE_PGM_RSRC2:TIDIG_COMP_CNT: 0
; COMPUTE_PGM_RSRC3_GFX90A:ACCUM_OFFSET: 15
; COMPUTE_PGM_RSRC3_GFX90A:TG_SPLIT: 0
	.section	.text._ZN7rocprim17ROCPRIM_400000_NS6detail17trampoline_kernelINS0_14default_configENS1_27scan_by_key_config_selectorIiiEEZZNS1_16scan_by_key_implILNS1_25lookback_scan_determinismE0ELb0ES3_PKiN6hipcub16HIPCUB_304000_NS21ConstantInputIteratorIilEEPiiNSB_3SumENSB_8EqualityEiEE10hipError_tPvRmT2_T3_T4_T5_mT6_T7_P12ihipStream_tbENKUlT_T0_E_clISt17integral_constantIbLb0EESX_EEDaSS_ST_EUlSS_E_NS1_11comp_targetILNS1_3genE10ELNS1_11target_archE1201ELNS1_3gpuE5ELNS1_3repE0EEENS1_30default_config_static_selectorELNS0_4arch9wavefront6targetE1EEEvT1_,"axG",@progbits,_ZN7rocprim17ROCPRIM_400000_NS6detail17trampoline_kernelINS0_14default_configENS1_27scan_by_key_config_selectorIiiEEZZNS1_16scan_by_key_implILNS1_25lookback_scan_determinismE0ELb0ES3_PKiN6hipcub16HIPCUB_304000_NS21ConstantInputIteratorIilEEPiiNSB_3SumENSB_8EqualityEiEE10hipError_tPvRmT2_T3_T4_T5_mT6_T7_P12ihipStream_tbENKUlT_T0_E_clISt17integral_constantIbLb0EESX_EEDaSS_ST_EUlSS_E_NS1_11comp_targetILNS1_3genE10ELNS1_11target_archE1201ELNS1_3gpuE5ELNS1_3repE0EEENS1_30default_config_static_selectorELNS0_4arch9wavefront6targetE1EEEvT1_,comdat
	.protected	_ZN7rocprim17ROCPRIM_400000_NS6detail17trampoline_kernelINS0_14default_configENS1_27scan_by_key_config_selectorIiiEEZZNS1_16scan_by_key_implILNS1_25lookback_scan_determinismE0ELb0ES3_PKiN6hipcub16HIPCUB_304000_NS21ConstantInputIteratorIilEEPiiNSB_3SumENSB_8EqualityEiEE10hipError_tPvRmT2_T3_T4_T5_mT6_T7_P12ihipStream_tbENKUlT_T0_E_clISt17integral_constantIbLb0EESX_EEDaSS_ST_EUlSS_E_NS1_11comp_targetILNS1_3genE10ELNS1_11target_archE1201ELNS1_3gpuE5ELNS1_3repE0EEENS1_30default_config_static_selectorELNS0_4arch9wavefront6targetE1EEEvT1_ ; -- Begin function _ZN7rocprim17ROCPRIM_400000_NS6detail17trampoline_kernelINS0_14default_configENS1_27scan_by_key_config_selectorIiiEEZZNS1_16scan_by_key_implILNS1_25lookback_scan_determinismE0ELb0ES3_PKiN6hipcub16HIPCUB_304000_NS21ConstantInputIteratorIilEEPiiNSB_3SumENSB_8EqualityEiEE10hipError_tPvRmT2_T3_T4_T5_mT6_T7_P12ihipStream_tbENKUlT_T0_E_clISt17integral_constantIbLb0EESX_EEDaSS_ST_EUlSS_E_NS1_11comp_targetILNS1_3genE10ELNS1_11target_archE1201ELNS1_3gpuE5ELNS1_3repE0EEENS1_30default_config_static_selectorELNS0_4arch9wavefront6targetE1EEEvT1_
	.globl	_ZN7rocprim17ROCPRIM_400000_NS6detail17trampoline_kernelINS0_14default_configENS1_27scan_by_key_config_selectorIiiEEZZNS1_16scan_by_key_implILNS1_25lookback_scan_determinismE0ELb0ES3_PKiN6hipcub16HIPCUB_304000_NS21ConstantInputIteratorIilEEPiiNSB_3SumENSB_8EqualityEiEE10hipError_tPvRmT2_T3_T4_T5_mT6_T7_P12ihipStream_tbENKUlT_T0_E_clISt17integral_constantIbLb0EESX_EEDaSS_ST_EUlSS_E_NS1_11comp_targetILNS1_3genE10ELNS1_11target_archE1201ELNS1_3gpuE5ELNS1_3repE0EEENS1_30default_config_static_selectorELNS0_4arch9wavefront6targetE1EEEvT1_
	.p2align	8
	.type	_ZN7rocprim17ROCPRIM_400000_NS6detail17trampoline_kernelINS0_14default_configENS1_27scan_by_key_config_selectorIiiEEZZNS1_16scan_by_key_implILNS1_25lookback_scan_determinismE0ELb0ES3_PKiN6hipcub16HIPCUB_304000_NS21ConstantInputIteratorIilEEPiiNSB_3SumENSB_8EqualityEiEE10hipError_tPvRmT2_T3_T4_T5_mT6_T7_P12ihipStream_tbENKUlT_T0_E_clISt17integral_constantIbLb0EESX_EEDaSS_ST_EUlSS_E_NS1_11comp_targetILNS1_3genE10ELNS1_11target_archE1201ELNS1_3gpuE5ELNS1_3repE0EEENS1_30default_config_static_selectorELNS0_4arch9wavefront6targetE1EEEvT1_,@function
_ZN7rocprim17ROCPRIM_400000_NS6detail17trampoline_kernelINS0_14default_configENS1_27scan_by_key_config_selectorIiiEEZZNS1_16scan_by_key_implILNS1_25lookback_scan_determinismE0ELb0ES3_PKiN6hipcub16HIPCUB_304000_NS21ConstantInputIteratorIilEEPiiNSB_3SumENSB_8EqualityEiEE10hipError_tPvRmT2_T3_T4_T5_mT6_T7_P12ihipStream_tbENKUlT_T0_E_clISt17integral_constantIbLb0EESX_EEDaSS_ST_EUlSS_E_NS1_11comp_targetILNS1_3genE10ELNS1_11target_archE1201ELNS1_3gpuE5ELNS1_3repE0EEENS1_30default_config_static_selectorELNS0_4arch9wavefront6targetE1EEEvT1_: ; @_ZN7rocprim17ROCPRIM_400000_NS6detail17trampoline_kernelINS0_14default_configENS1_27scan_by_key_config_selectorIiiEEZZNS1_16scan_by_key_implILNS1_25lookback_scan_determinismE0ELb0ES3_PKiN6hipcub16HIPCUB_304000_NS21ConstantInputIteratorIilEEPiiNSB_3SumENSB_8EqualityEiEE10hipError_tPvRmT2_T3_T4_T5_mT6_T7_P12ihipStream_tbENKUlT_T0_E_clISt17integral_constantIbLb0EESX_EEDaSS_ST_EUlSS_E_NS1_11comp_targetILNS1_3genE10ELNS1_11target_archE1201ELNS1_3gpuE5ELNS1_3repE0EEENS1_30default_config_static_selectorELNS0_4arch9wavefront6targetE1EEEvT1_
; %bb.0:
	.section	.rodata,"a",@progbits
	.p2align	6, 0x0
	.amdhsa_kernel _ZN7rocprim17ROCPRIM_400000_NS6detail17trampoline_kernelINS0_14default_configENS1_27scan_by_key_config_selectorIiiEEZZNS1_16scan_by_key_implILNS1_25lookback_scan_determinismE0ELb0ES3_PKiN6hipcub16HIPCUB_304000_NS21ConstantInputIteratorIilEEPiiNSB_3SumENSB_8EqualityEiEE10hipError_tPvRmT2_T3_T4_T5_mT6_T7_P12ihipStream_tbENKUlT_T0_E_clISt17integral_constantIbLb0EESX_EEDaSS_ST_EUlSS_E_NS1_11comp_targetILNS1_3genE10ELNS1_11target_archE1201ELNS1_3gpuE5ELNS1_3repE0EEENS1_30default_config_static_selectorELNS0_4arch9wavefront6targetE1EEEvT1_
		.amdhsa_group_segment_fixed_size 0
		.amdhsa_private_segment_fixed_size 0
		.amdhsa_kernarg_size 120
		.amdhsa_user_sgpr_count 2
		.amdhsa_user_sgpr_dispatch_ptr 0
		.amdhsa_user_sgpr_queue_ptr 0
		.amdhsa_user_sgpr_kernarg_segment_ptr 1
		.amdhsa_user_sgpr_dispatch_id 0
		.amdhsa_user_sgpr_kernarg_preload_length 0
		.amdhsa_user_sgpr_kernarg_preload_offset 0
		.amdhsa_user_sgpr_private_segment_size 0
		.amdhsa_uses_dynamic_stack 0
		.amdhsa_enable_private_segment 0
		.amdhsa_system_sgpr_workgroup_id_x 1
		.amdhsa_system_sgpr_workgroup_id_y 0
		.amdhsa_system_sgpr_workgroup_id_z 0
		.amdhsa_system_sgpr_workgroup_info 0
		.amdhsa_system_vgpr_workitem_id 0
		.amdhsa_next_free_vgpr 1
		.amdhsa_next_free_sgpr 0
		.amdhsa_accum_offset 4
		.amdhsa_reserve_vcc 0
		.amdhsa_float_round_mode_32 0
		.amdhsa_float_round_mode_16_64 0
		.amdhsa_float_denorm_mode_32 3
		.amdhsa_float_denorm_mode_16_64 3
		.amdhsa_dx10_clamp 1
		.amdhsa_ieee_mode 1
		.amdhsa_fp16_overflow 0
		.amdhsa_tg_split 0
		.amdhsa_exception_fp_ieee_invalid_op 0
		.amdhsa_exception_fp_denorm_src 0
		.amdhsa_exception_fp_ieee_div_zero 0
		.amdhsa_exception_fp_ieee_overflow 0
		.amdhsa_exception_fp_ieee_underflow 0
		.amdhsa_exception_fp_ieee_inexact 0
		.amdhsa_exception_int_div_zero 0
	.end_amdhsa_kernel
	.section	.text._ZN7rocprim17ROCPRIM_400000_NS6detail17trampoline_kernelINS0_14default_configENS1_27scan_by_key_config_selectorIiiEEZZNS1_16scan_by_key_implILNS1_25lookback_scan_determinismE0ELb0ES3_PKiN6hipcub16HIPCUB_304000_NS21ConstantInputIteratorIilEEPiiNSB_3SumENSB_8EqualityEiEE10hipError_tPvRmT2_T3_T4_T5_mT6_T7_P12ihipStream_tbENKUlT_T0_E_clISt17integral_constantIbLb0EESX_EEDaSS_ST_EUlSS_E_NS1_11comp_targetILNS1_3genE10ELNS1_11target_archE1201ELNS1_3gpuE5ELNS1_3repE0EEENS1_30default_config_static_selectorELNS0_4arch9wavefront6targetE1EEEvT1_,"axG",@progbits,_ZN7rocprim17ROCPRIM_400000_NS6detail17trampoline_kernelINS0_14default_configENS1_27scan_by_key_config_selectorIiiEEZZNS1_16scan_by_key_implILNS1_25lookback_scan_determinismE0ELb0ES3_PKiN6hipcub16HIPCUB_304000_NS21ConstantInputIteratorIilEEPiiNSB_3SumENSB_8EqualityEiEE10hipError_tPvRmT2_T3_T4_T5_mT6_T7_P12ihipStream_tbENKUlT_T0_E_clISt17integral_constantIbLb0EESX_EEDaSS_ST_EUlSS_E_NS1_11comp_targetILNS1_3genE10ELNS1_11target_archE1201ELNS1_3gpuE5ELNS1_3repE0EEENS1_30default_config_static_selectorELNS0_4arch9wavefront6targetE1EEEvT1_,comdat
.Lfunc_end11:
	.size	_ZN7rocprim17ROCPRIM_400000_NS6detail17trampoline_kernelINS0_14default_configENS1_27scan_by_key_config_selectorIiiEEZZNS1_16scan_by_key_implILNS1_25lookback_scan_determinismE0ELb0ES3_PKiN6hipcub16HIPCUB_304000_NS21ConstantInputIteratorIilEEPiiNSB_3SumENSB_8EqualityEiEE10hipError_tPvRmT2_T3_T4_T5_mT6_T7_P12ihipStream_tbENKUlT_T0_E_clISt17integral_constantIbLb0EESX_EEDaSS_ST_EUlSS_E_NS1_11comp_targetILNS1_3genE10ELNS1_11target_archE1201ELNS1_3gpuE5ELNS1_3repE0EEENS1_30default_config_static_selectorELNS0_4arch9wavefront6targetE1EEEvT1_, .Lfunc_end11-_ZN7rocprim17ROCPRIM_400000_NS6detail17trampoline_kernelINS0_14default_configENS1_27scan_by_key_config_selectorIiiEEZZNS1_16scan_by_key_implILNS1_25lookback_scan_determinismE0ELb0ES3_PKiN6hipcub16HIPCUB_304000_NS21ConstantInputIteratorIilEEPiiNSB_3SumENSB_8EqualityEiEE10hipError_tPvRmT2_T3_T4_T5_mT6_T7_P12ihipStream_tbENKUlT_T0_E_clISt17integral_constantIbLb0EESX_EEDaSS_ST_EUlSS_E_NS1_11comp_targetILNS1_3genE10ELNS1_11target_archE1201ELNS1_3gpuE5ELNS1_3repE0EEENS1_30default_config_static_selectorELNS0_4arch9wavefront6targetE1EEEvT1_
                                        ; -- End function
	.set _ZN7rocprim17ROCPRIM_400000_NS6detail17trampoline_kernelINS0_14default_configENS1_27scan_by_key_config_selectorIiiEEZZNS1_16scan_by_key_implILNS1_25lookback_scan_determinismE0ELb0ES3_PKiN6hipcub16HIPCUB_304000_NS21ConstantInputIteratorIilEEPiiNSB_3SumENSB_8EqualityEiEE10hipError_tPvRmT2_T3_T4_T5_mT6_T7_P12ihipStream_tbENKUlT_T0_E_clISt17integral_constantIbLb0EESX_EEDaSS_ST_EUlSS_E_NS1_11comp_targetILNS1_3genE10ELNS1_11target_archE1201ELNS1_3gpuE5ELNS1_3repE0EEENS1_30default_config_static_selectorELNS0_4arch9wavefront6targetE1EEEvT1_.num_vgpr, 0
	.set _ZN7rocprim17ROCPRIM_400000_NS6detail17trampoline_kernelINS0_14default_configENS1_27scan_by_key_config_selectorIiiEEZZNS1_16scan_by_key_implILNS1_25lookback_scan_determinismE0ELb0ES3_PKiN6hipcub16HIPCUB_304000_NS21ConstantInputIteratorIilEEPiiNSB_3SumENSB_8EqualityEiEE10hipError_tPvRmT2_T3_T4_T5_mT6_T7_P12ihipStream_tbENKUlT_T0_E_clISt17integral_constantIbLb0EESX_EEDaSS_ST_EUlSS_E_NS1_11comp_targetILNS1_3genE10ELNS1_11target_archE1201ELNS1_3gpuE5ELNS1_3repE0EEENS1_30default_config_static_selectorELNS0_4arch9wavefront6targetE1EEEvT1_.num_agpr, 0
	.set _ZN7rocprim17ROCPRIM_400000_NS6detail17trampoline_kernelINS0_14default_configENS1_27scan_by_key_config_selectorIiiEEZZNS1_16scan_by_key_implILNS1_25lookback_scan_determinismE0ELb0ES3_PKiN6hipcub16HIPCUB_304000_NS21ConstantInputIteratorIilEEPiiNSB_3SumENSB_8EqualityEiEE10hipError_tPvRmT2_T3_T4_T5_mT6_T7_P12ihipStream_tbENKUlT_T0_E_clISt17integral_constantIbLb0EESX_EEDaSS_ST_EUlSS_E_NS1_11comp_targetILNS1_3genE10ELNS1_11target_archE1201ELNS1_3gpuE5ELNS1_3repE0EEENS1_30default_config_static_selectorELNS0_4arch9wavefront6targetE1EEEvT1_.numbered_sgpr, 0
	.set _ZN7rocprim17ROCPRIM_400000_NS6detail17trampoline_kernelINS0_14default_configENS1_27scan_by_key_config_selectorIiiEEZZNS1_16scan_by_key_implILNS1_25lookback_scan_determinismE0ELb0ES3_PKiN6hipcub16HIPCUB_304000_NS21ConstantInputIteratorIilEEPiiNSB_3SumENSB_8EqualityEiEE10hipError_tPvRmT2_T3_T4_T5_mT6_T7_P12ihipStream_tbENKUlT_T0_E_clISt17integral_constantIbLb0EESX_EEDaSS_ST_EUlSS_E_NS1_11comp_targetILNS1_3genE10ELNS1_11target_archE1201ELNS1_3gpuE5ELNS1_3repE0EEENS1_30default_config_static_selectorELNS0_4arch9wavefront6targetE1EEEvT1_.num_named_barrier, 0
	.set _ZN7rocprim17ROCPRIM_400000_NS6detail17trampoline_kernelINS0_14default_configENS1_27scan_by_key_config_selectorIiiEEZZNS1_16scan_by_key_implILNS1_25lookback_scan_determinismE0ELb0ES3_PKiN6hipcub16HIPCUB_304000_NS21ConstantInputIteratorIilEEPiiNSB_3SumENSB_8EqualityEiEE10hipError_tPvRmT2_T3_T4_T5_mT6_T7_P12ihipStream_tbENKUlT_T0_E_clISt17integral_constantIbLb0EESX_EEDaSS_ST_EUlSS_E_NS1_11comp_targetILNS1_3genE10ELNS1_11target_archE1201ELNS1_3gpuE5ELNS1_3repE0EEENS1_30default_config_static_selectorELNS0_4arch9wavefront6targetE1EEEvT1_.private_seg_size, 0
	.set _ZN7rocprim17ROCPRIM_400000_NS6detail17trampoline_kernelINS0_14default_configENS1_27scan_by_key_config_selectorIiiEEZZNS1_16scan_by_key_implILNS1_25lookback_scan_determinismE0ELb0ES3_PKiN6hipcub16HIPCUB_304000_NS21ConstantInputIteratorIilEEPiiNSB_3SumENSB_8EqualityEiEE10hipError_tPvRmT2_T3_T4_T5_mT6_T7_P12ihipStream_tbENKUlT_T0_E_clISt17integral_constantIbLb0EESX_EEDaSS_ST_EUlSS_E_NS1_11comp_targetILNS1_3genE10ELNS1_11target_archE1201ELNS1_3gpuE5ELNS1_3repE0EEENS1_30default_config_static_selectorELNS0_4arch9wavefront6targetE1EEEvT1_.uses_vcc, 0
	.set _ZN7rocprim17ROCPRIM_400000_NS6detail17trampoline_kernelINS0_14default_configENS1_27scan_by_key_config_selectorIiiEEZZNS1_16scan_by_key_implILNS1_25lookback_scan_determinismE0ELb0ES3_PKiN6hipcub16HIPCUB_304000_NS21ConstantInputIteratorIilEEPiiNSB_3SumENSB_8EqualityEiEE10hipError_tPvRmT2_T3_T4_T5_mT6_T7_P12ihipStream_tbENKUlT_T0_E_clISt17integral_constantIbLb0EESX_EEDaSS_ST_EUlSS_E_NS1_11comp_targetILNS1_3genE10ELNS1_11target_archE1201ELNS1_3gpuE5ELNS1_3repE0EEENS1_30default_config_static_selectorELNS0_4arch9wavefront6targetE1EEEvT1_.uses_flat_scratch, 0
	.set _ZN7rocprim17ROCPRIM_400000_NS6detail17trampoline_kernelINS0_14default_configENS1_27scan_by_key_config_selectorIiiEEZZNS1_16scan_by_key_implILNS1_25lookback_scan_determinismE0ELb0ES3_PKiN6hipcub16HIPCUB_304000_NS21ConstantInputIteratorIilEEPiiNSB_3SumENSB_8EqualityEiEE10hipError_tPvRmT2_T3_T4_T5_mT6_T7_P12ihipStream_tbENKUlT_T0_E_clISt17integral_constantIbLb0EESX_EEDaSS_ST_EUlSS_E_NS1_11comp_targetILNS1_3genE10ELNS1_11target_archE1201ELNS1_3gpuE5ELNS1_3repE0EEENS1_30default_config_static_selectorELNS0_4arch9wavefront6targetE1EEEvT1_.has_dyn_sized_stack, 0
	.set _ZN7rocprim17ROCPRIM_400000_NS6detail17trampoline_kernelINS0_14default_configENS1_27scan_by_key_config_selectorIiiEEZZNS1_16scan_by_key_implILNS1_25lookback_scan_determinismE0ELb0ES3_PKiN6hipcub16HIPCUB_304000_NS21ConstantInputIteratorIilEEPiiNSB_3SumENSB_8EqualityEiEE10hipError_tPvRmT2_T3_T4_T5_mT6_T7_P12ihipStream_tbENKUlT_T0_E_clISt17integral_constantIbLb0EESX_EEDaSS_ST_EUlSS_E_NS1_11comp_targetILNS1_3genE10ELNS1_11target_archE1201ELNS1_3gpuE5ELNS1_3repE0EEENS1_30default_config_static_selectorELNS0_4arch9wavefront6targetE1EEEvT1_.has_recursion, 0
	.set _ZN7rocprim17ROCPRIM_400000_NS6detail17trampoline_kernelINS0_14default_configENS1_27scan_by_key_config_selectorIiiEEZZNS1_16scan_by_key_implILNS1_25lookback_scan_determinismE0ELb0ES3_PKiN6hipcub16HIPCUB_304000_NS21ConstantInputIteratorIilEEPiiNSB_3SumENSB_8EqualityEiEE10hipError_tPvRmT2_T3_T4_T5_mT6_T7_P12ihipStream_tbENKUlT_T0_E_clISt17integral_constantIbLb0EESX_EEDaSS_ST_EUlSS_E_NS1_11comp_targetILNS1_3genE10ELNS1_11target_archE1201ELNS1_3gpuE5ELNS1_3repE0EEENS1_30default_config_static_selectorELNS0_4arch9wavefront6targetE1EEEvT1_.has_indirect_call, 0
	.section	.AMDGPU.csdata,"",@progbits
; Kernel info:
; codeLenInByte = 0
; TotalNumSgprs: 6
; NumVgprs: 0
; NumAgprs: 0
; TotalNumVgprs: 0
; ScratchSize: 0
; MemoryBound: 0
; FloatMode: 240
; IeeeMode: 1
; LDSByteSize: 0 bytes/workgroup (compile time only)
; SGPRBlocks: 0
; VGPRBlocks: 0
; NumSGPRsForWavesPerEU: 6
; NumVGPRsForWavesPerEU: 1
; AccumOffset: 4
; Occupancy: 8
; WaveLimiterHint : 0
; COMPUTE_PGM_RSRC2:SCRATCH_EN: 0
; COMPUTE_PGM_RSRC2:USER_SGPR: 2
; COMPUTE_PGM_RSRC2:TRAP_HANDLER: 0
; COMPUTE_PGM_RSRC2:TGID_X_EN: 1
; COMPUTE_PGM_RSRC2:TGID_Y_EN: 0
; COMPUTE_PGM_RSRC2:TGID_Z_EN: 0
; COMPUTE_PGM_RSRC2:TIDIG_COMP_CNT: 0
; COMPUTE_PGM_RSRC3_GFX90A:ACCUM_OFFSET: 0
; COMPUTE_PGM_RSRC3_GFX90A:TG_SPLIT: 0
	.section	.text._ZN7rocprim17ROCPRIM_400000_NS6detail17trampoline_kernelINS0_14default_configENS1_27scan_by_key_config_selectorIiiEEZZNS1_16scan_by_key_implILNS1_25lookback_scan_determinismE0ELb0ES3_PKiN6hipcub16HIPCUB_304000_NS21ConstantInputIteratorIilEEPiiNSB_3SumENSB_8EqualityEiEE10hipError_tPvRmT2_T3_T4_T5_mT6_T7_P12ihipStream_tbENKUlT_T0_E_clISt17integral_constantIbLb0EESX_EEDaSS_ST_EUlSS_E_NS1_11comp_targetILNS1_3genE5ELNS1_11target_archE942ELNS1_3gpuE9ELNS1_3repE0EEENS1_30default_config_static_selectorELNS0_4arch9wavefront6targetE1EEEvT1_,"axG",@progbits,_ZN7rocprim17ROCPRIM_400000_NS6detail17trampoline_kernelINS0_14default_configENS1_27scan_by_key_config_selectorIiiEEZZNS1_16scan_by_key_implILNS1_25lookback_scan_determinismE0ELb0ES3_PKiN6hipcub16HIPCUB_304000_NS21ConstantInputIteratorIilEEPiiNSB_3SumENSB_8EqualityEiEE10hipError_tPvRmT2_T3_T4_T5_mT6_T7_P12ihipStream_tbENKUlT_T0_E_clISt17integral_constantIbLb0EESX_EEDaSS_ST_EUlSS_E_NS1_11comp_targetILNS1_3genE5ELNS1_11target_archE942ELNS1_3gpuE9ELNS1_3repE0EEENS1_30default_config_static_selectorELNS0_4arch9wavefront6targetE1EEEvT1_,comdat
	.protected	_ZN7rocprim17ROCPRIM_400000_NS6detail17trampoline_kernelINS0_14default_configENS1_27scan_by_key_config_selectorIiiEEZZNS1_16scan_by_key_implILNS1_25lookback_scan_determinismE0ELb0ES3_PKiN6hipcub16HIPCUB_304000_NS21ConstantInputIteratorIilEEPiiNSB_3SumENSB_8EqualityEiEE10hipError_tPvRmT2_T3_T4_T5_mT6_T7_P12ihipStream_tbENKUlT_T0_E_clISt17integral_constantIbLb0EESX_EEDaSS_ST_EUlSS_E_NS1_11comp_targetILNS1_3genE5ELNS1_11target_archE942ELNS1_3gpuE9ELNS1_3repE0EEENS1_30default_config_static_selectorELNS0_4arch9wavefront6targetE1EEEvT1_ ; -- Begin function _ZN7rocprim17ROCPRIM_400000_NS6detail17trampoline_kernelINS0_14default_configENS1_27scan_by_key_config_selectorIiiEEZZNS1_16scan_by_key_implILNS1_25lookback_scan_determinismE0ELb0ES3_PKiN6hipcub16HIPCUB_304000_NS21ConstantInputIteratorIilEEPiiNSB_3SumENSB_8EqualityEiEE10hipError_tPvRmT2_T3_T4_T5_mT6_T7_P12ihipStream_tbENKUlT_T0_E_clISt17integral_constantIbLb0EESX_EEDaSS_ST_EUlSS_E_NS1_11comp_targetILNS1_3genE5ELNS1_11target_archE942ELNS1_3gpuE9ELNS1_3repE0EEENS1_30default_config_static_selectorELNS0_4arch9wavefront6targetE1EEEvT1_
	.globl	_ZN7rocprim17ROCPRIM_400000_NS6detail17trampoline_kernelINS0_14default_configENS1_27scan_by_key_config_selectorIiiEEZZNS1_16scan_by_key_implILNS1_25lookback_scan_determinismE0ELb0ES3_PKiN6hipcub16HIPCUB_304000_NS21ConstantInputIteratorIilEEPiiNSB_3SumENSB_8EqualityEiEE10hipError_tPvRmT2_T3_T4_T5_mT6_T7_P12ihipStream_tbENKUlT_T0_E_clISt17integral_constantIbLb0EESX_EEDaSS_ST_EUlSS_E_NS1_11comp_targetILNS1_3genE5ELNS1_11target_archE942ELNS1_3gpuE9ELNS1_3repE0EEENS1_30default_config_static_selectorELNS0_4arch9wavefront6targetE1EEEvT1_
	.p2align	8
	.type	_ZN7rocprim17ROCPRIM_400000_NS6detail17trampoline_kernelINS0_14default_configENS1_27scan_by_key_config_selectorIiiEEZZNS1_16scan_by_key_implILNS1_25lookback_scan_determinismE0ELb0ES3_PKiN6hipcub16HIPCUB_304000_NS21ConstantInputIteratorIilEEPiiNSB_3SumENSB_8EqualityEiEE10hipError_tPvRmT2_T3_T4_T5_mT6_T7_P12ihipStream_tbENKUlT_T0_E_clISt17integral_constantIbLb0EESX_EEDaSS_ST_EUlSS_E_NS1_11comp_targetILNS1_3genE5ELNS1_11target_archE942ELNS1_3gpuE9ELNS1_3repE0EEENS1_30default_config_static_selectorELNS0_4arch9wavefront6targetE1EEEvT1_,@function
_ZN7rocprim17ROCPRIM_400000_NS6detail17trampoline_kernelINS0_14default_configENS1_27scan_by_key_config_selectorIiiEEZZNS1_16scan_by_key_implILNS1_25lookback_scan_determinismE0ELb0ES3_PKiN6hipcub16HIPCUB_304000_NS21ConstantInputIteratorIilEEPiiNSB_3SumENSB_8EqualityEiEE10hipError_tPvRmT2_T3_T4_T5_mT6_T7_P12ihipStream_tbENKUlT_T0_E_clISt17integral_constantIbLb0EESX_EEDaSS_ST_EUlSS_E_NS1_11comp_targetILNS1_3genE5ELNS1_11target_archE942ELNS1_3gpuE9ELNS1_3repE0EEENS1_30default_config_static_selectorELNS0_4arch9wavefront6targetE1EEEvT1_: ; @_ZN7rocprim17ROCPRIM_400000_NS6detail17trampoline_kernelINS0_14default_configENS1_27scan_by_key_config_selectorIiiEEZZNS1_16scan_by_key_implILNS1_25lookback_scan_determinismE0ELb0ES3_PKiN6hipcub16HIPCUB_304000_NS21ConstantInputIteratorIilEEPiiNSB_3SumENSB_8EqualityEiEE10hipError_tPvRmT2_T3_T4_T5_mT6_T7_P12ihipStream_tbENKUlT_T0_E_clISt17integral_constantIbLb0EESX_EEDaSS_ST_EUlSS_E_NS1_11comp_targetILNS1_3genE5ELNS1_11target_archE942ELNS1_3gpuE9ELNS1_3repE0EEENS1_30default_config_static_selectorELNS0_4arch9wavefront6targetE1EEEvT1_
; %bb.0:
	.section	.rodata,"a",@progbits
	.p2align	6, 0x0
	.amdhsa_kernel _ZN7rocprim17ROCPRIM_400000_NS6detail17trampoline_kernelINS0_14default_configENS1_27scan_by_key_config_selectorIiiEEZZNS1_16scan_by_key_implILNS1_25lookback_scan_determinismE0ELb0ES3_PKiN6hipcub16HIPCUB_304000_NS21ConstantInputIteratorIilEEPiiNSB_3SumENSB_8EqualityEiEE10hipError_tPvRmT2_T3_T4_T5_mT6_T7_P12ihipStream_tbENKUlT_T0_E_clISt17integral_constantIbLb0EESX_EEDaSS_ST_EUlSS_E_NS1_11comp_targetILNS1_3genE5ELNS1_11target_archE942ELNS1_3gpuE9ELNS1_3repE0EEENS1_30default_config_static_selectorELNS0_4arch9wavefront6targetE1EEEvT1_
		.amdhsa_group_segment_fixed_size 0
		.amdhsa_private_segment_fixed_size 0
		.amdhsa_kernarg_size 120
		.amdhsa_user_sgpr_count 2
		.amdhsa_user_sgpr_dispatch_ptr 0
		.amdhsa_user_sgpr_queue_ptr 0
		.amdhsa_user_sgpr_kernarg_segment_ptr 1
		.amdhsa_user_sgpr_dispatch_id 0
		.amdhsa_user_sgpr_kernarg_preload_length 0
		.amdhsa_user_sgpr_kernarg_preload_offset 0
		.amdhsa_user_sgpr_private_segment_size 0
		.amdhsa_uses_dynamic_stack 0
		.amdhsa_enable_private_segment 0
		.amdhsa_system_sgpr_workgroup_id_x 1
		.amdhsa_system_sgpr_workgroup_id_y 0
		.amdhsa_system_sgpr_workgroup_id_z 0
		.amdhsa_system_sgpr_workgroup_info 0
		.amdhsa_system_vgpr_workitem_id 0
		.amdhsa_next_free_vgpr 1
		.amdhsa_next_free_sgpr 0
		.amdhsa_accum_offset 4
		.amdhsa_reserve_vcc 0
		.amdhsa_float_round_mode_32 0
		.amdhsa_float_round_mode_16_64 0
		.amdhsa_float_denorm_mode_32 3
		.amdhsa_float_denorm_mode_16_64 3
		.amdhsa_dx10_clamp 1
		.amdhsa_ieee_mode 1
		.amdhsa_fp16_overflow 0
		.amdhsa_tg_split 0
		.amdhsa_exception_fp_ieee_invalid_op 0
		.amdhsa_exception_fp_denorm_src 0
		.amdhsa_exception_fp_ieee_div_zero 0
		.amdhsa_exception_fp_ieee_overflow 0
		.amdhsa_exception_fp_ieee_underflow 0
		.amdhsa_exception_fp_ieee_inexact 0
		.amdhsa_exception_int_div_zero 0
	.end_amdhsa_kernel
	.section	.text._ZN7rocprim17ROCPRIM_400000_NS6detail17trampoline_kernelINS0_14default_configENS1_27scan_by_key_config_selectorIiiEEZZNS1_16scan_by_key_implILNS1_25lookback_scan_determinismE0ELb0ES3_PKiN6hipcub16HIPCUB_304000_NS21ConstantInputIteratorIilEEPiiNSB_3SumENSB_8EqualityEiEE10hipError_tPvRmT2_T3_T4_T5_mT6_T7_P12ihipStream_tbENKUlT_T0_E_clISt17integral_constantIbLb0EESX_EEDaSS_ST_EUlSS_E_NS1_11comp_targetILNS1_3genE5ELNS1_11target_archE942ELNS1_3gpuE9ELNS1_3repE0EEENS1_30default_config_static_selectorELNS0_4arch9wavefront6targetE1EEEvT1_,"axG",@progbits,_ZN7rocprim17ROCPRIM_400000_NS6detail17trampoline_kernelINS0_14default_configENS1_27scan_by_key_config_selectorIiiEEZZNS1_16scan_by_key_implILNS1_25lookback_scan_determinismE0ELb0ES3_PKiN6hipcub16HIPCUB_304000_NS21ConstantInputIteratorIilEEPiiNSB_3SumENSB_8EqualityEiEE10hipError_tPvRmT2_T3_T4_T5_mT6_T7_P12ihipStream_tbENKUlT_T0_E_clISt17integral_constantIbLb0EESX_EEDaSS_ST_EUlSS_E_NS1_11comp_targetILNS1_3genE5ELNS1_11target_archE942ELNS1_3gpuE9ELNS1_3repE0EEENS1_30default_config_static_selectorELNS0_4arch9wavefront6targetE1EEEvT1_,comdat
.Lfunc_end12:
	.size	_ZN7rocprim17ROCPRIM_400000_NS6detail17trampoline_kernelINS0_14default_configENS1_27scan_by_key_config_selectorIiiEEZZNS1_16scan_by_key_implILNS1_25lookback_scan_determinismE0ELb0ES3_PKiN6hipcub16HIPCUB_304000_NS21ConstantInputIteratorIilEEPiiNSB_3SumENSB_8EqualityEiEE10hipError_tPvRmT2_T3_T4_T5_mT6_T7_P12ihipStream_tbENKUlT_T0_E_clISt17integral_constantIbLb0EESX_EEDaSS_ST_EUlSS_E_NS1_11comp_targetILNS1_3genE5ELNS1_11target_archE942ELNS1_3gpuE9ELNS1_3repE0EEENS1_30default_config_static_selectorELNS0_4arch9wavefront6targetE1EEEvT1_, .Lfunc_end12-_ZN7rocprim17ROCPRIM_400000_NS6detail17trampoline_kernelINS0_14default_configENS1_27scan_by_key_config_selectorIiiEEZZNS1_16scan_by_key_implILNS1_25lookback_scan_determinismE0ELb0ES3_PKiN6hipcub16HIPCUB_304000_NS21ConstantInputIteratorIilEEPiiNSB_3SumENSB_8EqualityEiEE10hipError_tPvRmT2_T3_T4_T5_mT6_T7_P12ihipStream_tbENKUlT_T0_E_clISt17integral_constantIbLb0EESX_EEDaSS_ST_EUlSS_E_NS1_11comp_targetILNS1_3genE5ELNS1_11target_archE942ELNS1_3gpuE9ELNS1_3repE0EEENS1_30default_config_static_selectorELNS0_4arch9wavefront6targetE1EEEvT1_
                                        ; -- End function
	.set _ZN7rocprim17ROCPRIM_400000_NS6detail17trampoline_kernelINS0_14default_configENS1_27scan_by_key_config_selectorIiiEEZZNS1_16scan_by_key_implILNS1_25lookback_scan_determinismE0ELb0ES3_PKiN6hipcub16HIPCUB_304000_NS21ConstantInputIteratorIilEEPiiNSB_3SumENSB_8EqualityEiEE10hipError_tPvRmT2_T3_T4_T5_mT6_T7_P12ihipStream_tbENKUlT_T0_E_clISt17integral_constantIbLb0EESX_EEDaSS_ST_EUlSS_E_NS1_11comp_targetILNS1_3genE5ELNS1_11target_archE942ELNS1_3gpuE9ELNS1_3repE0EEENS1_30default_config_static_selectorELNS0_4arch9wavefront6targetE1EEEvT1_.num_vgpr, 0
	.set _ZN7rocprim17ROCPRIM_400000_NS6detail17trampoline_kernelINS0_14default_configENS1_27scan_by_key_config_selectorIiiEEZZNS1_16scan_by_key_implILNS1_25lookback_scan_determinismE0ELb0ES3_PKiN6hipcub16HIPCUB_304000_NS21ConstantInputIteratorIilEEPiiNSB_3SumENSB_8EqualityEiEE10hipError_tPvRmT2_T3_T4_T5_mT6_T7_P12ihipStream_tbENKUlT_T0_E_clISt17integral_constantIbLb0EESX_EEDaSS_ST_EUlSS_E_NS1_11comp_targetILNS1_3genE5ELNS1_11target_archE942ELNS1_3gpuE9ELNS1_3repE0EEENS1_30default_config_static_selectorELNS0_4arch9wavefront6targetE1EEEvT1_.num_agpr, 0
	.set _ZN7rocprim17ROCPRIM_400000_NS6detail17trampoline_kernelINS0_14default_configENS1_27scan_by_key_config_selectorIiiEEZZNS1_16scan_by_key_implILNS1_25lookback_scan_determinismE0ELb0ES3_PKiN6hipcub16HIPCUB_304000_NS21ConstantInputIteratorIilEEPiiNSB_3SumENSB_8EqualityEiEE10hipError_tPvRmT2_T3_T4_T5_mT6_T7_P12ihipStream_tbENKUlT_T0_E_clISt17integral_constantIbLb0EESX_EEDaSS_ST_EUlSS_E_NS1_11comp_targetILNS1_3genE5ELNS1_11target_archE942ELNS1_3gpuE9ELNS1_3repE0EEENS1_30default_config_static_selectorELNS0_4arch9wavefront6targetE1EEEvT1_.numbered_sgpr, 0
	.set _ZN7rocprim17ROCPRIM_400000_NS6detail17trampoline_kernelINS0_14default_configENS1_27scan_by_key_config_selectorIiiEEZZNS1_16scan_by_key_implILNS1_25lookback_scan_determinismE0ELb0ES3_PKiN6hipcub16HIPCUB_304000_NS21ConstantInputIteratorIilEEPiiNSB_3SumENSB_8EqualityEiEE10hipError_tPvRmT2_T3_T4_T5_mT6_T7_P12ihipStream_tbENKUlT_T0_E_clISt17integral_constantIbLb0EESX_EEDaSS_ST_EUlSS_E_NS1_11comp_targetILNS1_3genE5ELNS1_11target_archE942ELNS1_3gpuE9ELNS1_3repE0EEENS1_30default_config_static_selectorELNS0_4arch9wavefront6targetE1EEEvT1_.num_named_barrier, 0
	.set _ZN7rocprim17ROCPRIM_400000_NS6detail17trampoline_kernelINS0_14default_configENS1_27scan_by_key_config_selectorIiiEEZZNS1_16scan_by_key_implILNS1_25lookback_scan_determinismE0ELb0ES3_PKiN6hipcub16HIPCUB_304000_NS21ConstantInputIteratorIilEEPiiNSB_3SumENSB_8EqualityEiEE10hipError_tPvRmT2_T3_T4_T5_mT6_T7_P12ihipStream_tbENKUlT_T0_E_clISt17integral_constantIbLb0EESX_EEDaSS_ST_EUlSS_E_NS1_11comp_targetILNS1_3genE5ELNS1_11target_archE942ELNS1_3gpuE9ELNS1_3repE0EEENS1_30default_config_static_selectorELNS0_4arch9wavefront6targetE1EEEvT1_.private_seg_size, 0
	.set _ZN7rocprim17ROCPRIM_400000_NS6detail17trampoline_kernelINS0_14default_configENS1_27scan_by_key_config_selectorIiiEEZZNS1_16scan_by_key_implILNS1_25lookback_scan_determinismE0ELb0ES3_PKiN6hipcub16HIPCUB_304000_NS21ConstantInputIteratorIilEEPiiNSB_3SumENSB_8EqualityEiEE10hipError_tPvRmT2_T3_T4_T5_mT6_T7_P12ihipStream_tbENKUlT_T0_E_clISt17integral_constantIbLb0EESX_EEDaSS_ST_EUlSS_E_NS1_11comp_targetILNS1_3genE5ELNS1_11target_archE942ELNS1_3gpuE9ELNS1_3repE0EEENS1_30default_config_static_selectorELNS0_4arch9wavefront6targetE1EEEvT1_.uses_vcc, 0
	.set _ZN7rocprim17ROCPRIM_400000_NS6detail17trampoline_kernelINS0_14default_configENS1_27scan_by_key_config_selectorIiiEEZZNS1_16scan_by_key_implILNS1_25lookback_scan_determinismE0ELb0ES3_PKiN6hipcub16HIPCUB_304000_NS21ConstantInputIteratorIilEEPiiNSB_3SumENSB_8EqualityEiEE10hipError_tPvRmT2_T3_T4_T5_mT6_T7_P12ihipStream_tbENKUlT_T0_E_clISt17integral_constantIbLb0EESX_EEDaSS_ST_EUlSS_E_NS1_11comp_targetILNS1_3genE5ELNS1_11target_archE942ELNS1_3gpuE9ELNS1_3repE0EEENS1_30default_config_static_selectorELNS0_4arch9wavefront6targetE1EEEvT1_.uses_flat_scratch, 0
	.set _ZN7rocprim17ROCPRIM_400000_NS6detail17trampoline_kernelINS0_14default_configENS1_27scan_by_key_config_selectorIiiEEZZNS1_16scan_by_key_implILNS1_25lookback_scan_determinismE0ELb0ES3_PKiN6hipcub16HIPCUB_304000_NS21ConstantInputIteratorIilEEPiiNSB_3SumENSB_8EqualityEiEE10hipError_tPvRmT2_T3_T4_T5_mT6_T7_P12ihipStream_tbENKUlT_T0_E_clISt17integral_constantIbLb0EESX_EEDaSS_ST_EUlSS_E_NS1_11comp_targetILNS1_3genE5ELNS1_11target_archE942ELNS1_3gpuE9ELNS1_3repE0EEENS1_30default_config_static_selectorELNS0_4arch9wavefront6targetE1EEEvT1_.has_dyn_sized_stack, 0
	.set _ZN7rocprim17ROCPRIM_400000_NS6detail17trampoline_kernelINS0_14default_configENS1_27scan_by_key_config_selectorIiiEEZZNS1_16scan_by_key_implILNS1_25lookback_scan_determinismE0ELb0ES3_PKiN6hipcub16HIPCUB_304000_NS21ConstantInputIteratorIilEEPiiNSB_3SumENSB_8EqualityEiEE10hipError_tPvRmT2_T3_T4_T5_mT6_T7_P12ihipStream_tbENKUlT_T0_E_clISt17integral_constantIbLb0EESX_EEDaSS_ST_EUlSS_E_NS1_11comp_targetILNS1_3genE5ELNS1_11target_archE942ELNS1_3gpuE9ELNS1_3repE0EEENS1_30default_config_static_selectorELNS0_4arch9wavefront6targetE1EEEvT1_.has_recursion, 0
	.set _ZN7rocprim17ROCPRIM_400000_NS6detail17trampoline_kernelINS0_14default_configENS1_27scan_by_key_config_selectorIiiEEZZNS1_16scan_by_key_implILNS1_25lookback_scan_determinismE0ELb0ES3_PKiN6hipcub16HIPCUB_304000_NS21ConstantInputIteratorIilEEPiiNSB_3SumENSB_8EqualityEiEE10hipError_tPvRmT2_T3_T4_T5_mT6_T7_P12ihipStream_tbENKUlT_T0_E_clISt17integral_constantIbLb0EESX_EEDaSS_ST_EUlSS_E_NS1_11comp_targetILNS1_3genE5ELNS1_11target_archE942ELNS1_3gpuE9ELNS1_3repE0EEENS1_30default_config_static_selectorELNS0_4arch9wavefront6targetE1EEEvT1_.has_indirect_call, 0
	.section	.AMDGPU.csdata,"",@progbits
; Kernel info:
; codeLenInByte = 0
; TotalNumSgprs: 6
; NumVgprs: 0
; NumAgprs: 0
; TotalNumVgprs: 0
; ScratchSize: 0
; MemoryBound: 0
; FloatMode: 240
; IeeeMode: 1
; LDSByteSize: 0 bytes/workgroup (compile time only)
; SGPRBlocks: 0
; VGPRBlocks: 0
; NumSGPRsForWavesPerEU: 6
; NumVGPRsForWavesPerEU: 1
; AccumOffset: 4
; Occupancy: 8
; WaveLimiterHint : 0
; COMPUTE_PGM_RSRC2:SCRATCH_EN: 0
; COMPUTE_PGM_RSRC2:USER_SGPR: 2
; COMPUTE_PGM_RSRC2:TRAP_HANDLER: 0
; COMPUTE_PGM_RSRC2:TGID_X_EN: 1
; COMPUTE_PGM_RSRC2:TGID_Y_EN: 0
; COMPUTE_PGM_RSRC2:TGID_Z_EN: 0
; COMPUTE_PGM_RSRC2:TIDIG_COMP_CNT: 0
; COMPUTE_PGM_RSRC3_GFX90A:ACCUM_OFFSET: 0
; COMPUTE_PGM_RSRC3_GFX90A:TG_SPLIT: 0
	.section	.text._ZN7rocprim17ROCPRIM_400000_NS6detail17trampoline_kernelINS0_14default_configENS1_27scan_by_key_config_selectorIiiEEZZNS1_16scan_by_key_implILNS1_25lookback_scan_determinismE0ELb0ES3_PKiN6hipcub16HIPCUB_304000_NS21ConstantInputIteratorIilEEPiiNSB_3SumENSB_8EqualityEiEE10hipError_tPvRmT2_T3_T4_T5_mT6_T7_P12ihipStream_tbENKUlT_T0_E_clISt17integral_constantIbLb0EESX_EEDaSS_ST_EUlSS_E_NS1_11comp_targetILNS1_3genE4ELNS1_11target_archE910ELNS1_3gpuE8ELNS1_3repE0EEENS1_30default_config_static_selectorELNS0_4arch9wavefront6targetE1EEEvT1_,"axG",@progbits,_ZN7rocprim17ROCPRIM_400000_NS6detail17trampoline_kernelINS0_14default_configENS1_27scan_by_key_config_selectorIiiEEZZNS1_16scan_by_key_implILNS1_25lookback_scan_determinismE0ELb0ES3_PKiN6hipcub16HIPCUB_304000_NS21ConstantInputIteratorIilEEPiiNSB_3SumENSB_8EqualityEiEE10hipError_tPvRmT2_T3_T4_T5_mT6_T7_P12ihipStream_tbENKUlT_T0_E_clISt17integral_constantIbLb0EESX_EEDaSS_ST_EUlSS_E_NS1_11comp_targetILNS1_3genE4ELNS1_11target_archE910ELNS1_3gpuE8ELNS1_3repE0EEENS1_30default_config_static_selectorELNS0_4arch9wavefront6targetE1EEEvT1_,comdat
	.protected	_ZN7rocprim17ROCPRIM_400000_NS6detail17trampoline_kernelINS0_14default_configENS1_27scan_by_key_config_selectorIiiEEZZNS1_16scan_by_key_implILNS1_25lookback_scan_determinismE0ELb0ES3_PKiN6hipcub16HIPCUB_304000_NS21ConstantInputIteratorIilEEPiiNSB_3SumENSB_8EqualityEiEE10hipError_tPvRmT2_T3_T4_T5_mT6_T7_P12ihipStream_tbENKUlT_T0_E_clISt17integral_constantIbLb0EESX_EEDaSS_ST_EUlSS_E_NS1_11comp_targetILNS1_3genE4ELNS1_11target_archE910ELNS1_3gpuE8ELNS1_3repE0EEENS1_30default_config_static_selectorELNS0_4arch9wavefront6targetE1EEEvT1_ ; -- Begin function _ZN7rocprim17ROCPRIM_400000_NS6detail17trampoline_kernelINS0_14default_configENS1_27scan_by_key_config_selectorIiiEEZZNS1_16scan_by_key_implILNS1_25lookback_scan_determinismE0ELb0ES3_PKiN6hipcub16HIPCUB_304000_NS21ConstantInputIteratorIilEEPiiNSB_3SumENSB_8EqualityEiEE10hipError_tPvRmT2_T3_T4_T5_mT6_T7_P12ihipStream_tbENKUlT_T0_E_clISt17integral_constantIbLb0EESX_EEDaSS_ST_EUlSS_E_NS1_11comp_targetILNS1_3genE4ELNS1_11target_archE910ELNS1_3gpuE8ELNS1_3repE0EEENS1_30default_config_static_selectorELNS0_4arch9wavefront6targetE1EEEvT1_
	.globl	_ZN7rocprim17ROCPRIM_400000_NS6detail17trampoline_kernelINS0_14default_configENS1_27scan_by_key_config_selectorIiiEEZZNS1_16scan_by_key_implILNS1_25lookback_scan_determinismE0ELb0ES3_PKiN6hipcub16HIPCUB_304000_NS21ConstantInputIteratorIilEEPiiNSB_3SumENSB_8EqualityEiEE10hipError_tPvRmT2_T3_T4_T5_mT6_T7_P12ihipStream_tbENKUlT_T0_E_clISt17integral_constantIbLb0EESX_EEDaSS_ST_EUlSS_E_NS1_11comp_targetILNS1_3genE4ELNS1_11target_archE910ELNS1_3gpuE8ELNS1_3repE0EEENS1_30default_config_static_selectorELNS0_4arch9wavefront6targetE1EEEvT1_
	.p2align	8
	.type	_ZN7rocprim17ROCPRIM_400000_NS6detail17trampoline_kernelINS0_14default_configENS1_27scan_by_key_config_selectorIiiEEZZNS1_16scan_by_key_implILNS1_25lookback_scan_determinismE0ELb0ES3_PKiN6hipcub16HIPCUB_304000_NS21ConstantInputIteratorIilEEPiiNSB_3SumENSB_8EqualityEiEE10hipError_tPvRmT2_T3_T4_T5_mT6_T7_P12ihipStream_tbENKUlT_T0_E_clISt17integral_constantIbLb0EESX_EEDaSS_ST_EUlSS_E_NS1_11comp_targetILNS1_3genE4ELNS1_11target_archE910ELNS1_3gpuE8ELNS1_3repE0EEENS1_30default_config_static_selectorELNS0_4arch9wavefront6targetE1EEEvT1_,@function
_ZN7rocprim17ROCPRIM_400000_NS6detail17trampoline_kernelINS0_14default_configENS1_27scan_by_key_config_selectorIiiEEZZNS1_16scan_by_key_implILNS1_25lookback_scan_determinismE0ELb0ES3_PKiN6hipcub16HIPCUB_304000_NS21ConstantInputIteratorIilEEPiiNSB_3SumENSB_8EqualityEiEE10hipError_tPvRmT2_T3_T4_T5_mT6_T7_P12ihipStream_tbENKUlT_T0_E_clISt17integral_constantIbLb0EESX_EEDaSS_ST_EUlSS_E_NS1_11comp_targetILNS1_3genE4ELNS1_11target_archE910ELNS1_3gpuE8ELNS1_3repE0EEENS1_30default_config_static_selectorELNS0_4arch9wavefront6targetE1EEEvT1_: ; @_ZN7rocprim17ROCPRIM_400000_NS6detail17trampoline_kernelINS0_14default_configENS1_27scan_by_key_config_selectorIiiEEZZNS1_16scan_by_key_implILNS1_25lookback_scan_determinismE0ELb0ES3_PKiN6hipcub16HIPCUB_304000_NS21ConstantInputIteratorIilEEPiiNSB_3SumENSB_8EqualityEiEE10hipError_tPvRmT2_T3_T4_T5_mT6_T7_P12ihipStream_tbENKUlT_T0_E_clISt17integral_constantIbLb0EESX_EEDaSS_ST_EUlSS_E_NS1_11comp_targetILNS1_3genE4ELNS1_11target_archE910ELNS1_3gpuE8ELNS1_3repE0EEENS1_30default_config_static_selectorELNS0_4arch9wavefront6targetE1EEEvT1_
; %bb.0:
	.section	.rodata,"a",@progbits
	.p2align	6, 0x0
	.amdhsa_kernel _ZN7rocprim17ROCPRIM_400000_NS6detail17trampoline_kernelINS0_14default_configENS1_27scan_by_key_config_selectorIiiEEZZNS1_16scan_by_key_implILNS1_25lookback_scan_determinismE0ELb0ES3_PKiN6hipcub16HIPCUB_304000_NS21ConstantInputIteratorIilEEPiiNSB_3SumENSB_8EqualityEiEE10hipError_tPvRmT2_T3_T4_T5_mT6_T7_P12ihipStream_tbENKUlT_T0_E_clISt17integral_constantIbLb0EESX_EEDaSS_ST_EUlSS_E_NS1_11comp_targetILNS1_3genE4ELNS1_11target_archE910ELNS1_3gpuE8ELNS1_3repE0EEENS1_30default_config_static_selectorELNS0_4arch9wavefront6targetE1EEEvT1_
		.amdhsa_group_segment_fixed_size 0
		.amdhsa_private_segment_fixed_size 0
		.amdhsa_kernarg_size 120
		.amdhsa_user_sgpr_count 2
		.amdhsa_user_sgpr_dispatch_ptr 0
		.amdhsa_user_sgpr_queue_ptr 0
		.amdhsa_user_sgpr_kernarg_segment_ptr 1
		.amdhsa_user_sgpr_dispatch_id 0
		.amdhsa_user_sgpr_kernarg_preload_length 0
		.amdhsa_user_sgpr_kernarg_preload_offset 0
		.amdhsa_user_sgpr_private_segment_size 0
		.amdhsa_uses_dynamic_stack 0
		.amdhsa_enable_private_segment 0
		.amdhsa_system_sgpr_workgroup_id_x 1
		.amdhsa_system_sgpr_workgroup_id_y 0
		.amdhsa_system_sgpr_workgroup_id_z 0
		.amdhsa_system_sgpr_workgroup_info 0
		.amdhsa_system_vgpr_workitem_id 0
		.amdhsa_next_free_vgpr 1
		.amdhsa_next_free_sgpr 0
		.amdhsa_accum_offset 4
		.amdhsa_reserve_vcc 0
		.amdhsa_float_round_mode_32 0
		.amdhsa_float_round_mode_16_64 0
		.amdhsa_float_denorm_mode_32 3
		.amdhsa_float_denorm_mode_16_64 3
		.amdhsa_dx10_clamp 1
		.amdhsa_ieee_mode 1
		.amdhsa_fp16_overflow 0
		.amdhsa_tg_split 0
		.amdhsa_exception_fp_ieee_invalid_op 0
		.amdhsa_exception_fp_denorm_src 0
		.amdhsa_exception_fp_ieee_div_zero 0
		.amdhsa_exception_fp_ieee_overflow 0
		.amdhsa_exception_fp_ieee_underflow 0
		.amdhsa_exception_fp_ieee_inexact 0
		.amdhsa_exception_int_div_zero 0
	.end_amdhsa_kernel
	.section	.text._ZN7rocprim17ROCPRIM_400000_NS6detail17trampoline_kernelINS0_14default_configENS1_27scan_by_key_config_selectorIiiEEZZNS1_16scan_by_key_implILNS1_25lookback_scan_determinismE0ELb0ES3_PKiN6hipcub16HIPCUB_304000_NS21ConstantInputIteratorIilEEPiiNSB_3SumENSB_8EqualityEiEE10hipError_tPvRmT2_T3_T4_T5_mT6_T7_P12ihipStream_tbENKUlT_T0_E_clISt17integral_constantIbLb0EESX_EEDaSS_ST_EUlSS_E_NS1_11comp_targetILNS1_3genE4ELNS1_11target_archE910ELNS1_3gpuE8ELNS1_3repE0EEENS1_30default_config_static_selectorELNS0_4arch9wavefront6targetE1EEEvT1_,"axG",@progbits,_ZN7rocprim17ROCPRIM_400000_NS6detail17trampoline_kernelINS0_14default_configENS1_27scan_by_key_config_selectorIiiEEZZNS1_16scan_by_key_implILNS1_25lookback_scan_determinismE0ELb0ES3_PKiN6hipcub16HIPCUB_304000_NS21ConstantInputIteratorIilEEPiiNSB_3SumENSB_8EqualityEiEE10hipError_tPvRmT2_T3_T4_T5_mT6_T7_P12ihipStream_tbENKUlT_T0_E_clISt17integral_constantIbLb0EESX_EEDaSS_ST_EUlSS_E_NS1_11comp_targetILNS1_3genE4ELNS1_11target_archE910ELNS1_3gpuE8ELNS1_3repE0EEENS1_30default_config_static_selectorELNS0_4arch9wavefront6targetE1EEEvT1_,comdat
.Lfunc_end13:
	.size	_ZN7rocprim17ROCPRIM_400000_NS6detail17trampoline_kernelINS0_14default_configENS1_27scan_by_key_config_selectorIiiEEZZNS1_16scan_by_key_implILNS1_25lookback_scan_determinismE0ELb0ES3_PKiN6hipcub16HIPCUB_304000_NS21ConstantInputIteratorIilEEPiiNSB_3SumENSB_8EqualityEiEE10hipError_tPvRmT2_T3_T4_T5_mT6_T7_P12ihipStream_tbENKUlT_T0_E_clISt17integral_constantIbLb0EESX_EEDaSS_ST_EUlSS_E_NS1_11comp_targetILNS1_3genE4ELNS1_11target_archE910ELNS1_3gpuE8ELNS1_3repE0EEENS1_30default_config_static_selectorELNS0_4arch9wavefront6targetE1EEEvT1_, .Lfunc_end13-_ZN7rocprim17ROCPRIM_400000_NS6detail17trampoline_kernelINS0_14default_configENS1_27scan_by_key_config_selectorIiiEEZZNS1_16scan_by_key_implILNS1_25lookback_scan_determinismE0ELb0ES3_PKiN6hipcub16HIPCUB_304000_NS21ConstantInputIteratorIilEEPiiNSB_3SumENSB_8EqualityEiEE10hipError_tPvRmT2_T3_T4_T5_mT6_T7_P12ihipStream_tbENKUlT_T0_E_clISt17integral_constantIbLb0EESX_EEDaSS_ST_EUlSS_E_NS1_11comp_targetILNS1_3genE4ELNS1_11target_archE910ELNS1_3gpuE8ELNS1_3repE0EEENS1_30default_config_static_selectorELNS0_4arch9wavefront6targetE1EEEvT1_
                                        ; -- End function
	.set _ZN7rocprim17ROCPRIM_400000_NS6detail17trampoline_kernelINS0_14default_configENS1_27scan_by_key_config_selectorIiiEEZZNS1_16scan_by_key_implILNS1_25lookback_scan_determinismE0ELb0ES3_PKiN6hipcub16HIPCUB_304000_NS21ConstantInputIteratorIilEEPiiNSB_3SumENSB_8EqualityEiEE10hipError_tPvRmT2_T3_T4_T5_mT6_T7_P12ihipStream_tbENKUlT_T0_E_clISt17integral_constantIbLb0EESX_EEDaSS_ST_EUlSS_E_NS1_11comp_targetILNS1_3genE4ELNS1_11target_archE910ELNS1_3gpuE8ELNS1_3repE0EEENS1_30default_config_static_selectorELNS0_4arch9wavefront6targetE1EEEvT1_.num_vgpr, 0
	.set _ZN7rocprim17ROCPRIM_400000_NS6detail17trampoline_kernelINS0_14default_configENS1_27scan_by_key_config_selectorIiiEEZZNS1_16scan_by_key_implILNS1_25lookback_scan_determinismE0ELb0ES3_PKiN6hipcub16HIPCUB_304000_NS21ConstantInputIteratorIilEEPiiNSB_3SumENSB_8EqualityEiEE10hipError_tPvRmT2_T3_T4_T5_mT6_T7_P12ihipStream_tbENKUlT_T0_E_clISt17integral_constantIbLb0EESX_EEDaSS_ST_EUlSS_E_NS1_11comp_targetILNS1_3genE4ELNS1_11target_archE910ELNS1_3gpuE8ELNS1_3repE0EEENS1_30default_config_static_selectorELNS0_4arch9wavefront6targetE1EEEvT1_.num_agpr, 0
	.set _ZN7rocprim17ROCPRIM_400000_NS6detail17trampoline_kernelINS0_14default_configENS1_27scan_by_key_config_selectorIiiEEZZNS1_16scan_by_key_implILNS1_25lookback_scan_determinismE0ELb0ES3_PKiN6hipcub16HIPCUB_304000_NS21ConstantInputIteratorIilEEPiiNSB_3SumENSB_8EqualityEiEE10hipError_tPvRmT2_T3_T4_T5_mT6_T7_P12ihipStream_tbENKUlT_T0_E_clISt17integral_constantIbLb0EESX_EEDaSS_ST_EUlSS_E_NS1_11comp_targetILNS1_3genE4ELNS1_11target_archE910ELNS1_3gpuE8ELNS1_3repE0EEENS1_30default_config_static_selectorELNS0_4arch9wavefront6targetE1EEEvT1_.numbered_sgpr, 0
	.set _ZN7rocprim17ROCPRIM_400000_NS6detail17trampoline_kernelINS0_14default_configENS1_27scan_by_key_config_selectorIiiEEZZNS1_16scan_by_key_implILNS1_25lookback_scan_determinismE0ELb0ES3_PKiN6hipcub16HIPCUB_304000_NS21ConstantInputIteratorIilEEPiiNSB_3SumENSB_8EqualityEiEE10hipError_tPvRmT2_T3_T4_T5_mT6_T7_P12ihipStream_tbENKUlT_T0_E_clISt17integral_constantIbLb0EESX_EEDaSS_ST_EUlSS_E_NS1_11comp_targetILNS1_3genE4ELNS1_11target_archE910ELNS1_3gpuE8ELNS1_3repE0EEENS1_30default_config_static_selectorELNS0_4arch9wavefront6targetE1EEEvT1_.num_named_barrier, 0
	.set _ZN7rocprim17ROCPRIM_400000_NS6detail17trampoline_kernelINS0_14default_configENS1_27scan_by_key_config_selectorIiiEEZZNS1_16scan_by_key_implILNS1_25lookback_scan_determinismE0ELb0ES3_PKiN6hipcub16HIPCUB_304000_NS21ConstantInputIteratorIilEEPiiNSB_3SumENSB_8EqualityEiEE10hipError_tPvRmT2_T3_T4_T5_mT6_T7_P12ihipStream_tbENKUlT_T0_E_clISt17integral_constantIbLb0EESX_EEDaSS_ST_EUlSS_E_NS1_11comp_targetILNS1_3genE4ELNS1_11target_archE910ELNS1_3gpuE8ELNS1_3repE0EEENS1_30default_config_static_selectorELNS0_4arch9wavefront6targetE1EEEvT1_.private_seg_size, 0
	.set _ZN7rocprim17ROCPRIM_400000_NS6detail17trampoline_kernelINS0_14default_configENS1_27scan_by_key_config_selectorIiiEEZZNS1_16scan_by_key_implILNS1_25lookback_scan_determinismE0ELb0ES3_PKiN6hipcub16HIPCUB_304000_NS21ConstantInputIteratorIilEEPiiNSB_3SumENSB_8EqualityEiEE10hipError_tPvRmT2_T3_T4_T5_mT6_T7_P12ihipStream_tbENKUlT_T0_E_clISt17integral_constantIbLb0EESX_EEDaSS_ST_EUlSS_E_NS1_11comp_targetILNS1_3genE4ELNS1_11target_archE910ELNS1_3gpuE8ELNS1_3repE0EEENS1_30default_config_static_selectorELNS0_4arch9wavefront6targetE1EEEvT1_.uses_vcc, 0
	.set _ZN7rocprim17ROCPRIM_400000_NS6detail17trampoline_kernelINS0_14default_configENS1_27scan_by_key_config_selectorIiiEEZZNS1_16scan_by_key_implILNS1_25lookback_scan_determinismE0ELb0ES3_PKiN6hipcub16HIPCUB_304000_NS21ConstantInputIteratorIilEEPiiNSB_3SumENSB_8EqualityEiEE10hipError_tPvRmT2_T3_T4_T5_mT6_T7_P12ihipStream_tbENKUlT_T0_E_clISt17integral_constantIbLb0EESX_EEDaSS_ST_EUlSS_E_NS1_11comp_targetILNS1_3genE4ELNS1_11target_archE910ELNS1_3gpuE8ELNS1_3repE0EEENS1_30default_config_static_selectorELNS0_4arch9wavefront6targetE1EEEvT1_.uses_flat_scratch, 0
	.set _ZN7rocprim17ROCPRIM_400000_NS6detail17trampoline_kernelINS0_14default_configENS1_27scan_by_key_config_selectorIiiEEZZNS1_16scan_by_key_implILNS1_25lookback_scan_determinismE0ELb0ES3_PKiN6hipcub16HIPCUB_304000_NS21ConstantInputIteratorIilEEPiiNSB_3SumENSB_8EqualityEiEE10hipError_tPvRmT2_T3_T4_T5_mT6_T7_P12ihipStream_tbENKUlT_T0_E_clISt17integral_constantIbLb0EESX_EEDaSS_ST_EUlSS_E_NS1_11comp_targetILNS1_3genE4ELNS1_11target_archE910ELNS1_3gpuE8ELNS1_3repE0EEENS1_30default_config_static_selectorELNS0_4arch9wavefront6targetE1EEEvT1_.has_dyn_sized_stack, 0
	.set _ZN7rocprim17ROCPRIM_400000_NS6detail17trampoline_kernelINS0_14default_configENS1_27scan_by_key_config_selectorIiiEEZZNS1_16scan_by_key_implILNS1_25lookback_scan_determinismE0ELb0ES3_PKiN6hipcub16HIPCUB_304000_NS21ConstantInputIteratorIilEEPiiNSB_3SumENSB_8EqualityEiEE10hipError_tPvRmT2_T3_T4_T5_mT6_T7_P12ihipStream_tbENKUlT_T0_E_clISt17integral_constantIbLb0EESX_EEDaSS_ST_EUlSS_E_NS1_11comp_targetILNS1_3genE4ELNS1_11target_archE910ELNS1_3gpuE8ELNS1_3repE0EEENS1_30default_config_static_selectorELNS0_4arch9wavefront6targetE1EEEvT1_.has_recursion, 0
	.set _ZN7rocprim17ROCPRIM_400000_NS6detail17trampoline_kernelINS0_14default_configENS1_27scan_by_key_config_selectorIiiEEZZNS1_16scan_by_key_implILNS1_25lookback_scan_determinismE0ELb0ES3_PKiN6hipcub16HIPCUB_304000_NS21ConstantInputIteratorIilEEPiiNSB_3SumENSB_8EqualityEiEE10hipError_tPvRmT2_T3_T4_T5_mT6_T7_P12ihipStream_tbENKUlT_T0_E_clISt17integral_constantIbLb0EESX_EEDaSS_ST_EUlSS_E_NS1_11comp_targetILNS1_3genE4ELNS1_11target_archE910ELNS1_3gpuE8ELNS1_3repE0EEENS1_30default_config_static_selectorELNS0_4arch9wavefront6targetE1EEEvT1_.has_indirect_call, 0
	.section	.AMDGPU.csdata,"",@progbits
; Kernel info:
; codeLenInByte = 0
; TotalNumSgprs: 6
; NumVgprs: 0
; NumAgprs: 0
; TotalNumVgprs: 0
; ScratchSize: 0
; MemoryBound: 0
; FloatMode: 240
; IeeeMode: 1
; LDSByteSize: 0 bytes/workgroup (compile time only)
; SGPRBlocks: 0
; VGPRBlocks: 0
; NumSGPRsForWavesPerEU: 6
; NumVGPRsForWavesPerEU: 1
; AccumOffset: 4
; Occupancy: 8
; WaveLimiterHint : 0
; COMPUTE_PGM_RSRC2:SCRATCH_EN: 0
; COMPUTE_PGM_RSRC2:USER_SGPR: 2
; COMPUTE_PGM_RSRC2:TRAP_HANDLER: 0
; COMPUTE_PGM_RSRC2:TGID_X_EN: 1
; COMPUTE_PGM_RSRC2:TGID_Y_EN: 0
; COMPUTE_PGM_RSRC2:TGID_Z_EN: 0
; COMPUTE_PGM_RSRC2:TIDIG_COMP_CNT: 0
; COMPUTE_PGM_RSRC3_GFX90A:ACCUM_OFFSET: 0
; COMPUTE_PGM_RSRC3_GFX90A:TG_SPLIT: 0
	.section	.text._ZN7rocprim17ROCPRIM_400000_NS6detail17trampoline_kernelINS0_14default_configENS1_27scan_by_key_config_selectorIiiEEZZNS1_16scan_by_key_implILNS1_25lookback_scan_determinismE0ELb0ES3_PKiN6hipcub16HIPCUB_304000_NS21ConstantInputIteratorIilEEPiiNSB_3SumENSB_8EqualityEiEE10hipError_tPvRmT2_T3_T4_T5_mT6_T7_P12ihipStream_tbENKUlT_T0_E_clISt17integral_constantIbLb0EESX_EEDaSS_ST_EUlSS_E_NS1_11comp_targetILNS1_3genE3ELNS1_11target_archE908ELNS1_3gpuE7ELNS1_3repE0EEENS1_30default_config_static_selectorELNS0_4arch9wavefront6targetE1EEEvT1_,"axG",@progbits,_ZN7rocprim17ROCPRIM_400000_NS6detail17trampoline_kernelINS0_14default_configENS1_27scan_by_key_config_selectorIiiEEZZNS1_16scan_by_key_implILNS1_25lookback_scan_determinismE0ELb0ES3_PKiN6hipcub16HIPCUB_304000_NS21ConstantInputIteratorIilEEPiiNSB_3SumENSB_8EqualityEiEE10hipError_tPvRmT2_T3_T4_T5_mT6_T7_P12ihipStream_tbENKUlT_T0_E_clISt17integral_constantIbLb0EESX_EEDaSS_ST_EUlSS_E_NS1_11comp_targetILNS1_3genE3ELNS1_11target_archE908ELNS1_3gpuE7ELNS1_3repE0EEENS1_30default_config_static_selectorELNS0_4arch9wavefront6targetE1EEEvT1_,comdat
	.protected	_ZN7rocprim17ROCPRIM_400000_NS6detail17trampoline_kernelINS0_14default_configENS1_27scan_by_key_config_selectorIiiEEZZNS1_16scan_by_key_implILNS1_25lookback_scan_determinismE0ELb0ES3_PKiN6hipcub16HIPCUB_304000_NS21ConstantInputIteratorIilEEPiiNSB_3SumENSB_8EqualityEiEE10hipError_tPvRmT2_T3_T4_T5_mT6_T7_P12ihipStream_tbENKUlT_T0_E_clISt17integral_constantIbLb0EESX_EEDaSS_ST_EUlSS_E_NS1_11comp_targetILNS1_3genE3ELNS1_11target_archE908ELNS1_3gpuE7ELNS1_3repE0EEENS1_30default_config_static_selectorELNS0_4arch9wavefront6targetE1EEEvT1_ ; -- Begin function _ZN7rocprim17ROCPRIM_400000_NS6detail17trampoline_kernelINS0_14default_configENS1_27scan_by_key_config_selectorIiiEEZZNS1_16scan_by_key_implILNS1_25lookback_scan_determinismE0ELb0ES3_PKiN6hipcub16HIPCUB_304000_NS21ConstantInputIteratorIilEEPiiNSB_3SumENSB_8EqualityEiEE10hipError_tPvRmT2_T3_T4_T5_mT6_T7_P12ihipStream_tbENKUlT_T0_E_clISt17integral_constantIbLb0EESX_EEDaSS_ST_EUlSS_E_NS1_11comp_targetILNS1_3genE3ELNS1_11target_archE908ELNS1_3gpuE7ELNS1_3repE0EEENS1_30default_config_static_selectorELNS0_4arch9wavefront6targetE1EEEvT1_
	.globl	_ZN7rocprim17ROCPRIM_400000_NS6detail17trampoline_kernelINS0_14default_configENS1_27scan_by_key_config_selectorIiiEEZZNS1_16scan_by_key_implILNS1_25lookback_scan_determinismE0ELb0ES3_PKiN6hipcub16HIPCUB_304000_NS21ConstantInputIteratorIilEEPiiNSB_3SumENSB_8EqualityEiEE10hipError_tPvRmT2_T3_T4_T5_mT6_T7_P12ihipStream_tbENKUlT_T0_E_clISt17integral_constantIbLb0EESX_EEDaSS_ST_EUlSS_E_NS1_11comp_targetILNS1_3genE3ELNS1_11target_archE908ELNS1_3gpuE7ELNS1_3repE0EEENS1_30default_config_static_selectorELNS0_4arch9wavefront6targetE1EEEvT1_
	.p2align	8
	.type	_ZN7rocprim17ROCPRIM_400000_NS6detail17trampoline_kernelINS0_14default_configENS1_27scan_by_key_config_selectorIiiEEZZNS1_16scan_by_key_implILNS1_25lookback_scan_determinismE0ELb0ES3_PKiN6hipcub16HIPCUB_304000_NS21ConstantInputIteratorIilEEPiiNSB_3SumENSB_8EqualityEiEE10hipError_tPvRmT2_T3_T4_T5_mT6_T7_P12ihipStream_tbENKUlT_T0_E_clISt17integral_constantIbLb0EESX_EEDaSS_ST_EUlSS_E_NS1_11comp_targetILNS1_3genE3ELNS1_11target_archE908ELNS1_3gpuE7ELNS1_3repE0EEENS1_30default_config_static_selectorELNS0_4arch9wavefront6targetE1EEEvT1_,@function
_ZN7rocprim17ROCPRIM_400000_NS6detail17trampoline_kernelINS0_14default_configENS1_27scan_by_key_config_selectorIiiEEZZNS1_16scan_by_key_implILNS1_25lookback_scan_determinismE0ELb0ES3_PKiN6hipcub16HIPCUB_304000_NS21ConstantInputIteratorIilEEPiiNSB_3SumENSB_8EqualityEiEE10hipError_tPvRmT2_T3_T4_T5_mT6_T7_P12ihipStream_tbENKUlT_T0_E_clISt17integral_constantIbLb0EESX_EEDaSS_ST_EUlSS_E_NS1_11comp_targetILNS1_3genE3ELNS1_11target_archE908ELNS1_3gpuE7ELNS1_3repE0EEENS1_30default_config_static_selectorELNS0_4arch9wavefront6targetE1EEEvT1_: ; @_ZN7rocprim17ROCPRIM_400000_NS6detail17trampoline_kernelINS0_14default_configENS1_27scan_by_key_config_selectorIiiEEZZNS1_16scan_by_key_implILNS1_25lookback_scan_determinismE0ELb0ES3_PKiN6hipcub16HIPCUB_304000_NS21ConstantInputIteratorIilEEPiiNSB_3SumENSB_8EqualityEiEE10hipError_tPvRmT2_T3_T4_T5_mT6_T7_P12ihipStream_tbENKUlT_T0_E_clISt17integral_constantIbLb0EESX_EEDaSS_ST_EUlSS_E_NS1_11comp_targetILNS1_3genE3ELNS1_11target_archE908ELNS1_3gpuE7ELNS1_3repE0EEENS1_30default_config_static_selectorELNS0_4arch9wavefront6targetE1EEEvT1_
; %bb.0:
	.section	.rodata,"a",@progbits
	.p2align	6, 0x0
	.amdhsa_kernel _ZN7rocprim17ROCPRIM_400000_NS6detail17trampoline_kernelINS0_14default_configENS1_27scan_by_key_config_selectorIiiEEZZNS1_16scan_by_key_implILNS1_25lookback_scan_determinismE0ELb0ES3_PKiN6hipcub16HIPCUB_304000_NS21ConstantInputIteratorIilEEPiiNSB_3SumENSB_8EqualityEiEE10hipError_tPvRmT2_T3_T4_T5_mT6_T7_P12ihipStream_tbENKUlT_T0_E_clISt17integral_constantIbLb0EESX_EEDaSS_ST_EUlSS_E_NS1_11comp_targetILNS1_3genE3ELNS1_11target_archE908ELNS1_3gpuE7ELNS1_3repE0EEENS1_30default_config_static_selectorELNS0_4arch9wavefront6targetE1EEEvT1_
		.amdhsa_group_segment_fixed_size 0
		.amdhsa_private_segment_fixed_size 0
		.amdhsa_kernarg_size 120
		.amdhsa_user_sgpr_count 2
		.amdhsa_user_sgpr_dispatch_ptr 0
		.amdhsa_user_sgpr_queue_ptr 0
		.amdhsa_user_sgpr_kernarg_segment_ptr 1
		.amdhsa_user_sgpr_dispatch_id 0
		.amdhsa_user_sgpr_kernarg_preload_length 0
		.amdhsa_user_sgpr_kernarg_preload_offset 0
		.amdhsa_user_sgpr_private_segment_size 0
		.amdhsa_uses_dynamic_stack 0
		.amdhsa_enable_private_segment 0
		.amdhsa_system_sgpr_workgroup_id_x 1
		.amdhsa_system_sgpr_workgroup_id_y 0
		.amdhsa_system_sgpr_workgroup_id_z 0
		.amdhsa_system_sgpr_workgroup_info 0
		.amdhsa_system_vgpr_workitem_id 0
		.amdhsa_next_free_vgpr 1
		.amdhsa_next_free_sgpr 0
		.amdhsa_accum_offset 4
		.amdhsa_reserve_vcc 0
		.amdhsa_float_round_mode_32 0
		.amdhsa_float_round_mode_16_64 0
		.amdhsa_float_denorm_mode_32 3
		.amdhsa_float_denorm_mode_16_64 3
		.amdhsa_dx10_clamp 1
		.amdhsa_ieee_mode 1
		.amdhsa_fp16_overflow 0
		.amdhsa_tg_split 0
		.amdhsa_exception_fp_ieee_invalid_op 0
		.amdhsa_exception_fp_denorm_src 0
		.amdhsa_exception_fp_ieee_div_zero 0
		.amdhsa_exception_fp_ieee_overflow 0
		.amdhsa_exception_fp_ieee_underflow 0
		.amdhsa_exception_fp_ieee_inexact 0
		.amdhsa_exception_int_div_zero 0
	.end_amdhsa_kernel
	.section	.text._ZN7rocprim17ROCPRIM_400000_NS6detail17trampoline_kernelINS0_14default_configENS1_27scan_by_key_config_selectorIiiEEZZNS1_16scan_by_key_implILNS1_25lookback_scan_determinismE0ELb0ES3_PKiN6hipcub16HIPCUB_304000_NS21ConstantInputIteratorIilEEPiiNSB_3SumENSB_8EqualityEiEE10hipError_tPvRmT2_T3_T4_T5_mT6_T7_P12ihipStream_tbENKUlT_T0_E_clISt17integral_constantIbLb0EESX_EEDaSS_ST_EUlSS_E_NS1_11comp_targetILNS1_3genE3ELNS1_11target_archE908ELNS1_3gpuE7ELNS1_3repE0EEENS1_30default_config_static_selectorELNS0_4arch9wavefront6targetE1EEEvT1_,"axG",@progbits,_ZN7rocprim17ROCPRIM_400000_NS6detail17trampoline_kernelINS0_14default_configENS1_27scan_by_key_config_selectorIiiEEZZNS1_16scan_by_key_implILNS1_25lookback_scan_determinismE0ELb0ES3_PKiN6hipcub16HIPCUB_304000_NS21ConstantInputIteratorIilEEPiiNSB_3SumENSB_8EqualityEiEE10hipError_tPvRmT2_T3_T4_T5_mT6_T7_P12ihipStream_tbENKUlT_T0_E_clISt17integral_constantIbLb0EESX_EEDaSS_ST_EUlSS_E_NS1_11comp_targetILNS1_3genE3ELNS1_11target_archE908ELNS1_3gpuE7ELNS1_3repE0EEENS1_30default_config_static_selectorELNS0_4arch9wavefront6targetE1EEEvT1_,comdat
.Lfunc_end14:
	.size	_ZN7rocprim17ROCPRIM_400000_NS6detail17trampoline_kernelINS0_14default_configENS1_27scan_by_key_config_selectorIiiEEZZNS1_16scan_by_key_implILNS1_25lookback_scan_determinismE0ELb0ES3_PKiN6hipcub16HIPCUB_304000_NS21ConstantInputIteratorIilEEPiiNSB_3SumENSB_8EqualityEiEE10hipError_tPvRmT2_T3_T4_T5_mT6_T7_P12ihipStream_tbENKUlT_T0_E_clISt17integral_constantIbLb0EESX_EEDaSS_ST_EUlSS_E_NS1_11comp_targetILNS1_3genE3ELNS1_11target_archE908ELNS1_3gpuE7ELNS1_3repE0EEENS1_30default_config_static_selectorELNS0_4arch9wavefront6targetE1EEEvT1_, .Lfunc_end14-_ZN7rocprim17ROCPRIM_400000_NS6detail17trampoline_kernelINS0_14default_configENS1_27scan_by_key_config_selectorIiiEEZZNS1_16scan_by_key_implILNS1_25lookback_scan_determinismE0ELb0ES3_PKiN6hipcub16HIPCUB_304000_NS21ConstantInputIteratorIilEEPiiNSB_3SumENSB_8EqualityEiEE10hipError_tPvRmT2_T3_T4_T5_mT6_T7_P12ihipStream_tbENKUlT_T0_E_clISt17integral_constantIbLb0EESX_EEDaSS_ST_EUlSS_E_NS1_11comp_targetILNS1_3genE3ELNS1_11target_archE908ELNS1_3gpuE7ELNS1_3repE0EEENS1_30default_config_static_selectorELNS0_4arch9wavefront6targetE1EEEvT1_
                                        ; -- End function
	.set _ZN7rocprim17ROCPRIM_400000_NS6detail17trampoline_kernelINS0_14default_configENS1_27scan_by_key_config_selectorIiiEEZZNS1_16scan_by_key_implILNS1_25lookback_scan_determinismE0ELb0ES3_PKiN6hipcub16HIPCUB_304000_NS21ConstantInputIteratorIilEEPiiNSB_3SumENSB_8EqualityEiEE10hipError_tPvRmT2_T3_T4_T5_mT6_T7_P12ihipStream_tbENKUlT_T0_E_clISt17integral_constantIbLb0EESX_EEDaSS_ST_EUlSS_E_NS1_11comp_targetILNS1_3genE3ELNS1_11target_archE908ELNS1_3gpuE7ELNS1_3repE0EEENS1_30default_config_static_selectorELNS0_4arch9wavefront6targetE1EEEvT1_.num_vgpr, 0
	.set _ZN7rocprim17ROCPRIM_400000_NS6detail17trampoline_kernelINS0_14default_configENS1_27scan_by_key_config_selectorIiiEEZZNS1_16scan_by_key_implILNS1_25lookback_scan_determinismE0ELb0ES3_PKiN6hipcub16HIPCUB_304000_NS21ConstantInputIteratorIilEEPiiNSB_3SumENSB_8EqualityEiEE10hipError_tPvRmT2_T3_T4_T5_mT6_T7_P12ihipStream_tbENKUlT_T0_E_clISt17integral_constantIbLb0EESX_EEDaSS_ST_EUlSS_E_NS1_11comp_targetILNS1_3genE3ELNS1_11target_archE908ELNS1_3gpuE7ELNS1_3repE0EEENS1_30default_config_static_selectorELNS0_4arch9wavefront6targetE1EEEvT1_.num_agpr, 0
	.set _ZN7rocprim17ROCPRIM_400000_NS6detail17trampoline_kernelINS0_14default_configENS1_27scan_by_key_config_selectorIiiEEZZNS1_16scan_by_key_implILNS1_25lookback_scan_determinismE0ELb0ES3_PKiN6hipcub16HIPCUB_304000_NS21ConstantInputIteratorIilEEPiiNSB_3SumENSB_8EqualityEiEE10hipError_tPvRmT2_T3_T4_T5_mT6_T7_P12ihipStream_tbENKUlT_T0_E_clISt17integral_constantIbLb0EESX_EEDaSS_ST_EUlSS_E_NS1_11comp_targetILNS1_3genE3ELNS1_11target_archE908ELNS1_3gpuE7ELNS1_3repE0EEENS1_30default_config_static_selectorELNS0_4arch9wavefront6targetE1EEEvT1_.numbered_sgpr, 0
	.set _ZN7rocprim17ROCPRIM_400000_NS6detail17trampoline_kernelINS0_14default_configENS1_27scan_by_key_config_selectorIiiEEZZNS1_16scan_by_key_implILNS1_25lookback_scan_determinismE0ELb0ES3_PKiN6hipcub16HIPCUB_304000_NS21ConstantInputIteratorIilEEPiiNSB_3SumENSB_8EqualityEiEE10hipError_tPvRmT2_T3_T4_T5_mT6_T7_P12ihipStream_tbENKUlT_T0_E_clISt17integral_constantIbLb0EESX_EEDaSS_ST_EUlSS_E_NS1_11comp_targetILNS1_3genE3ELNS1_11target_archE908ELNS1_3gpuE7ELNS1_3repE0EEENS1_30default_config_static_selectorELNS0_4arch9wavefront6targetE1EEEvT1_.num_named_barrier, 0
	.set _ZN7rocprim17ROCPRIM_400000_NS6detail17trampoline_kernelINS0_14default_configENS1_27scan_by_key_config_selectorIiiEEZZNS1_16scan_by_key_implILNS1_25lookback_scan_determinismE0ELb0ES3_PKiN6hipcub16HIPCUB_304000_NS21ConstantInputIteratorIilEEPiiNSB_3SumENSB_8EqualityEiEE10hipError_tPvRmT2_T3_T4_T5_mT6_T7_P12ihipStream_tbENKUlT_T0_E_clISt17integral_constantIbLb0EESX_EEDaSS_ST_EUlSS_E_NS1_11comp_targetILNS1_3genE3ELNS1_11target_archE908ELNS1_3gpuE7ELNS1_3repE0EEENS1_30default_config_static_selectorELNS0_4arch9wavefront6targetE1EEEvT1_.private_seg_size, 0
	.set _ZN7rocprim17ROCPRIM_400000_NS6detail17trampoline_kernelINS0_14default_configENS1_27scan_by_key_config_selectorIiiEEZZNS1_16scan_by_key_implILNS1_25lookback_scan_determinismE0ELb0ES3_PKiN6hipcub16HIPCUB_304000_NS21ConstantInputIteratorIilEEPiiNSB_3SumENSB_8EqualityEiEE10hipError_tPvRmT2_T3_T4_T5_mT6_T7_P12ihipStream_tbENKUlT_T0_E_clISt17integral_constantIbLb0EESX_EEDaSS_ST_EUlSS_E_NS1_11comp_targetILNS1_3genE3ELNS1_11target_archE908ELNS1_3gpuE7ELNS1_3repE0EEENS1_30default_config_static_selectorELNS0_4arch9wavefront6targetE1EEEvT1_.uses_vcc, 0
	.set _ZN7rocprim17ROCPRIM_400000_NS6detail17trampoline_kernelINS0_14default_configENS1_27scan_by_key_config_selectorIiiEEZZNS1_16scan_by_key_implILNS1_25lookback_scan_determinismE0ELb0ES3_PKiN6hipcub16HIPCUB_304000_NS21ConstantInputIteratorIilEEPiiNSB_3SumENSB_8EqualityEiEE10hipError_tPvRmT2_T3_T4_T5_mT6_T7_P12ihipStream_tbENKUlT_T0_E_clISt17integral_constantIbLb0EESX_EEDaSS_ST_EUlSS_E_NS1_11comp_targetILNS1_3genE3ELNS1_11target_archE908ELNS1_3gpuE7ELNS1_3repE0EEENS1_30default_config_static_selectorELNS0_4arch9wavefront6targetE1EEEvT1_.uses_flat_scratch, 0
	.set _ZN7rocprim17ROCPRIM_400000_NS6detail17trampoline_kernelINS0_14default_configENS1_27scan_by_key_config_selectorIiiEEZZNS1_16scan_by_key_implILNS1_25lookback_scan_determinismE0ELb0ES3_PKiN6hipcub16HIPCUB_304000_NS21ConstantInputIteratorIilEEPiiNSB_3SumENSB_8EqualityEiEE10hipError_tPvRmT2_T3_T4_T5_mT6_T7_P12ihipStream_tbENKUlT_T0_E_clISt17integral_constantIbLb0EESX_EEDaSS_ST_EUlSS_E_NS1_11comp_targetILNS1_3genE3ELNS1_11target_archE908ELNS1_3gpuE7ELNS1_3repE0EEENS1_30default_config_static_selectorELNS0_4arch9wavefront6targetE1EEEvT1_.has_dyn_sized_stack, 0
	.set _ZN7rocprim17ROCPRIM_400000_NS6detail17trampoline_kernelINS0_14default_configENS1_27scan_by_key_config_selectorIiiEEZZNS1_16scan_by_key_implILNS1_25lookback_scan_determinismE0ELb0ES3_PKiN6hipcub16HIPCUB_304000_NS21ConstantInputIteratorIilEEPiiNSB_3SumENSB_8EqualityEiEE10hipError_tPvRmT2_T3_T4_T5_mT6_T7_P12ihipStream_tbENKUlT_T0_E_clISt17integral_constantIbLb0EESX_EEDaSS_ST_EUlSS_E_NS1_11comp_targetILNS1_3genE3ELNS1_11target_archE908ELNS1_3gpuE7ELNS1_3repE0EEENS1_30default_config_static_selectorELNS0_4arch9wavefront6targetE1EEEvT1_.has_recursion, 0
	.set _ZN7rocprim17ROCPRIM_400000_NS6detail17trampoline_kernelINS0_14default_configENS1_27scan_by_key_config_selectorIiiEEZZNS1_16scan_by_key_implILNS1_25lookback_scan_determinismE0ELb0ES3_PKiN6hipcub16HIPCUB_304000_NS21ConstantInputIteratorIilEEPiiNSB_3SumENSB_8EqualityEiEE10hipError_tPvRmT2_T3_T4_T5_mT6_T7_P12ihipStream_tbENKUlT_T0_E_clISt17integral_constantIbLb0EESX_EEDaSS_ST_EUlSS_E_NS1_11comp_targetILNS1_3genE3ELNS1_11target_archE908ELNS1_3gpuE7ELNS1_3repE0EEENS1_30default_config_static_selectorELNS0_4arch9wavefront6targetE1EEEvT1_.has_indirect_call, 0
	.section	.AMDGPU.csdata,"",@progbits
; Kernel info:
; codeLenInByte = 0
; TotalNumSgprs: 6
; NumVgprs: 0
; NumAgprs: 0
; TotalNumVgprs: 0
; ScratchSize: 0
; MemoryBound: 0
; FloatMode: 240
; IeeeMode: 1
; LDSByteSize: 0 bytes/workgroup (compile time only)
; SGPRBlocks: 0
; VGPRBlocks: 0
; NumSGPRsForWavesPerEU: 6
; NumVGPRsForWavesPerEU: 1
; AccumOffset: 4
; Occupancy: 8
; WaveLimiterHint : 0
; COMPUTE_PGM_RSRC2:SCRATCH_EN: 0
; COMPUTE_PGM_RSRC2:USER_SGPR: 2
; COMPUTE_PGM_RSRC2:TRAP_HANDLER: 0
; COMPUTE_PGM_RSRC2:TGID_X_EN: 1
; COMPUTE_PGM_RSRC2:TGID_Y_EN: 0
; COMPUTE_PGM_RSRC2:TGID_Z_EN: 0
; COMPUTE_PGM_RSRC2:TIDIG_COMP_CNT: 0
; COMPUTE_PGM_RSRC3_GFX90A:ACCUM_OFFSET: 0
; COMPUTE_PGM_RSRC3_GFX90A:TG_SPLIT: 0
	.section	.text._ZN7rocprim17ROCPRIM_400000_NS6detail17trampoline_kernelINS0_14default_configENS1_27scan_by_key_config_selectorIiiEEZZNS1_16scan_by_key_implILNS1_25lookback_scan_determinismE0ELb0ES3_PKiN6hipcub16HIPCUB_304000_NS21ConstantInputIteratorIilEEPiiNSB_3SumENSB_8EqualityEiEE10hipError_tPvRmT2_T3_T4_T5_mT6_T7_P12ihipStream_tbENKUlT_T0_E_clISt17integral_constantIbLb0EESX_EEDaSS_ST_EUlSS_E_NS1_11comp_targetILNS1_3genE2ELNS1_11target_archE906ELNS1_3gpuE6ELNS1_3repE0EEENS1_30default_config_static_selectorELNS0_4arch9wavefront6targetE1EEEvT1_,"axG",@progbits,_ZN7rocprim17ROCPRIM_400000_NS6detail17trampoline_kernelINS0_14default_configENS1_27scan_by_key_config_selectorIiiEEZZNS1_16scan_by_key_implILNS1_25lookback_scan_determinismE0ELb0ES3_PKiN6hipcub16HIPCUB_304000_NS21ConstantInputIteratorIilEEPiiNSB_3SumENSB_8EqualityEiEE10hipError_tPvRmT2_T3_T4_T5_mT6_T7_P12ihipStream_tbENKUlT_T0_E_clISt17integral_constantIbLb0EESX_EEDaSS_ST_EUlSS_E_NS1_11comp_targetILNS1_3genE2ELNS1_11target_archE906ELNS1_3gpuE6ELNS1_3repE0EEENS1_30default_config_static_selectorELNS0_4arch9wavefront6targetE1EEEvT1_,comdat
	.protected	_ZN7rocprim17ROCPRIM_400000_NS6detail17trampoline_kernelINS0_14default_configENS1_27scan_by_key_config_selectorIiiEEZZNS1_16scan_by_key_implILNS1_25lookback_scan_determinismE0ELb0ES3_PKiN6hipcub16HIPCUB_304000_NS21ConstantInputIteratorIilEEPiiNSB_3SumENSB_8EqualityEiEE10hipError_tPvRmT2_T3_T4_T5_mT6_T7_P12ihipStream_tbENKUlT_T0_E_clISt17integral_constantIbLb0EESX_EEDaSS_ST_EUlSS_E_NS1_11comp_targetILNS1_3genE2ELNS1_11target_archE906ELNS1_3gpuE6ELNS1_3repE0EEENS1_30default_config_static_selectorELNS0_4arch9wavefront6targetE1EEEvT1_ ; -- Begin function _ZN7rocprim17ROCPRIM_400000_NS6detail17trampoline_kernelINS0_14default_configENS1_27scan_by_key_config_selectorIiiEEZZNS1_16scan_by_key_implILNS1_25lookback_scan_determinismE0ELb0ES3_PKiN6hipcub16HIPCUB_304000_NS21ConstantInputIteratorIilEEPiiNSB_3SumENSB_8EqualityEiEE10hipError_tPvRmT2_T3_T4_T5_mT6_T7_P12ihipStream_tbENKUlT_T0_E_clISt17integral_constantIbLb0EESX_EEDaSS_ST_EUlSS_E_NS1_11comp_targetILNS1_3genE2ELNS1_11target_archE906ELNS1_3gpuE6ELNS1_3repE0EEENS1_30default_config_static_selectorELNS0_4arch9wavefront6targetE1EEEvT1_
	.globl	_ZN7rocprim17ROCPRIM_400000_NS6detail17trampoline_kernelINS0_14default_configENS1_27scan_by_key_config_selectorIiiEEZZNS1_16scan_by_key_implILNS1_25lookback_scan_determinismE0ELb0ES3_PKiN6hipcub16HIPCUB_304000_NS21ConstantInputIteratorIilEEPiiNSB_3SumENSB_8EqualityEiEE10hipError_tPvRmT2_T3_T4_T5_mT6_T7_P12ihipStream_tbENKUlT_T0_E_clISt17integral_constantIbLb0EESX_EEDaSS_ST_EUlSS_E_NS1_11comp_targetILNS1_3genE2ELNS1_11target_archE906ELNS1_3gpuE6ELNS1_3repE0EEENS1_30default_config_static_selectorELNS0_4arch9wavefront6targetE1EEEvT1_
	.p2align	8
	.type	_ZN7rocprim17ROCPRIM_400000_NS6detail17trampoline_kernelINS0_14default_configENS1_27scan_by_key_config_selectorIiiEEZZNS1_16scan_by_key_implILNS1_25lookback_scan_determinismE0ELb0ES3_PKiN6hipcub16HIPCUB_304000_NS21ConstantInputIteratorIilEEPiiNSB_3SumENSB_8EqualityEiEE10hipError_tPvRmT2_T3_T4_T5_mT6_T7_P12ihipStream_tbENKUlT_T0_E_clISt17integral_constantIbLb0EESX_EEDaSS_ST_EUlSS_E_NS1_11comp_targetILNS1_3genE2ELNS1_11target_archE906ELNS1_3gpuE6ELNS1_3repE0EEENS1_30default_config_static_selectorELNS0_4arch9wavefront6targetE1EEEvT1_,@function
_ZN7rocprim17ROCPRIM_400000_NS6detail17trampoline_kernelINS0_14default_configENS1_27scan_by_key_config_selectorIiiEEZZNS1_16scan_by_key_implILNS1_25lookback_scan_determinismE0ELb0ES3_PKiN6hipcub16HIPCUB_304000_NS21ConstantInputIteratorIilEEPiiNSB_3SumENSB_8EqualityEiEE10hipError_tPvRmT2_T3_T4_T5_mT6_T7_P12ihipStream_tbENKUlT_T0_E_clISt17integral_constantIbLb0EESX_EEDaSS_ST_EUlSS_E_NS1_11comp_targetILNS1_3genE2ELNS1_11target_archE906ELNS1_3gpuE6ELNS1_3repE0EEENS1_30default_config_static_selectorELNS0_4arch9wavefront6targetE1EEEvT1_: ; @_ZN7rocprim17ROCPRIM_400000_NS6detail17trampoline_kernelINS0_14default_configENS1_27scan_by_key_config_selectorIiiEEZZNS1_16scan_by_key_implILNS1_25lookback_scan_determinismE0ELb0ES3_PKiN6hipcub16HIPCUB_304000_NS21ConstantInputIteratorIilEEPiiNSB_3SumENSB_8EqualityEiEE10hipError_tPvRmT2_T3_T4_T5_mT6_T7_P12ihipStream_tbENKUlT_T0_E_clISt17integral_constantIbLb0EESX_EEDaSS_ST_EUlSS_E_NS1_11comp_targetILNS1_3genE2ELNS1_11target_archE906ELNS1_3gpuE6ELNS1_3repE0EEENS1_30default_config_static_selectorELNS0_4arch9wavefront6targetE1EEEvT1_
; %bb.0:
	.section	.rodata,"a",@progbits
	.p2align	6, 0x0
	.amdhsa_kernel _ZN7rocprim17ROCPRIM_400000_NS6detail17trampoline_kernelINS0_14default_configENS1_27scan_by_key_config_selectorIiiEEZZNS1_16scan_by_key_implILNS1_25lookback_scan_determinismE0ELb0ES3_PKiN6hipcub16HIPCUB_304000_NS21ConstantInputIteratorIilEEPiiNSB_3SumENSB_8EqualityEiEE10hipError_tPvRmT2_T3_T4_T5_mT6_T7_P12ihipStream_tbENKUlT_T0_E_clISt17integral_constantIbLb0EESX_EEDaSS_ST_EUlSS_E_NS1_11comp_targetILNS1_3genE2ELNS1_11target_archE906ELNS1_3gpuE6ELNS1_3repE0EEENS1_30default_config_static_selectorELNS0_4arch9wavefront6targetE1EEEvT1_
		.amdhsa_group_segment_fixed_size 0
		.amdhsa_private_segment_fixed_size 0
		.amdhsa_kernarg_size 120
		.amdhsa_user_sgpr_count 2
		.amdhsa_user_sgpr_dispatch_ptr 0
		.amdhsa_user_sgpr_queue_ptr 0
		.amdhsa_user_sgpr_kernarg_segment_ptr 1
		.amdhsa_user_sgpr_dispatch_id 0
		.amdhsa_user_sgpr_kernarg_preload_length 0
		.amdhsa_user_sgpr_kernarg_preload_offset 0
		.amdhsa_user_sgpr_private_segment_size 0
		.amdhsa_uses_dynamic_stack 0
		.amdhsa_enable_private_segment 0
		.amdhsa_system_sgpr_workgroup_id_x 1
		.amdhsa_system_sgpr_workgroup_id_y 0
		.amdhsa_system_sgpr_workgroup_id_z 0
		.amdhsa_system_sgpr_workgroup_info 0
		.amdhsa_system_vgpr_workitem_id 0
		.amdhsa_next_free_vgpr 1
		.amdhsa_next_free_sgpr 0
		.amdhsa_accum_offset 4
		.amdhsa_reserve_vcc 0
		.amdhsa_float_round_mode_32 0
		.amdhsa_float_round_mode_16_64 0
		.amdhsa_float_denorm_mode_32 3
		.amdhsa_float_denorm_mode_16_64 3
		.amdhsa_dx10_clamp 1
		.amdhsa_ieee_mode 1
		.amdhsa_fp16_overflow 0
		.amdhsa_tg_split 0
		.amdhsa_exception_fp_ieee_invalid_op 0
		.amdhsa_exception_fp_denorm_src 0
		.amdhsa_exception_fp_ieee_div_zero 0
		.amdhsa_exception_fp_ieee_overflow 0
		.amdhsa_exception_fp_ieee_underflow 0
		.amdhsa_exception_fp_ieee_inexact 0
		.amdhsa_exception_int_div_zero 0
	.end_amdhsa_kernel
	.section	.text._ZN7rocprim17ROCPRIM_400000_NS6detail17trampoline_kernelINS0_14default_configENS1_27scan_by_key_config_selectorIiiEEZZNS1_16scan_by_key_implILNS1_25lookback_scan_determinismE0ELb0ES3_PKiN6hipcub16HIPCUB_304000_NS21ConstantInputIteratorIilEEPiiNSB_3SumENSB_8EqualityEiEE10hipError_tPvRmT2_T3_T4_T5_mT6_T7_P12ihipStream_tbENKUlT_T0_E_clISt17integral_constantIbLb0EESX_EEDaSS_ST_EUlSS_E_NS1_11comp_targetILNS1_3genE2ELNS1_11target_archE906ELNS1_3gpuE6ELNS1_3repE0EEENS1_30default_config_static_selectorELNS0_4arch9wavefront6targetE1EEEvT1_,"axG",@progbits,_ZN7rocprim17ROCPRIM_400000_NS6detail17trampoline_kernelINS0_14default_configENS1_27scan_by_key_config_selectorIiiEEZZNS1_16scan_by_key_implILNS1_25lookback_scan_determinismE0ELb0ES3_PKiN6hipcub16HIPCUB_304000_NS21ConstantInputIteratorIilEEPiiNSB_3SumENSB_8EqualityEiEE10hipError_tPvRmT2_T3_T4_T5_mT6_T7_P12ihipStream_tbENKUlT_T0_E_clISt17integral_constantIbLb0EESX_EEDaSS_ST_EUlSS_E_NS1_11comp_targetILNS1_3genE2ELNS1_11target_archE906ELNS1_3gpuE6ELNS1_3repE0EEENS1_30default_config_static_selectorELNS0_4arch9wavefront6targetE1EEEvT1_,comdat
.Lfunc_end15:
	.size	_ZN7rocprim17ROCPRIM_400000_NS6detail17trampoline_kernelINS0_14default_configENS1_27scan_by_key_config_selectorIiiEEZZNS1_16scan_by_key_implILNS1_25lookback_scan_determinismE0ELb0ES3_PKiN6hipcub16HIPCUB_304000_NS21ConstantInputIteratorIilEEPiiNSB_3SumENSB_8EqualityEiEE10hipError_tPvRmT2_T3_T4_T5_mT6_T7_P12ihipStream_tbENKUlT_T0_E_clISt17integral_constantIbLb0EESX_EEDaSS_ST_EUlSS_E_NS1_11comp_targetILNS1_3genE2ELNS1_11target_archE906ELNS1_3gpuE6ELNS1_3repE0EEENS1_30default_config_static_selectorELNS0_4arch9wavefront6targetE1EEEvT1_, .Lfunc_end15-_ZN7rocprim17ROCPRIM_400000_NS6detail17trampoline_kernelINS0_14default_configENS1_27scan_by_key_config_selectorIiiEEZZNS1_16scan_by_key_implILNS1_25lookback_scan_determinismE0ELb0ES3_PKiN6hipcub16HIPCUB_304000_NS21ConstantInputIteratorIilEEPiiNSB_3SumENSB_8EqualityEiEE10hipError_tPvRmT2_T3_T4_T5_mT6_T7_P12ihipStream_tbENKUlT_T0_E_clISt17integral_constantIbLb0EESX_EEDaSS_ST_EUlSS_E_NS1_11comp_targetILNS1_3genE2ELNS1_11target_archE906ELNS1_3gpuE6ELNS1_3repE0EEENS1_30default_config_static_selectorELNS0_4arch9wavefront6targetE1EEEvT1_
                                        ; -- End function
	.set _ZN7rocprim17ROCPRIM_400000_NS6detail17trampoline_kernelINS0_14default_configENS1_27scan_by_key_config_selectorIiiEEZZNS1_16scan_by_key_implILNS1_25lookback_scan_determinismE0ELb0ES3_PKiN6hipcub16HIPCUB_304000_NS21ConstantInputIteratorIilEEPiiNSB_3SumENSB_8EqualityEiEE10hipError_tPvRmT2_T3_T4_T5_mT6_T7_P12ihipStream_tbENKUlT_T0_E_clISt17integral_constantIbLb0EESX_EEDaSS_ST_EUlSS_E_NS1_11comp_targetILNS1_3genE2ELNS1_11target_archE906ELNS1_3gpuE6ELNS1_3repE0EEENS1_30default_config_static_selectorELNS0_4arch9wavefront6targetE1EEEvT1_.num_vgpr, 0
	.set _ZN7rocprim17ROCPRIM_400000_NS6detail17trampoline_kernelINS0_14default_configENS1_27scan_by_key_config_selectorIiiEEZZNS1_16scan_by_key_implILNS1_25lookback_scan_determinismE0ELb0ES3_PKiN6hipcub16HIPCUB_304000_NS21ConstantInputIteratorIilEEPiiNSB_3SumENSB_8EqualityEiEE10hipError_tPvRmT2_T3_T4_T5_mT6_T7_P12ihipStream_tbENKUlT_T0_E_clISt17integral_constantIbLb0EESX_EEDaSS_ST_EUlSS_E_NS1_11comp_targetILNS1_3genE2ELNS1_11target_archE906ELNS1_3gpuE6ELNS1_3repE0EEENS1_30default_config_static_selectorELNS0_4arch9wavefront6targetE1EEEvT1_.num_agpr, 0
	.set _ZN7rocprim17ROCPRIM_400000_NS6detail17trampoline_kernelINS0_14default_configENS1_27scan_by_key_config_selectorIiiEEZZNS1_16scan_by_key_implILNS1_25lookback_scan_determinismE0ELb0ES3_PKiN6hipcub16HIPCUB_304000_NS21ConstantInputIteratorIilEEPiiNSB_3SumENSB_8EqualityEiEE10hipError_tPvRmT2_T3_T4_T5_mT6_T7_P12ihipStream_tbENKUlT_T0_E_clISt17integral_constantIbLb0EESX_EEDaSS_ST_EUlSS_E_NS1_11comp_targetILNS1_3genE2ELNS1_11target_archE906ELNS1_3gpuE6ELNS1_3repE0EEENS1_30default_config_static_selectorELNS0_4arch9wavefront6targetE1EEEvT1_.numbered_sgpr, 0
	.set _ZN7rocprim17ROCPRIM_400000_NS6detail17trampoline_kernelINS0_14default_configENS1_27scan_by_key_config_selectorIiiEEZZNS1_16scan_by_key_implILNS1_25lookback_scan_determinismE0ELb0ES3_PKiN6hipcub16HIPCUB_304000_NS21ConstantInputIteratorIilEEPiiNSB_3SumENSB_8EqualityEiEE10hipError_tPvRmT2_T3_T4_T5_mT6_T7_P12ihipStream_tbENKUlT_T0_E_clISt17integral_constantIbLb0EESX_EEDaSS_ST_EUlSS_E_NS1_11comp_targetILNS1_3genE2ELNS1_11target_archE906ELNS1_3gpuE6ELNS1_3repE0EEENS1_30default_config_static_selectorELNS0_4arch9wavefront6targetE1EEEvT1_.num_named_barrier, 0
	.set _ZN7rocprim17ROCPRIM_400000_NS6detail17trampoline_kernelINS0_14default_configENS1_27scan_by_key_config_selectorIiiEEZZNS1_16scan_by_key_implILNS1_25lookback_scan_determinismE0ELb0ES3_PKiN6hipcub16HIPCUB_304000_NS21ConstantInputIteratorIilEEPiiNSB_3SumENSB_8EqualityEiEE10hipError_tPvRmT2_T3_T4_T5_mT6_T7_P12ihipStream_tbENKUlT_T0_E_clISt17integral_constantIbLb0EESX_EEDaSS_ST_EUlSS_E_NS1_11comp_targetILNS1_3genE2ELNS1_11target_archE906ELNS1_3gpuE6ELNS1_3repE0EEENS1_30default_config_static_selectorELNS0_4arch9wavefront6targetE1EEEvT1_.private_seg_size, 0
	.set _ZN7rocprim17ROCPRIM_400000_NS6detail17trampoline_kernelINS0_14default_configENS1_27scan_by_key_config_selectorIiiEEZZNS1_16scan_by_key_implILNS1_25lookback_scan_determinismE0ELb0ES3_PKiN6hipcub16HIPCUB_304000_NS21ConstantInputIteratorIilEEPiiNSB_3SumENSB_8EqualityEiEE10hipError_tPvRmT2_T3_T4_T5_mT6_T7_P12ihipStream_tbENKUlT_T0_E_clISt17integral_constantIbLb0EESX_EEDaSS_ST_EUlSS_E_NS1_11comp_targetILNS1_3genE2ELNS1_11target_archE906ELNS1_3gpuE6ELNS1_3repE0EEENS1_30default_config_static_selectorELNS0_4arch9wavefront6targetE1EEEvT1_.uses_vcc, 0
	.set _ZN7rocprim17ROCPRIM_400000_NS6detail17trampoline_kernelINS0_14default_configENS1_27scan_by_key_config_selectorIiiEEZZNS1_16scan_by_key_implILNS1_25lookback_scan_determinismE0ELb0ES3_PKiN6hipcub16HIPCUB_304000_NS21ConstantInputIteratorIilEEPiiNSB_3SumENSB_8EqualityEiEE10hipError_tPvRmT2_T3_T4_T5_mT6_T7_P12ihipStream_tbENKUlT_T0_E_clISt17integral_constantIbLb0EESX_EEDaSS_ST_EUlSS_E_NS1_11comp_targetILNS1_3genE2ELNS1_11target_archE906ELNS1_3gpuE6ELNS1_3repE0EEENS1_30default_config_static_selectorELNS0_4arch9wavefront6targetE1EEEvT1_.uses_flat_scratch, 0
	.set _ZN7rocprim17ROCPRIM_400000_NS6detail17trampoline_kernelINS0_14default_configENS1_27scan_by_key_config_selectorIiiEEZZNS1_16scan_by_key_implILNS1_25lookback_scan_determinismE0ELb0ES3_PKiN6hipcub16HIPCUB_304000_NS21ConstantInputIteratorIilEEPiiNSB_3SumENSB_8EqualityEiEE10hipError_tPvRmT2_T3_T4_T5_mT6_T7_P12ihipStream_tbENKUlT_T0_E_clISt17integral_constantIbLb0EESX_EEDaSS_ST_EUlSS_E_NS1_11comp_targetILNS1_3genE2ELNS1_11target_archE906ELNS1_3gpuE6ELNS1_3repE0EEENS1_30default_config_static_selectorELNS0_4arch9wavefront6targetE1EEEvT1_.has_dyn_sized_stack, 0
	.set _ZN7rocprim17ROCPRIM_400000_NS6detail17trampoline_kernelINS0_14default_configENS1_27scan_by_key_config_selectorIiiEEZZNS1_16scan_by_key_implILNS1_25lookback_scan_determinismE0ELb0ES3_PKiN6hipcub16HIPCUB_304000_NS21ConstantInputIteratorIilEEPiiNSB_3SumENSB_8EqualityEiEE10hipError_tPvRmT2_T3_T4_T5_mT6_T7_P12ihipStream_tbENKUlT_T0_E_clISt17integral_constantIbLb0EESX_EEDaSS_ST_EUlSS_E_NS1_11comp_targetILNS1_3genE2ELNS1_11target_archE906ELNS1_3gpuE6ELNS1_3repE0EEENS1_30default_config_static_selectorELNS0_4arch9wavefront6targetE1EEEvT1_.has_recursion, 0
	.set _ZN7rocprim17ROCPRIM_400000_NS6detail17trampoline_kernelINS0_14default_configENS1_27scan_by_key_config_selectorIiiEEZZNS1_16scan_by_key_implILNS1_25lookback_scan_determinismE0ELb0ES3_PKiN6hipcub16HIPCUB_304000_NS21ConstantInputIteratorIilEEPiiNSB_3SumENSB_8EqualityEiEE10hipError_tPvRmT2_T3_T4_T5_mT6_T7_P12ihipStream_tbENKUlT_T0_E_clISt17integral_constantIbLb0EESX_EEDaSS_ST_EUlSS_E_NS1_11comp_targetILNS1_3genE2ELNS1_11target_archE906ELNS1_3gpuE6ELNS1_3repE0EEENS1_30default_config_static_selectorELNS0_4arch9wavefront6targetE1EEEvT1_.has_indirect_call, 0
	.section	.AMDGPU.csdata,"",@progbits
; Kernel info:
; codeLenInByte = 0
; TotalNumSgprs: 6
; NumVgprs: 0
; NumAgprs: 0
; TotalNumVgprs: 0
; ScratchSize: 0
; MemoryBound: 0
; FloatMode: 240
; IeeeMode: 1
; LDSByteSize: 0 bytes/workgroup (compile time only)
; SGPRBlocks: 0
; VGPRBlocks: 0
; NumSGPRsForWavesPerEU: 6
; NumVGPRsForWavesPerEU: 1
; AccumOffset: 4
; Occupancy: 8
; WaveLimiterHint : 0
; COMPUTE_PGM_RSRC2:SCRATCH_EN: 0
; COMPUTE_PGM_RSRC2:USER_SGPR: 2
; COMPUTE_PGM_RSRC2:TRAP_HANDLER: 0
; COMPUTE_PGM_RSRC2:TGID_X_EN: 1
; COMPUTE_PGM_RSRC2:TGID_Y_EN: 0
; COMPUTE_PGM_RSRC2:TGID_Z_EN: 0
; COMPUTE_PGM_RSRC2:TIDIG_COMP_CNT: 0
; COMPUTE_PGM_RSRC3_GFX90A:ACCUM_OFFSET: 0
; COMPUTE_PGM_RSRC3_GFX90A:TG_SPLIT: 0
	.section	.text._ZN7rocprim17ROCPRIM_400000_NS6detail17trampoline_kernelINS0_14default_configENS1_27scan_by_key_config_selectorIiiEEZZNS1_16scan_by_key_implILNS1_25lookback_scan_determinismE0ELb0ES3_PKiN6hipcub16HIPCUB_304000_NS21ConstantInputIteratorIilEEPiiNSB_3SumENSB_8EqualityEiEE10hipError_tPvRmT2_T3_T4_T5_mT6_T7_P12ihipStream_tbENKUlT_T0_E_clISt17integral_constantIbLb0EESX_EEDaSS_ST_EUlSS_E_NS1_11comp_targetILNS1_3genE10ELNS1_11target_archE1200ELNS1_3gpuE4ELNS1_3repE0EEENS1_30default_config_static_selectorELNS0_4arch9wavefront6targetE1EEEvT1_,"axG",@progbits,_ZN7rocprim17ROCPRIM_400000_NS6detail17trampoline_kernelINS0_14default_configENS1_27scan_by_key_config_selectorIiiEEZZNS1_16scan_by_key_implILNS1_25lookback_scan_determinismE0ELb0ES3_PKiN6hipcub16HIPCUB_304000_NS21ConstantInputIteratorIilEEPiiNSB_3SumENSB_8EqualityEiEE10hipError_tPvRmT2_T3_T4_T5_mT6_T7_P12ihipStream_tbENKUlT_T0_E_clISt17integral_constantIbLb0EESX_EEDaSS_ST_EUlSS_E_NS1_11comp_targetILNS1_3genE10ELNS1_11target_archE1200ELNS1_3gpuE4ELNS1_3repE0EEENS1_30default_config_static_selectorELNS0_4arch9wavefront6targetE1EEEvT1_,comdat
	.protected	_ZN7rocprim17ROCPRIM_400000_NS6detail17trampoline_kernelINS0_14default_configENS1_27scan_by_key_config_selectorIiiEEZZNS1_16scan_by_key_implILNS1_25lookback_scan_determinismE0ELb0ES3_PKiN6hipcub16HIPCUB_304000_NS21ConstantInputIteratorIilEEPiiNSB_3SumENSB_8EqualityEiEE10hipError_tPvRmT2_T3_T4_T5_mT6_T7_P12ihipStream_tbENKUlT_T0_E_clISt17integral_constantIbLb0EESX_EEDaSS_ST_EUlSS_E_NS1_11comp_targetILNS1_3genE10ELNS1_11target_archE1200ELNS1_3gpuE4ELNS1_3repE0EEENS1_30default_config_static_selectorELNS0_4arch9wavefront6targetE1EEEvT1_ ; -- Begin function _ZN7rocprim17ROCPRIM_400000_NS6detail17trampoline_kernelINS0_14default_configENS1_27scan_by_key_config_selectorIiiEEZZNS1_16scan_by_key_implILNS1_25lookback_scan_determinismE0ELb0ES3_PKiN6hipcub16HIPCUB_304000_NS21ConstantInputIteratorIilEEPiiNSB_3SumENSB_8EqualityEiEE10hipError_tPvRmT2_T3_T4_T5_mT6_T7_P12ihipStream_tbENKUlT_T0_E_clISt17integral_constantIbLb0EESX_EEDaSS_ST_EUlSS_E_NS1_11comp_targetILNS1_3genE10ELNS1_11target_archE1200ELNS1_3gpuE4ELNS1_3repE0EEENS1_30default_config_static_selectorELNS0_4arch9wavefront6targetE1EEEvT1_
	.globl	_ZN7rocprim17ROCPRIM_400000_NS6detail17trampoline_kernelINS0_14default_configENS1_27scan_by_key_config_selectorIiiEEZZNS1_16scan_by_key_implILNS1_25lookback_scan_determinismE0ELb0ES3_PKiN6hipcub16HIPCUB_304000_NS21ConstantInputIteratorIilEEPiiNSB_3SumENSB_8EqualityEiEE10hipError_tPvRmT2_T3_T4_T5_mT6_T7_P12ihipStream_tbENKUlT_T0_E_clISt17integral_constantIbLb0EESX_EEDaSS_ST_EUlSS_E_NS1_11comp_targetILNS1_3genE10ELNS1_11target_archE1200ELNS1_3gpuE4ELNS1_3repE0EEENS1_30default_config_static_selectorELNS0_4arch9wavefront6targetE1EEEvT1_
	.p2align	8
	.type	_ZN7rocprim17ROCPRIM_400000_NS6detail17trampoline_kernelINS0_14default_configENS1_27scan_by_key_config_selectorIiiEEZZNS1_16scan_by_key_implILNS1_25lookback_scan_determinismE0ELb0ES3_PKiN6hipcub16HIPCUB_304000_NS21ConstantInputIteratorIilEEPiiNSB_3SumENSB_8EqualityEiEE10hipError_tPvRmT2_T3_T4_T5_mT6_T7_P12ihipStream_tbENKUlT_T0_E_clISt17integral_constantIbLb0EESX_EEDaSS_ST_EUlSS_E_NS1_11comp_targetILNS1_3genE10ELNS1_11target_archE1200ELNS1_3gpuE4ELNS1_3repE0EEENS1_30default_config_static_selectorELNS0_4arch9wavefront6targetE1EEEvT1_,@function
_ZN7rocprim17ROCPRIM_400000_NS6detail17trampoline_kernelINS0_14default_configENS1_27scan_by_key_config_selectorIiiEEZZNS1_16scan_by_key_implILNS1_25lookback_scan_determinismE0ELb0ES3_PKiN6hipcub16HIPCUB_304000_NS21ConstantInputIteratorIilEEPiiNSB_3SumENSB_8EqualityEiEE10hipError_tPvRmT2_T3_T4_T5_mT6_T7_P12ihipStream_tbENKUlT_T0_E_clISt17integral_constantIbLb0EESX_EEDaSS_ST_EUlSS_E_NS1_11comp_targetILNS1_3genE10ELNS1_11target_archE1200ELNS1_3gpuE4ELNS1_3repE0EEENS1_30default_config_static_selectorELNS0_4arch9wavefront6targetE1EEEvT1_: ; @_ZN7rocprim17ROCPRIM_400000_NS6detail17trampoline_kernelINS0_14default_configENS1_27scan_by_key_config_selectorIiiEEZZNS1_16scan_by_key_implILNS1_25lookback_scan_determinismE0ELb0ES3_PKiN6hipcub16HIPCUB_304000_NS21ConstantInputIteratorIilEEPiiNSB_3SumENSB_8EqualityEiEE10hipError_tPvRmT2_T3_T4_T5_mT6_T7_P12ihipStream_tbENKUlT_T0_E_clISt17integral_constantIbLb0EESX_EEDaSS_ST_EUlSS_E_NS1_11comp_targetILNS1_3genE10ELNS1_11target_archE1200ELNS1_3gpuE4ELNS1_3repE0EEENS1_30default_config_static_selectorELNS0_4arch9wavefront6targetE1EEEvT1_
; %bb.0:
	.section	.rodata,"a",@progbits
	.p2align	6, 0x0
	.amdhsa_kernel _ZN7rocprim17ROCPRIM_400000_NS6detail17trampoline_kernelINS0_14default_configENS1_27scan_by_key_config_selectorIiiEEZZNS1_16scan_by_key_implILNS1_25lookback_scan_determinismE0ELb0ES3_PKiN6hipcub16HIPCUB_304000_NS21ConstantInputIteratorIilEEPiiNSB_3SumENSB_8EqualityEiEE10hipError_tPvRmT2_T3_T4_T5_mT6_T7_P12ihipStream_tbENKUlT_T0_E_clISt17integral_constantIbLb0EESX_EEDaSS_ST_EUlSS_E_NS1_11comp_targetILNS1_3genE10ELNS1_11target_archE1200ELNS1_3gpuE4ELNS1_3repE0EEENS1_30default_config_static_selectorELNS0_4arch9wavefront6targetE1EEEvT1_
		.amdhsa_group_segment_fixed_size 0
		.amdhsa_private_segment_fixed_size 0
		.amdhsa_kernarg_size 120
		.amdhsa_user_sgpr_count 2
		.amdhsa_user_sgpr_dispatch_ptr 0
		.amdhsa_user_sgpr_queue_ptr 0
		.amdhsa_user_sgpr_kernarg_segment_ptr 1
		.amdhsa_user_sgpr_dispatch_id 0
		.amdhsa_user_sgpr_kernarg_preload_length 0
		.amdhsa_user_sgpr_kernarg_preload_offset 0
		.amdhsa_user_sgpr_private_segment_size 0
		.amdhsa_uses_dynamic_stack 0
		.amdhsa_enable_private_segment 0
		.amdhsa_system_sgpr_workgroup_id_x 1
		.amdhsa_system_sgpr_workgroup_id_y 0
		.amdhsa_system_sgpr_workgroup_id_z 0
		.amdhsa_system_sgpr_workgroup_info 0
		.amdhsa_system_vgpr_workitem_id 0
		.amdhsa_next_free_vgpr 1
		.amdhsa_next_free_sgpr 0
		.amdhsa_accum_offset 4
		.amdhsa_reserve_vcc 0
		.amdhsa_float_round_mode_32 0
		.amdhsa_float_round_mode_16_64 0
		.amdhsa_float_denorm_mode_32 3
		.amdhsa_float_denorm_mode_16_64 3
		.amdhsa_dx10_clamp 1
		.amdhsa_ieee_mode 1
		.amdhsa_fp16_overflow 0
		.amdhsa_tg_split 0
		.amdhsa_exception_fp_ieee_invalid_op 0
		.amdhsa_exception_fp_denorm_src 0
		.amdhsa_exception_fp_ieee_div_zero 0
		.amdhsa_exception_fp_ieee_overflow 0
		.amdhsa_exception_fp_ieee_underflow 0
		.amdhsa_exception_fp_ieee_inexact 0
		.amdhsa_exception_int_div_zero 0
	.end_amdhsa_kernel
	.section	.text._ZN7rocprim17ROCPRIM_400000_NS6detail17trampoline_kernelINS0_14default_configENS1_27scan_by_key_config_selectorIiiEEZZNS1_16scan_by_key_implILNS1_25lookback_scan_determinismE0ELb0ES3_PKiN6hipcub16HIPCUB_304000_NS21ConstantInputIteratorIilEEPiiNSB_3SumENSB_8EqualityEiEE10hipError_tPvRmT2_T3_T4_T5_mT6_T7_P12ihipStream_tbENKUlT_T0_E_clISt17integral_constantIbLb0EESX_EEDaSS_ST_EUlSS_E_NS1_11comp_targetILNS1_3genE10ELNS1_11target_archE1200ELNS1_3gpuE4ELNS1_3repE0EEENS1_30default_config_static_selectorELNS0_4arch9wavefront6targetE1EEEvT1_,"axG",@progbits,_ZN7rocprim17ROCPRIM_400000_NS6detail17trampoline_kernelINS0_14default_configENS1_27scan_by_key_config_selectorIiiEEZZNS1_16scan_by_key_implILNS1_25lookback_scan_determinismE0ELb0ES3_PKiN6hipcub16HIPCUB_304000_NS21ConstantInputIteratorIilEEPiiNSB_3SumENSB_8EqualityEiEE10hipError_tPvRmT2_T3_T4_T5_mT6_T7_P12ihipStream_tbENKUlT_T0_E_clISt17integral_constantIbLb0EESX_EEDaSS_ST_EUlSS_E_NS1_11comp_targetILNS1_3genE10ELNS1_11target_archE1200ELNS1_3gpuE4ELNS1_3repE0EEENS1_30default_config_static_selectorELNS0_4arch9wavefront6targetE1EEEvT1_,comdat
.Lfunc_end16:
	.size	_ZN7rocprim17ROCPRIM_400000_NS6detail17trampoline_kernelINS0_14default_configENS1_27scan_by_key_config_selectorIiiEEZZNS1_16scan_by_key_implILNS1_25lookback_scan_determinismE0ELb0ES3_PKiN6hipcub16HIPCUB_304000_NS21ConstantInputIteratorIilEEPiiNSB_3SumENSB_8EqualityEiEE10hipError_tPvRmT2_T3_T4_T5_mT6_T7_P12ihipStream_tbENKUlT_T0_E_clISt17integral_constantIbLb0EESX_EEDaSS_ST_EUlSS_E_NS1_11comp_targetILNS1_3genE10ELNS1_11target_archE1200ELNS1_3gpuE4ELNS1_3repE0EEENS1_30default_config_static_selectorELNS0_4arch9wavefront6targetE1EEEvT1_, .Lfunc_end16-_ZN7rocprim17ROCPRIM_400000_NS6detail17trampoline_kernelINS0_14default_configENS1_27scan_by_key_config_selectorIiiEEZZNS1_16scan_by_key_implILNS1_25lookback_scan_determinismE0ELb0ES3_PKiN6hipcub16HIPCUB_304000_NS21ConstantInputIteratorIilEEPiiNSB_3SumENSB_8EqualityEiEE10hipError_tPvRmT2_T3_T4_T5_mT6_T7_P12ihipStream_tbENKUlT_T0_E_clISt17integral_constantIbLb0EESX_EEDaSS_ST_EUlSS_E_NS1_11comp_targetILNS1_3genE10ELNS1_11target_archE1200ELNS1_3gpuE4ELNS1_3repE0EEENS1_30default_config_static_selectorELNS0_4arch9wavefront6targetE1EEEvT1_
                                        ; -- End function
	.set _ZN7rocprim17ROCPRIM_400000_NS6detail17trampoline_kernelINS0_14default_configENS1_27scan_by_key_config_selectorIiiEEZZNS1_16scan_by_key_implILNS1_25lookback_scan_determinismE0ELb0ES3_PKiN6hipcub16HIPCUB_304000_NS21ConstantInputIteratorIilEEPiiNSB_3SumENSB_8EqualityEiEE10hipError_tPvRmT2_T3_T4_T5_mT6_T7_P12ihipStream_tbENKUlT_T0_E_clISt17integral_constantIbLb0EESX_EEDaSS_ST_EUlSS_E_NS1_11comp_targetILNS1_3genE10ELNS1_11target_archE1200ELNS1_3gpuE4ELNS1_3repE0EEENS1_30default_config_static_selectorELNS0_4arch9wavefront6targetE1EEEvT1_.num_vgpr, 0
	.set _ZN7rocprim17ROCPRIM_400000_NS6detail17trampoline_kernelINS0_14default_configENS1_27scan_by_key_config_selectorIiiEEZZNS1_16scan_by_key_implILNS1_25lookback_scan_determinismE0ELb0ES3_PKiN6hipcub16HIPCUB_304000_NS21ConstantInputIteratorIilEEPiiNSB_3SumENSB_8EqualityEiEE10hipError_tPvRmT2_T3_T4_T5_mT6_T7_P12ihipStream_tbENKUlT_T0_E_clISt17integral_constantIbLb0EESX_EEDaSS_ST_EUlSS_E_NS1_11comp_targetILNS1_3genE10ELNS1_11target_archE1200ELNS1_3gpuE4ELNS1_3repE0EEENS1_30default_config_static_selectorELNS0_4arch9wavefront6targetE1EEEvT1_.num_agpr, 0
	.set _ZN7rocprim17ROCPRIM_400000_NS6detail17trampoline_kernelINS0_14default_configENS1_27scan_by_key_config_selectorIiiEEZZNS1_16scan_by_key_implILNS1_25lookback_scan_determinismE0ELb0ES3_PKiN6hipcub16HIPCUB_304000_NS21ConstantInputIteratorIilEEPiiNSB_3SumENSB_8EqualityEiEE10hipError_tPvRmT2_T3_T4_T5_mT6_T7_P12ihipStream_tbENKUlT_T0_E_clISt17integral_constantIbLb0EESX_EEDaSS_ST_EUlSS_E_NS1_11comp_targetILNS1_3genE10ELNS1_11target_archE1200ELNS1_3gpuE4ELNS1_3repE0EEENS1_30default_config_static_selectorELNS0_4arch9wavefront6targetE1EEEvT1_.numbered_sgpr, 0
	.set _ZN7rocprim17ROCPRIM_400000_NS6detail17trampoline_kernelINS0_14default_configENS1_27scan_by_key_config_selectorIiiEEZZNS1_16scan_by_key_implILNS1_25lookback_scan_determinismE0ELb0ES3_PKiN6hipcub16HIPCUB_304000_NS21ConstantInputIteratorIilEEPiiNSB_3SumENSB_8EqualityEiEE10hipError_tPvRmT2_T3_T4_T5_mT6_T7_P12ihipStream_tbENKUlT_T0_E_clISt17integral_constantIbLb0EESX_EEDaSS_ST_EUlSS_E_NS1_11comp_targetILNS1_3genE10ELNS1_11target_archE1200ELNS1_3gpuE4ELNS1_3repE0EEENS1_30default_config_static_selectorELNS0_4arch9wavefront6targetE1EEEvT1_.num_named_barrier, 0
	.set _ZN7rocprim17ROCPRIM_400000_NS6detail17trampoline_kernelINS0_14default_configENS1_27scan_by_key_config_selectorIiiEEZZNS1_16scan_by_key_implILNS1_25lookback_scan_determinismE0ELb0ES3_PKiN6hipcub16HIPCUB_304000_NS21ConstantInputIteratorIilEEPiiNSB_3SumENSB_8EqualityEiEE10hipError_tPvRmT2_T3_T4_T5_mT6_T7_P12ihipStream_tbENKUlT_T0_E_clISt17integral_constantIbLb0EESX_EEDaSS_ST_EUlSS_E_NS1_11comp_targetILNS1_3genE10ELNS1_11target_archE1200ELNS1_3gpuE4ELNS1_3repE0EEENS1_30default_config_static_selectorELNS0_4arch9wavefront6targetE1EEEvT1_.private_seg_size, 0
	.set _ZN7rocprim17ROCPRIM_400000_NS6detail17trampoline_kernelINS0_14default_configENS1_27scan_by_key_config_selectorIiiEEZZNS1_16scan_by_key_implILNS1_25lookback_scan_determinismE0ELb0ES3_PKiN6hipcub16HIPCUB_304000_NS21ConstantInputIteratorIilEEPiiNSB_3SumENSB_8EqualityEiEE10hipError_tPvRmT2_T3_T4_T5_mT6_T7_P12ihipStream_tbENKUlT_T0_E_clISt17integral_constantIbLb0EESX_EEDaSS_ST_EUlSS_E_NS1_11comp_targetILNS1_3genE10ELNS1_11target_archE1200ELNS1_3gpuE4ELNS1_3repE0EEENS1_30default_config_static_selectorELNS0_4arch9wavefront6targetE1EEEvT1_.uses_vcc, 0
	.set _ZN7rocprim17ROCPRIM_400000_NS6detail17trampoline_kernelINS0_14default_configENS1_27scan_by_key_config_selectorIiiEEZZNS1_16scan_by_key_implILNS1_25lookback_scan_determinismE0ELb0ES3_PKiN6hipcub16HIPCUB_304000_NS21ConstantInputIteratorIilEEPiiNSB_3SumENSB_8EqualityEiEE10hipError_tPvRmT2_T3_T4_T5_mT6_T7_P12ihipStream_tbENKUlT_T0_E_clISt17integral_constantIbLb0EESX_EEDaSS_ST_EUlSS_E_NS1_11comp_targetILNS1_3genE10ELNS1_11target_archE1200ELNS1_3gpuE4ELNS1_3repE0EEENS1_30default_config_static_selectorELNS0_4arch9wavefront6targetE1EEEvT1_.uses_flat_scratch, 0
	.set _ZN7rocprim17ROCPRIM_400000_NS6detail17trampoline_kernelINS0_14default_configENS1_27scan_by_key_config_selectorIiiEEZZNS1_16scan_by_key_implILNS1_25lookback_scan_determinismE0ELb0ES3_PKiN6hipcub16HIPCUB_304000_NS21ConstantInputIteratorIilEEPiiNSB_3SumENSB_8EqualityEiEE10hipError_tPvRmT2_T3_T4_T5_mT6_T7_P12ihipStream_tbENKUlT_T0_E_clISt17integral_constantIbLb0EESX_EEDaSS_ST_EUlSS_E_NS1_11comp_targetILNS1_3genE10ELNS1_11target_archE1200ELNS1_3gpuE4ELNS1_3repE0EEENS1_30default_config_static_selectorELNS0_4arch9wavefront6targetE1EEEvT1_.has_dyn_sized_stack, 0
	.set _ZN7rocprim17ROCPRIM_400000_NS6detail17trampoline_kernelINS0_14default_configENS1_27scan_by_key_config_selectorIiiEEZZNS1_16scan_by_key_implILNS1_25lookback_scan_determinismE0ELb0ES3_PKiN6hipcub16HIPCUB_304000_NS21ConstantInputIteratorIilEEPiiNSB_3SumENSB_8EqualityEiEE10hipError_tPvRmT2_T3_T4_T5_mT6_T7_P12ihipStream_tbENKUlT_T0_E_clISt17integral_constantIbLb0EESX_EEDaSS_ST_EUlSS_E_NS1_11comp_targetILNS1_3genE10ELNS1_11target_archE1200ELNS1_3gpuE4ELNS1_3repE0EEENS1_30default_config_static_selectorELNS0_4arch9wavefront6targetE1EEEvT1_.has_recursion, 0
	.set _ZN7rocprim17ROCPRIM_400000_NS6detail17trampoline_kernelINS0_14default_configENS1_27scan_by_key_config_selectorIiiEEZZNS1_16scan_by_key_implILNS1_25lookback_scan_determinismE0ELb0ES3_PKiN6hipcub16HIPCUB_304000_NS21ConstantInputIteratorIilEEPiiNSB_3SumENSB_8EqualityEiEE10hipError_tPvRmT2_T3_T4_T5_mT6_T7_P12ihipStream_tbENKUlT_T0_E_clISt17integral_constantIbLb0EESX_EEDaSS_ST_EUlSS_E_NS1_11comp_targetILNS1_3genE10ELNS1_11target_archE1200ELNS1_3gpuE4ELNS1_3repE0EEENS1_30default_config_static_selectorELNS0_4arch9wavefront6targetE1EEEvT1_.has_indirect_call, 0
	.section	.AMDGPU.csdata,"",@progbits
; Kernel info:
; codeLenInByte = 0
; TotalNumSgprs: 6
; NumVgprs: 0
; NumAgprs: 0
; TotalNumVgprs: 0
; ScratchSize: 0
; MemoryBound: 0
; FloatMode: 240
; IeeeMode: 1
; LDSByteSize: 0 bytes/workgroup (compile time only)
; SGPRBlocks: 0
; VGPRBlocks: 0
; NumSGPRsForWavesPerEU: 6
; NumVGPRsForWavesPerEU: 1
; AccumOffset: 4
; Occupancy: 8
; WaveLimiterHint : 0
; COMPUTE_PGM_RSRC2:SCRATCH_EN: 0
; COMPUTE_PGM_RSRC2:USER_SGPR: 2
; COMPUTE_PGM_RSRC2:TRAP_HANDLER: 0
; COMPUTE_PGM_RSRC2:TGID_X_EN: 1
; COMPUTE_PGM_RSRC2:TGID_Y_EN: 0
; COMPUTE_PGM_RSRC2:TGID_Z_EN: 0
; COMPUTE_PGM_RSRC2:TIDIG_COMP_CNT: 0
; COMPUTE_PGM_RSRC3_GFX90A:ACCUM_OFFSET: 0
; COMPUTE_PGM_RSRC3_GFX90A:TG_SPLIT: 0
	.section	.text._ZN7rocprim17ROCPRIM_400000_NS6detail17trampoline_kernelINS0_14default_configENS1_27scan_by_key_config_selectorIiiEEZZNS1_16scan_by_key_implILNS1_25lookback_scan_determinismE0ELb0ES3_PKiN6hipcub16HIPCUB_304000_NS21ConstantInputIteratorIilEEPiiNSB_3SumENSB_8EqualityEiEE10hipError_tPvRmT2_T3_T4_T5_mT6_T7_P12ihipStream_tbENKUlT_T0_E_clISt17integral_constantIbLb0EESX_EEDaSS_ST_EUlSS_E_NS1_11comp_targetILNS1_3genE9ELNS1_11target_archE1100ELNS1_3gpuE3ELNS1_3repE0EEENS1_30default_config_static_selectorELNS0_4arch9wavefront6targetE1EEEvT1_,"axG",@progbits,_ZN7rocprim17ROCPRIM_400000_NS6detail17trampoline_kernelINS0_14default_configENS1_27scan_by_key_config_selectorIiiEEZZNS1_16scan_by_key_implILNS1_25lookback_scan_determinismE0ELb0ES3_PKiN6hipcub16HIPCUB_304000_NS21ConstantInputIteratorIilEEPiiNSB_3SumENSB_8EqualityEiEE10hipError_tPvRmT2_T3_T4_T5_mT6_T7_P12ihipStream_tbENKUlT_T0_E_clISt17integral_constantIbLb0EESX_EEDaSS_ST_EUlSS_E_NS1_11comp_targetILNS1_3genE9ELNS1_11target_archE1100ELNS1_3gpuE3ELNS1_3repE0EEENS1_30default_config_static_selectorELNS0_4arch9wavefront6targetE1EEEvT1_,comdat
	.protected	_ZN7rocprim17ROCPRIM_400000_NS6detail17trampoline_kernelINS0_14default_configENS1_27scan_by_key_config_selectorIiiEEZZNS1_16scan_by_key_implILNS1_25lookback_scan_determinismE0ELb0ES3_PKiN6hipcub16HIPCUB_304000_NS21ConstantInputIteratorIilEEPiiNSB_3SumENSB_8EqualityEiEE10hipError_tPvRmT2_T3_T4_T5_mT6_T7_P12ihipStream_tbENKUlT_T0_E_clISt17integral_constantIbLb0EESX_EEDaSS_ST_EUlSS_E_NS1_11comp_targetILNS1_3genE9ELNS1_11target_archE1100ELNS1_3gpuE3ELNS1_3repE0EEENS1_30default_config_static_selectorELNS0_4arch9wavefront6targetE1EEEvT1_ ; -- Begin function _ZN7rocprim17ROCPRIM_400000_NS6detail17trampoline_kernelINS0_14default_configENS1_27scan_by_key_config_selectorIiiEEZZNS1_16scan_by_key_implILNS1_25lookback_scan_determinismE0ELb0ES3_PKiN6hipcub16HIPCUB_304000_NS21ConstantInputIteratorIilEEPiiNSB_3SumENSB_8EqualityEiEE10hipError_tPvRmT2_T3_T4_T5_mT6_T7_P12ihipStream_tbENKUlT_T0_E_clISt17integral_constantIbLb0EESX_EEDaSS_ST_EUlSS_E_NS1_11comp_targetILNS1_3genE9ELNS1_11target_archE1100ELNS1_3gpuE3ELNS1_3repE0EEENS1_30default_config_static_selectorELNS0_4arch9wavefront6targetE1EEEvT1_
	.globl	_ZN7rocprim17ROCPRIM_400000_NS6detail17trampoline_kernelINS0_14default_configENS1_27scan_by_key_config_selectorIiiEEZZNS1_16scan_by_key_implILNS1_25lookback_scan_determinismE0ELb0ES3_PKiN6hipcub16HIPCUB_304000_NS21ConstantInputIteratorIilEEPiiNSB_3SumENSB_8EqualityEiEE10hipError_tPvRmT2_T3_T4_T5_mT6_T7_P12ihipStream_tbENKUlT_T0_E_clISt17integral_constantIbLb0EESX_EEDaSS_ST_EUlSS_E_NS1_11comp_targetILNS1_3genE9ELNS1_11target_archE1100ELNS1_3gpuE3ELNS1_3repE0EEENS1_30default_config_static_selectorELNS0_4arch9wavefront6targetE1EEEvT1_
	.p2align	8
	.type	_ZN7rocprim17ROCPRIM_400000_NS6detail17trampoline_kernelINS0_14default_configENS1_27scan_by_key_config_selectorIiiEEZZNS1_16scan_by_key_implILNS1_25lookback_scan_determinismE0ELb0ES3_PKiN6hipcub16HIPCUB_304000_NS21ConstantInputIteratorIilEEPiiNSB_3SumENSB_8EqualityEiEE10hipError_tPvRmT2_T3_T4_T5_mT6_T7_P12ihipStream_tbENKUlT_T0_E_clISt17integral_constantIbLb0EESX_EEDaSS_ST_EUlSS_E_NS1_11comp_targetILNS1_3genE9ELNS1_11target_archE1100ELNS1_3gpuE3ELNS1_3repE0EEENS1_30default_config_static_selectorELNS0_4arch9wavefront6targetE1EEEvT1_,@function
_ZN7rocprim17ROCPRIM_400000_NS6detail17trampoline_kernelINS0_14default_configENS1_27scan_by_key_config_selectorIiiEEZZNS1_16scan_by_key_implILNS1_25lookback_scan_determinismE0ELb0ES3_PKiN6hipcub16HIPCUB_304000_NS21ConstantInputIteratorIilEEPiiNSB_3SumENSB_8EqualityEiEE10hipError_tPvRmT2_T3_T4_T5_mT6_T7_P12ihipStream_tbENKUlT_T0_E_clISt17integral_constantIbLb0EESX_EEDaSS_ST_EUlSS_E_NS1_11comp_targetILNS1_3genE9ELNS1_11target_archE1100ELNS1_3gpuE3ELNS1_3repE0EEENS1_30default_config_static_selectorELNS0_4arch9wavefront6targetE1EEEvT1_: ; @_ZN7rocprim17ROCPRIM_400000_NS6detail17trampoline_kernelINS0_14default_configENS1_27scan_by_key_config_selectorIiiEEZZNS1_16scan_by_key_implILNS1_25lookback_scan_determinismE0ELb0ES3_PKiN6hipcub16HIPCUB_304000_NS21ConstantInputIteratorIilEEPiiNSB_3SumENSB_8EqualityEiEE10hipError_tPvRmT2_T3_T4_T5_mT6_T7_P12ihipStream_tbENKUlT_T0_E_clISt17integral_constantIbLb0EESX_EEDaSS_ST_EUlSS_E_NS1_11comp_targetILNS1_3genE9ELNS1_11target_archE1100ELNS1_3gpuE3ELNS1_3repE0EEENS1_30default_config_static_selectorELNS0_4arch9wavefront6targetE1EEEvT1_
; %bb.0:
	.section	.rodata,"a",@progbits
	.p2align	6, 0x0
	.amdhsa_kernel _ZN7rocprim17ROCPRIM_400000_NS6detail17trampoline_kernelINS0_14default_configENS1_27scan_by_key_config_selectorIiiEEZZNS1_16scan_by_key_implILNS1_25lookback_scan_determinismE0ELb0ES3_PKiN6hipcub16HIPCUB_304000_NS21ConstantInputIteratorIilEEPiiNSB_3SumENSB_8EqualityEiEE10hipError_tPvRmT2_T3_T4_T5_mT6_T7_P12ihipStream_tbENKUlT_T0_E_clISt17integral_constantIbLb0EESX_EEDaSS_ST_EUlSS_E_NS1_11comp_targetILNS1_3genE9ELNS1_11target_archE1100ELNS1_3gpuE3ELNS1_3repE0EEENS1_30default_config_static_selectorELNS0_4arch9wavefront6targetE1EEEvT1_
		.amdhsa_group_segment_fixed_size 0
		.amdhsa_private_segment_fixed_size 0
		.amdhsa_kernarg_size 120
		.amdhsa_user_sgpr_count 2
		.amdhsa_user_sgpr_dispatch_ptr 0
		.amdhsa_user_sgpr_queue_ptr 0
		.amdhsa_user_sgpr_kernarg_segment_ptr 1
		.amdhsa_user_sgpr_dispatch_id 0
		.amdhsa_user_sgpr_kernarg_preload_length 0
		.amdhsa_user_sgpr_kernarg_preload_offset 0
		.amdhsa_user_sgpr_private_segment_size 0
		.amdhsa_uses_dynamic_stack 0
		.amdhsa_enable_private_segment 0
		.amdhsa_system_sgpr_workgroup_id_x 1
		.amdhsa_system_sgpr_workgroup_id_y 0
		.amdhsa_system_sgpr_workgroup_id_z 0
		.amdhsa_system_sgpr_workgroup_info 0
		.amdhsa_system_vgpr_workitem_id 0
		.amdhsa_next_free_vgpr 1
		.amdhsa_next_free_sgpr 0
		.amdhsa_accum_offset 4
		.amdhsa_reserve_vcc 0
		.amdhsa_float_round_mode_32 0
		.amdhsa_float_round_mode_16_64 0
		.amdhsa_float_denorm_mode_32 3
		.amdhsa_float_denorm_mode_16_64 3
		.amdhsa_dx10_clamp 1
		.amdhsa_ieee_mode 1
		.amdhsa_fp16_overflow 0
		.amdhsa_tg_split 0
		.amdhsa_exception_fp_ieee_invalid_op 0
		.amdhsa_exception_fp_denorm_src 0
		.amdhsa_exception_fp_ieee_div_zero 0
		.amdhsa_exception_fp_ieee_overflow 0
		.amdhsa_exception_fp_ieee_underflow 0
		.amdhsa_exception_fp_ieee_inexact 0
		.amdhsa_exception_int_div_zero 0
	.end_amdhsa_kernel
	.section	.text._ZN7rocprim17ROCPRIM_400000_NS6detail17trampoline_kernelINS0_14default_configENS1_27scan_by_key_config_selectorIiiEEZZNS1_16scan_by_key_implILNS1_25lookback_scan_determinismE0ELb0ES3_PKiN6hipcub16HIPCUB_304000_NS21ConstantInputIteratorIilEEPiiNSB_3SumENSB_8EqualityEiEE10hipError_tPvRmT2_T3_T4_T5_mT6_T7_P12ihipStream_tbENKUlT_T0_E_clISt17integral_constantIbLb0EESX_EEDaSS_ST_EUlSS_E_NS1_11comp_targetILNS1_3genE9ELNS1_11target_archE1100ELNS1_3gpuE3ELNS1_3repE0EEENS1_30default_config_static_selectorELNS0_4arch9wavefront6targetE1EEEvT1_,"axG",@progbits,_ZN7rocprim17ROCPRIM_400000_NS6detail17trampoline_kernelINS0_14default_configENS1_27scan_by_key_config_selectorIiiEEZZNS1_16scan_by_key_implILNS1_25lookback_scan_determinismE0ELb0ES3_PKiN6hipcub16HIPCUB_304000_NS21ConstantInputIteratorIilEEPiiNSB_3SumENSB_8EqualityEiEE10hipError_tPvRmT2_T3_T4_T5_mT6_T7_P12ihipStream_tbENKUlT_T0_E_clISt17integral_constantIbLb0EESX_EEDaSS_ST_EUlSS_E_NS1_11comp_targetILNS1_3genE9ELNS1_11target_archE1100ELNS1_3gpuE3ELNS1_3repE0EEENS1_30default_config_static_selectorELNS0_4arch9wavefront6targetE1EEEvT1_,comdat
.Lfunc_end17:
	.size	_ZN7rocprim17ROCPRIM_400000_NS6detail17trampoline_kernelINS0_14default_configENS1_27scan_by_key_config_selectorIiiEEZZNS1_16scan_by_key_implILNS1_25lookback_scan_determinismE0ELb0ES3_PKiN6hipcub16HIPCUB_304000_NS21ConstantInputIteratorIilEEPiiNSB_3SumENSB_8EqualityEiEE10hipError_tPvRmT2_T3_T4_T5_mT6_T7_P12ihipStream_tbENKUlT_T0_E_clISt17integral_constantIbLb0EESX_EEDaSS_ST_EUlSS_E_NS1_11comp_targetILNS1_3genE9ELNS1_11target_archE1100ELNS1_3gpuE3ELNS1_3repE0EEENS1_30default_config_static_selectorELNS0_4arch9wavefront6targetE1EEEvT1_, .Lfunc_end17-_ZN7rocprim17ROCPRIM_400000_NS6detail17trampoline_kernelINS0_14default_configENS1_27scan_by_key_config_selectorIiiEEZZNS1_16scan_by_key_implILNS1_25lookback_scan_determinismE0ELb0ES3_PKiN6hipcub16HIPCUB_304000_NS21ConstantInputIteratorIilEEPiiNSB_3SumENSB_8EqualityEiEE10hipError_tPvRmT2_T3_T4_T5_mT6_T7_P12ihipStream_tbENKUlT_T0_E_clISt17integral_constantIbLb0EESX_EEDaSS_ST_EUlSS_E_NS1_11comp_targetILNS1_3genE9ELNS1_11target_archE1100ELNS1_3gpuE3ELNS1_3repE0EEENS1_30default_config_static_selectorELNS0_4arch9wavefront6targetE1EEEvT1_
                                        ; -- End function
	.set _ZN7rocprim17ROCPRIM_400000_NS6detail17trampoline_kernelINS0_14default_configENS1_27scan_by_key_config_selectorIiiEEZZNS1_16scan_by_key_implILNS1_25lookback_scan_determinismE0ELb0ES3_PKiN6hipcub16HIPCUB_304000_NS21ConstantInputIteratorIilEEPiiNSB_3SumENSB_8EqualityEiEE10hipError_tPvRmT2_T3_T4_T5_mT6_T7_P12ihipStream_tbENKUlT_T0_E_clISt17integral_constantIbLb0EESX_EEDaSS_ST_EUlSS_E_NS1_11comp_targetILNS1_3genE9ELNS1_11target_archE1100ELNS1_3gpuE3ELNS1_3repE0EEENS1_30default_config_static_selectorELNS0_4arch9wavefront6targetE1EEEvT1_.num_vgpr, 0
	.set _ZN7rocprim17ROCPRIM_400000_NS6detail17trampoline_kernelINS0_14default_configENS1_27scan_by_key_config_selectorIiiEEZZNS1_16scan_by_key_implILNS1_25lookback_scan_determinismE0ELb0ES3_PKiN6hipcub16HIPCUB_304000_NS21ConstantInputIteratorIilEEPiiNSB_3SumENSB_8EqualityEiEE10hipError_tPvRmT2_T3_T4_T5_mT6_T7_P12ihipStream_tbENKUlT_T0_E_clISt17integral_constantIbLb0EESX_EEDaSS_ST_EUlSS_E_NS1_11comp_targetILNS1_3genE9ELNS1_11target_archE1100ELNS1_3gpuE3ELNS1_3repE0EEENS1_30default_config_static_selectorELNS0_4arch9wavefront6targetE1EEEvT1_.num_agpr, 0
	.set _ZN7rocprim17ROCPRIM_400000_NS6detail17trampoline_kernelINS0_14default_configENS1_27scan_by_key_config_selectorIiiEEZZNS1_16scan_by_key_implILNS1_25lookback_scan_determinismE0ELb0ES3_PKiN6hipcub16HIPCUB_304000_NS21ConstantInputIteratorIilEEPiiNSB_3SumENSB_8EqualityEiEE10hipError_tPvRmT2_T3_T4_T5_mT6_T7_P12ihipStream_tbENKUlT_T0_E_clISt17integral_constantIbLb0EESX_EEDaSS_ST_EUlSS_E_NS1_11comp_targetILNS1_3genE9ELNS1_11target_archE1100ELNS1_3gpuE3ELNS1_3repE0EEENS1_30default_config_static_selectorELNS0_4arch9wavefront6targetE1EEEvT1_.numbered_sgpr, 0
	.set _ZN7rocprim17ROCPRIM_400000_NS6detail17trampoline_kernelINS0_14default_configENS1_27scan_by_key_config_selectorIiiEEZZNS1_16scan_by_key_implILNS1_25lookback_scan_determinismE0ELb0ES3_PKiN6hipcub16HIPCUB_304000_NS21ConstantInputIteratorIilEEPiiNSB_3SumENSB_8EqualityEiEE10hipError_tPvRmT2_T3_T4_T5_mT6_T7_P12ihipStream_tbENKUlT_T0_E_clISt17integral_constantIbLb0EESX_EEDaSS_ST_EUlSS_E_NS1_11comp_targetILNS1_3genE9ELNS1_11target_archE1100ELNS1_3gpuE3ELNS1_3repE0EEENS1_30default_config_static_selectorELNS0_4arch9wavefront6targetE1EEEvT1_.num_named_barrier, 0
	.set _ZN7rocprim17ROCPRIM_400000_NS6detail17trampoline_kernelINS0_14default_configENS1_27scan_by_key_config_selectorIiiEEZZNS1_16scan_by_key_implILNS1_25lookback_scan_determinismE0ELb0ES3_PKiN6hipcub16HIPCUB_304000_NS21ConstantInputIteratorIilEEPiiNSB_3SumENSB_8EqualityEiEE10hipError_tPvRmT2_T3_T4_T5_mT6_T7_P12ihipStream_tbENKUlT_T0_E_clISt17integral_constantIbLb0EESX_EEDaSS_ST_EUlSS_E_NS1_11comp_targetILNS1_3genE9ELNS1_11target_archE1100ELNS1_3gpuE3ELNS1_3repE0EEENS1_30default_config_static_selectorELNS0_4arch9wavefront6targetE1EEEvT1_.private_seg_size, 0
	.set _ZN7rocprim17ROCPRIM_400000_NS6detail17trampoline_kernelINS0_14default_configENS1_27scan_by_key_config_selectorIiiEEZZNS1_16scan_by_key_implILNS1_25lookback_scan_determinismE0ELb0ES3_PKiN6hipcub16HIPCUB_304000_NS21ConstantInputIteratorIilEEPiiNSB_3SumENSB_8EqualityEiEE10hipError_tPvRmT2_T3_T4_T5_mT6_T7_P12ihipStream_tbENKUlT_T0_E_clISt17integral_constantIbLb0EESX_EEDaSS_ST_EUlSS_E_NS1_11comp_targetILNS1_3genE9ELNS1_11target_archE1100ELNS1_3gpuE3ELNS1_3repE0EEENS1_30default_config_static_selectorELNS0_4arch9wavefront6targetE1EEEvT1_.uses_vcc, 0
	.set _ZN7rocprim17ROCPRIM_400000_NS6detail17trampoline_kernelINS0_14default_configENS1_27scan_by_key_config_selectorIiiEEZZNS1_16scan_by_key_implILNS1_25lookback_scan_determinismE0ELb0ES3_PKiN6hipcub16HIPCUB_304000_NS21ConstantInputIteratorIilEEPiiNSB_3SumENSB_8EqualityEiEE10hipError_tPvRmT2_T3_T4_T5_mT6_T7_P12ihipStream_tbENKUlT_T0_E_clISt17integral_constantIbLb0EESX_EEDaSS_ST_EUlSS_E_NS1_11comp_targetILNS1_3genE9ELNS1_11target_archE1100ELNS1_3gpuE3ELNS1_3repE0EEENS1_30default_config_static_selectorELNS0_4arch9wavefront6targetE1EEEvT1_.uses_flat_scratch, 0
	.set _ZN7rocprim17ROCPRIM_400000_NS6detail17trampoline_kernelINS0_14default_configENS1_27scan_by_key_config_selectorIiiEEZZNS1_16scan_by_key_implILNS1_25lookback_scan_determinismE0ELb0ES3_PKiN6hipcub16HIPCUB_304000_NS21ConstantInputIteratorIilEEPiiNSB_3SumENSB_8EqualityEiEE10hipError_tPvRmT2_T3_T4_T5_mT6_T7_P12ihipStream_tbENKUlT_T0_E_clISt17integral_constantIbLb0EESX_EEDaSS_ST_EUlSS_E_NS1_11comp_targetILNS1_3genE9ELNS1_11target_archE1100ELNS1_3gpuE3ELNS1_3repE0EEENS1_30default_config_static_selectorELNS0_4arch9wavefront6targetE1EEEvT1_.has_dyn_sized_stack, 0
	.set _ZN7rocprim17ROCPRIM_400000_NS6detail17trampoline_kernelINS0_14default_configENS1_27scan_by_key_config_selectorIiiEEZZNS1_16scan_by_key_implILNS1_25lookback_scan_determinismE0ELb0ES3_PKiN6hipcub16HIPCUB_304000_NS21ConstantInputIteratorIilEEPiiNSB_3SumENSB_8EqualityEiEE10hipError_tPvRmT2_T3_T4_T5_mT6_T7_P12ihipStream_tbENKUlT_T0_E_clISt17integral_constantIbLb0EESX_EEDaSS_ST_EUlSS_E_NS1_11comp_targetILNS1_3genE9ELNS1_11target_archE1100ELNS1_3gpuE3ELNS1_3repE0EEENS1_30default_config_static_selectorELNS0_4arch9wavefront6targetE1EEEvT1_.has_recursion, 0
	.set _ZN7rocprim17ROCPRIM_400000_NS6detail17trampoline_kernelINS0_14default_configENS1_27scan_by_key_config_selectorIiiEEZZNS1_16scan_by_key_implILNS1_25lookback_scan_determinismE0ELb0ES3_PKiN6hipcub16HIPCUB_304000_NS21ConstantInputIteratorIilEEPiiNSB_3SumENSB_8EqualityEiEE10hipError_tPvRmT2_T3_T4_T5_mT6_T7_P12ihipStream_tbENKUlT_T0_E_clISt17integral_constantIbLb0EESX_EEDaSS_ST_EUlSS_E_NS1_11comp_targetILNS1_3genE9ELNS1_11target_archE1100ELNS1_3gpuE3ELNS1_3repE0EEENS1_30default_config_static_selectorELNS0_4arch9wavefront6targetE1EEEvT1_.has_indirect_call, 0
	.section	.AMDGPU.csdata,"",@progbits
; Kernel info:
; codeLenInByte = 0
; TotalNumSgprs: 6
; NumVgprs: 0
; NumAgprs: 0
; TotalNumVgprs: 0
; ScratchSize: 0
; MemoryBound: 0
; FloatMode: 240
; IeeeMode: 1
; LDSByteSize: 0 bytes/workgroup (compile time only)
; SGPRBlocks: 0
; VGPRBlocks: 0
; NumSGPRsForWavesPerEU: 6
; NumVGPRsForWavesPerEU: 1
; AccumOffset: 4
; Occupancy: 8
; WaveLimiterHint : 0
; COMPUTE_PGM_RSRC2:SCRATCH_EN: 0
; COMPUTE_PGM_RSRC2:USER_SGPR: 2
; COMPUTE_PGM_RSRC2:TRAP_HANDLER: 0
; COMPUTE_PGM_RSRC2:TGID_X_EN: 1
; COMPUTE_PGM_RSRC2:TGID_Y_EN: 0
; COMPUTE_PGM_RSRC2:TGID_Z_EN: 0
; COMPUTE_PGM_RSRC2:TIDIG_COMP_CNT: 0
; COMPUTE_PGM_RSRC3_GFX90A:ACCUM_OFFSET: 0
; COMPUTE_PGM_RSRC3_GFX90A:TG_SPLIT: 0
	.section	.text._ZN7rocprim17ROCPRIM_400000_NS6detail17trampoline_kernelINS0_14default_configENS1_27scan_by_key_config_selectorIiiEEZZNS1_16scan_by_key_implILNS1_25lookback_scan_determinismE0ELb0ES3_PKiN6hipcub16HIPCUB_304000_NS21ConstantInputIteratorIilEEPiiNSB_3SumENSB_8EqualityEiEE10hipError_tPvRmT2_T3_T4_T5_mT6_T7_P12ihipStream_tbENKUlT_T0_E_clISt17integral_constantIbLb0EESX_EEDaSS_ST_EUlSS_E_NS1_11comp_targetILNS1_3genE8ELNS1_11target_archE1030ELNS1_3gpuE2ELNS1_3repE0EEENS1_30default_config_static_selectorELNS0_4arch9wavefront6targetE1EEEvT1_,"axG",@progbits,_ZN7rocprim17ROCPRIM_400000_NS6detail17trampoline_kernelINS0_14default_configENS1_27scan_by_key_config_selectorIiiEEZZNS1_16scan_by_key_implILNS1_25lookback_scan_determinismE0ELb0ES3_PKiN6hipcub16HIPCUB_304000_NS21ConstantInputIteratorIilEEPiiNSB_3SumENSB_8EqualityEiEE10hipError_tPvRmT2_T3_T4_T5_mT6_T7_P12ihipStream_tbENKUlT_T0_E_clISt17integral_constantIbLb0EESX_EEDaSS_ST_EUlSS_E_NS1_11comp_targetILNS1_3genE8ELNS1_11target_archE1030ELNS1_3gpuE2ELNS1_3repE0EEENS1_30default_config_static_selectorELNS0_4arch9wavefront6targetE1EEEvT1_,comdat
	.protected	_ZN7rocprim17ROCPRIM_400000_NS6detail17trampoline_kernelINS0_14default_configENS1_27scan_by_key_config_selectorIiiEEZZNS1_16scan_by_key_implILNS1_25lookback_scan_determinismE0ELb0ES3_PKiN6hipcub16HIPCUB_304000_NS21ConstantInputIteratorIilEEPiiNSB_3SumENSB_8EqualityEiEE10hipError_tPvRmT2_T3_T4_T5_mT6_T7_P12ihipStream_tbENKUlT_T0_E_clISt17integral_constantIbLb0EESX_EEDaSS_ST_EUlSS_E_NS1_11comp_targetILNS1_3genE8ELNS1_11target_archE1030ELNS1_3gpuE2ELNS1_3repE0EEENS1_30default_config_static_selectorELNS0_4arch9wavefront6targetE1EEEvT1_ ; -- Begin function _ZN7rocprim17ROCPRIM_400000_NS6detail17trampoline_kernelINS0_14default_configENS1_27scan_by_key_config_selectorIiiEEZZNS1_16scan_by_key_implILNS1_25lookback_scan_determinismE0ELb0ES3_PKiN6hipcub16HIPCUB_304000_NS21ConstantInputIteratorIilEEPiiNSB_3SumENSB_8EqualityEiEE10hipError_tPvRmT2_T3_T4_T5_mT6_T7_P12ihipStream_tbENKUlT_T0_E_clISt17integral_constantIbLb0EESX_EEDaSS_ST_EUlSS_E_NS1_11comp_targetILNS1_3genE8ELNS1_11target_archE1030ELNS1_3gpuE2ELNS1_3repE0EEENS1_30default_config_static_selectorELNS0_4arch9wavefront6targetE1EEEvT1_
	.globl	_ZN7rocprim17ROCPRIM_400000_NS6detail17trampoline_kernelINS0_14default_configENS1_27scan_by_key_config_selectorIiiEEZZNS1_16scan_by_key_implILNS1_25lookback_scan_determinismE0ELb0ES3_PKiN6hipcub16HIPCUB_304000_NS21ConstantInputIteratorIilEEPiiNSB_3SumENSB_8EqualityEiEE10hipError_tPvRmT2_T3_T4_T5_mT6_T7_P12ihipStream_tbENKUlT_T0_E_clISt17integral_constantIbLb0EESX_EEDaSS_ST_EUlSS_E_NS1_11comp_targetILNS1_3genE8ELNS1_11target_archE1030ELNS1_3gpuE2ELNS1_3repE0EEENS1_30default_config_static_selectorELNS0_4arch9wavefront6targetE1EEEvT1_
	.p2align	8
	.type	_ZN7rocprim17ROCPRIM_400000_NS6detail17trampoline_kernelINS0_14default_configENS1_27scan_by_key_config_selectorIiiEEZZNS1_16scan_by_key_implILNS1_25lookback_scan_determinismE0ELb0ES3_PKiN6hipcub16HIPCUB_304000_NS21ConstantInputIteratorIilEEPiiNSB_3SumENSB_8EqualityEiEE10hipError_tPvRmT2_T3_T4_T5_mT6_T7_P12ihipStream_tbENKUlT_T0_E_clISt17integral_constantIbLb0EESX_EEDaSS_ST_EUlSS_E_NS1_11comp_targetILNS1_3genE8ELNS1_11target_archE1030ELNS1_3gpuE2ELNS1_3repE0EEENS1_30default_config_static_selectorELNS0_4arch9wavefront6targetE1EEEvT1_,@function
_ZN7rocprim17ROCPRIM_400000_NS6detail17trampoline_kernelINS0_14default_configENS1_27scan_by_key_config_selectorIiiEEZZNS1_16scan_by_key_implILNS1_25lookback_scan_determinismE0ELb0ES3_PKiN6hipcub16HIPCUB_304000_NS21ConstantInputIteratorIilEEPiiNSB_3SumENSB_8EqualityEiEE10hipError_tPvRmT2_T3_T4_T5_mT6_T7_P12ihipStream_tbENKUlT_T0_E_clISt17integral_constantIbLb0EESX_EEDaSS_ST_EUlSS_E_NS1_11comp_targetILNS1_3genE8ELNS1_11target_archE1030ELNS1_3gpuE2ELNS1_3repE0EEENS1_30default_config_static_selectorELNS0_4arch9wavefront6targetE1EEEvT1_: ; @_ZN7rocprim17ROCPRIM_400000_NS6detail17trampoline_kernelINS0_14default_configENS1_27scan_by_key_config_selectorIiiEEZZNS1_16scan_by_key_implILNS1_25lookback_scan_determinismE0ELb0ES3_PKiN6hipcub16HIPCUB_304000_NS21ConstantInputIteratorIilEEPiiNSB_3SumENSB_8EqualityEiEE10hipError_tPvRmT2_T3_T4_T5_mT6_T7_P12ihipStream_tbENKUlT_T0_E_clISt17integral_constantIbLb0EESX_EEDaSS_ST_EUlSS_E_NS1_11comp_targetILNS1_3genE8ELNS1_11target_archE1030ELNS1_3gpuE2ELNS1_3repE0EEENS1_30default_config_static_selectorELNS0_4arch9wavefront6targetE1EEEvT1_
; %bb.0:
	.section	.rodata,"a",@progbits
	.p2align	6, 0x0
	.amdhsa_kernel _ZN7rocprim17ROCPRIM_400000_NS6detail17trampoline_kernelINS0_14default_configENS1_27scan_by_key_config_selectorIiiEEZZNS1_16scan_by_key_implILNS1_25lookback_scan_determinismE0ELb0ES3_PKiN6hipcub16HIPCUB_304000_NS21ConstantInputIteratorIilEEPiiNSB_3SumENSB_8EqualityEiEE10hipError_tPvRmT2_T3_T4_T5_mT6_T7_P12ihipStream_tbENKUlT_T0_E_clISt17integral_constantIbLb0EESX_EEDaSS_ST_EUlSS_E_NS1_11comp_targetILNS1_3genE8ELNS1_11target_archE1030ELNS1_3gpuE2ELNS1_3repE0EEENS1_30default_config_static_selectorELNS0_4arch9wavefront6targetE1EEEvT1_
		.amdhsa_group_segment_fixed_size 0
		.amdhsa_private_segment_fixed_size 0
		.amdhsa_kernarg_size 120
		.amdhsa_user_sgpr_count 2
		.amdhsa_user_sgpr_dispatch_ptr 0
		.amdhsa_user_sgpr_queue_ptr 0
		.amdhsa_user_sgpr_kernarg_segment_ptr 1
		.amdhsa_user_sgpr_dispatch_id 0
		.amdhsa_user_sgpr_kernarg_preload_length 0
		.amdhsa_user_sgpr_kernarg_preload_offset 0
		.amdhsa_user_sgpr_private_segment_size 0
		.amdhsa_uses_dynamic_stack 0
		.amdhsa_enable_private_segment 0
		.amdhsa_system_sgpr_workgroup_id_x 1
		.amdhsa_system_sgpr_workgroup_id_y 0
		.amdhsa_system_sgpr_workgroup_id_z 0
		.amdhsa_system_sgpr_workgroup_info 0
		.amdhsa_system_vgpr_workitem_id 0
		.amdhsa_next_free_vgpr 1
		.amdhsa_next_free_sgpr 0
		.amdhsa_accum_offset 4
		.amdhsa_reserve_vcc 0
		.amdhsa_float_round_mode_32 0
		.amdhsa_float_round_mode_16_64 0
		.amdhsa_float_denorm_mode_32 3
		.amdhsa_float_denorm_mode_16_64 3
		.amdhsa_dx10_clamp 1
		.amdhsa_ieee_mode 1
		.amdhsa_fp16_overflow 0
		.amdhsa_tg_split 0
		.amdhsa_exception_fp_ieee_invalid_op 0
		.amdhsa_exception_fp_denorm_src 0
		.amdhsa_exception_fp_ieee_div_zero 0
		.amdhsa_exception_fp_ieee_overflow 0
		.amdhsa_exception_fp_ieee_underflow 0
		.amdhsa_exception_fp_ieee_inexact 0
		.amdhsa_exception_int_div_zero 0
	.end_amdhsa_kernel
	.section	.text._ZN7rocprim17ROCPRIM_400000_NS6detail17trampoline_kernelINS0_14default_configENS1_27scan_by_key_config_selectorIiiEEZZNS1_16scan_by_key_implILNS1_25lookback_scan_determinismE0ELb0ES3_PKiN6hipcub16HIPCUB_304000_NS21ConstantInputIteratorIilEEPiiNSB_3SumENSB_8EqualityEiEE10hipError_tPvRmT2_T3_T4_T5_mT6_T7_P12ihipStream_tbENKUlT_T0_E_clISt17integral_constantIbLb0EESX_EEDaSS_ST_EUlSS_E_NS1_11comp_targetILNS1_3genE8ELNS1_11target_archE1030ELNS1_3gpuE2ELNS1_3repE0EEENS1_30default_config_static_selectorELNS0_4arch9wavefront6targetE1EEEvT1_,"axG",@progbits,_ZN7rocprim17ROCPRIM_400000_NS6detail17trampoline_kernelINS0_14default_configENS1_27scan_by_key_config_selectorIiiEEZZNS1_16scan_by_key_implILNS1_25lookback_scan_determinismE0ELb0ES3_PKiN6hipcub16HIPCUB_304000_NS21ConstantInputIteratorIilEEPiiNSB_3SumENSB_8EqualityEiEE10hipError_tPvRmT2_T3_T4_T5_mT6_T7_P12ihipStream_tbENKUlT_T0_E_clISt17integral_constantIbLb0EESX_EEDaSS_ST_EUlSS_E_NS1_11comp_targetILNS1_3genE8ELNS1_11target_archE1030ELNS1_3gpuE2ELNS1_3repE0EEENS1_30default_config_static_selectorELNS0_4arch9wavefront6targetE1EEEvT1_,comdat
.Lfunc_end18:
	.size	_ZN7rocprim17ROCPRIM_400000_NS6detail17trampoline_kernelINS0_14default_configENS1_27scan_by_key_config_selectorIiiEEZZNS1_16scan_by_key_implILNS1_25lookback_scan_determinismE0ELb0ES3_PKiN6hipcub16HIPCUB_304000_NS21ConstantInputIteratorIilEEPiiNSB_3SumENSB_8EqualityEiEE10hipError_tPvRmT2_T3_T4_T5_mT6_T7_P12ihipStream_tbENKUlT_T0_E_clISt17integral_constantIbLb0EESX_EEDaSS_ST_EUlSS_E_NS1_11comp_targetILNS1_3genE8ELNS1_11target_archE1030ELNS1_3gpuE2ELNS1_3repE0EEENS1_30default_config_static_selectorELNS0_4arch9wavefront6targetE1EEEvT1_, .Lfunc_end18-_ZN7rocprim17ROCPRIM_400000_NS6detail17trampoline_kernelINS0_14default_configENS1_27scan_by_key_config_selectorIiiEEZZNS1_16scan_by_key_implILNS1_25lookback_scan_determinismE0ELb0ES3_PKiN6hipcub16HIPCUB_304000_NS21ConstantInputIteratorIilEEPiiNSB_3SumENSB_8EqualityEiEE10hipError_tPvRmT2_T3_T4_T5_mT6_T7_P12ihipStream_tbENKUlT_T0_E_clISt17integral_constantIbLb0EESX_EEDaSS_ST_EUlSS_E_NS1_11comp_targetILNS1_3genE8ELNS1_11target_archE1030ELNS1_3gpuE2ELNS1_3repE0EEENS1_30default_config_static_selectorELNS0_4arch9wavefront6targetE1EEEvT1_
                                        ; -- End function
	.set _ZN7rocprim17ROCPRIM_400000_NS6detail17trampoline_kernelINS0_14default_configENS1_27scan_by_key_config_selectorIiiEEZZNS1_16scan_by_key_implILNS1_25lookback_scan_determinismE0ELb0ES3_PKiN6hipcub16HIPCUB_304000_NS21ConstantInputIteratorIilEEPiiNSB_3SumENSB_8EqualityEiEE10hipError_tPvRmT2_T3_T4_T5_mT6_T7_P12ihipStream_tbENKUlT_T0_E_clISt17integral_constantIbLb0EESX_EEDaSS_ST_EUlSS_E_NS1_11comp_targetILNS1_3genE8ELNS1_11target_archE1030ELNS1_3gpuE2ELNS1_3repE0EEENS1_30default_config_static_selectorELNS0_4arch9wavefront6targetE1EEEvT1_.num_vgpr, 0
	.set _ZN7rocprim17ROCPRIM_400000_NS6detail17trampoline_kernelINS0_14default_configENS1_27scan_by_key_config_selectorIiiEEZZNS1_16scan_by_key_implILNS1_25lookback_scan_determinismE0ELb0ES3_PKiN6hipcub16HIPCUB_304000_NS21ConstantInputIteratorIilEEPiiNSB_3SumENSB_8EqualityEiEE10hipError_tPvRmT2_T3_T4_T5_mT6_T7_P12ihipStream_tbENKUlT_T0_E_clISt17integral_constantIbLb0EESX_EEDaSS_ST_EUlSS_E_NS1_11comp_targetILNS1_3genE8ELNS1_11target_archE1030ELNS1_3gpuE2ELNS1_3repE0EEENS1_30default_config_static_selectorELNS0_4arch9wavefront6targetE1EEEvT1_.num_agpr, 0
	.set _ZN7rocprim17ROCPRIM_400000_NS6detail17trampoline_kernelINS0_14default_configENS1_27scan_by_key_config_selectorIiiEEZZNS1_16scan_by_key_implILNS1_25lookback_scan_determinismE0ELb0ES3_PKiN6hipcub16HIPCUB_304000_NS21ConstantInputIteratorIilEEPiiNSB_3SumENSB_8EqualityEiEE10hipError_tPvRmT2_T3_T4_T5_mT6_T7_P12ihipStream_tbENKUlT_T0_E_clISt17integral_constantIbLb0EESX_EEDaSS_ST_EUlSS_E_NS1_11comp_targetILNS1_3genE8ELNS1_11target_archE1030ELNS1_3gpuE2ELNS1_3repE0EEENS1_30default_config_static_selectorELNS0_4arch9wavefront6targetE1EEEvT1_.numbered_sgpr, 0
	.set _ZN7rocprim17ROCPRIM_400000_NS6detail17trampoline_kernelINS0_14default_configENS1_27scan_by_key_config_selectorIiiEEZZNS1_16scan_by_key_implILNS1_25lookback_scan_determinismE0ELb0ES3_PKiN6hipcub16HIPCUB_304000_NS21ConstantInputIteratorIilEEPiiNSB_3SumENSB_8EqualityEiEE10hipError_tPvRmT2_T3_T4_T5_mT6_T7_P12ihipStream_tbENKUlT_T0_E_clISt17integral_constantIbLb0EESX_EEDaSS_ST_EUlSS_E_NS1_11comp_targetILNS1_3genE8ELNS1_11target_archE1030ELNS1_3gpuE2ELNS1_3repE0EEENS1_30default_config_static_selectorELNS0_4arch9wavefront6targetE1EEEvT1_.num_named_barrier, 0
	.set _ZN7rocprim17ROCPRIM_400000_NS6detail17trampoline_kernelINS0_14default_configENS1_27scan_by_key_config_selectorIiiEEZZNS1_16scan_by_key_implILNS1_25lookback_scan_determinismE0ELb0ES3_PKiN6hipcub16HIPCUB_304000_NS21ConstantInputIteratorIilEEPiiNSB_3SumENSB_8EqualityEiEE10hipError_tPvRmT2_T3_T4_T5_mT6_T7_P12ihipStream_tbENKUlT_T0_E_clISt17integral_constantIbLb0EESX_EEDaSS_ST_EUlSS_E_NS1_11comp_targetILNS1_3genE8ELNS1_11target_archE1030ELNS1_3gpuE2ELNS1_3repE0EEENS1_30default_config_static_selectorELNS0_4arch9wavefront6targetE1EEEvT1_.private_seg_size, 0
	.set _ZN7rocprim17ROCPRIM_400000_NS6detail17trampoline_kernelINS0_14default_configENS1_27scan_by_key_config_selectorIiiEEZZNS1_16scan_by_key_implILNS1_25lookback_scan_determinismE0ELb0ES3_PKiN6hipcub16HIPCUB_304000_NS21ConstantInputIteratorIilEEPiiNSB_3SumENSB_8EqualityEiEE10hipError_tPvRmT2_T3_T4_T5_mT6_T7_P12ihipStream_tbENKUlT_T0_E_clISt17integral_constantIbLb0EESX_EEDaSS_ST_EUlSS_E_NS1_11comp_targetILNS1_3genE8ELNS1_11target_archE1030ELNS1_3gpuE2ELNS1_3repE0EEENS1_30default_config_static_selectorELNS0_4arch9wavefront6targetE1EEEvT1_.uses_vcc, 0
	.set _ZN7rocprim17ROCPRIM_400000_NS6detail17trampoline_kernelINS0_14default_configENS1_27scan_by_key_config_selectorIiiEEZZNS1_16scan_by_key_implILNS1_25lookback_scan_determinismE0ELb0ES3_PKiN6hipcub16HIPCUB_304000_NS21ConstantInputIteratorIilEEPiiNSB_3SumENSB_8EqualityEiEE10hipError_tPvRmT2_T3_T4_T5_mT6_T7_P12ihipStream_tbENKUlT_T0_E_clISt17integral_constantIbLb0EESX_EEDaSS_ST_EUlSS_E_NS1_11comp_targetILNS1_3genE8ELNS1_11target_archE1030ELNS1_3gpuE2ELNS1_3repE0EEENS1_30default_config_static_selectorELNS0_4arch9wavefront6targetE1EEEvT1_.uses_flat_scratch, 0
	.set _ZN7rocprim17ROCPRIM_400000_NS6detail17trampoline_kernelINS0_14default_configENS1_27scan_by_key_config_selectorIiiEEZZNS1_16scan_by_key_implILNS1_25lookback_scan_determinismE0ELb0ES3_PKiN6hipcub16HIPCUB_304000_NS21ConstantInputIteratorIilEEPiiNSB_3SumENSB_8EqualityEiEE10hipError_tPvRmT2_T3_T4_T5_mT6_T7_P12ihipStream_tbENKUlT_T0_E_clISt17integral_constantIbLb0EESX_EEDaSS_ST_EUlSS_E_NS1_11comp_targetILNS1_3genE8ELNS1_11target_archE1030ELNS1_3gpuE2ELNS1_3repE0EEENS1_30default_config_static_selectorELNS0_4arch9wavefront6targetE1EEEvT1_.has_dyn_sized_stack, 0
	.set _ZN7rocprim17ROCPRIM_400000_NS6detail17trampoline_kernelINS0_14default_configENS1_27scan_by_key_config_selectorIiiEEZZNS1_16scan_by_key_implILNS1_25lookback_scan_determinismE0ELb0ES3_PKiN6hipcub16HIPCUB_304000_NS21ConstantInputIteratorIilEEPiiNSB_3SumENSB_8EqualityEiEE10hipError_tPvRmT2_T3_T4_T5_mT6_T7_P12ihipStream_tbENKUlT_T0_E_clISt17integral_constantIbLb0EESX_EEDaSS_ST_EUlSS_E_NS1_11comp_targetILNS1_3genE8ELNS1_11target_archE1030ELNS1_3gpuE2ELNS1_3repE0EEENS1_30default_config_static_selectorELNS0_4arch9wavefront6targetE1EEEvT1_.has_recursion, 0
	.set _ZN7rocprim17ROCPRIM_400000_NS6detail17trampoline_kernelINS0_14default_configENS1_27scan_by_key_config_selectorIiiEEZZNS1_16scan_by_key_implILNS1_25lookback_scan_determinismE0ELb0ES3_PKiN6hipcub16HIPCUB_304000_NS21ConstantInputIteratorIilEEPiiNSB_3SumENSB_8EqualityEiEE10hipError_tPvRmT2_T3_T4_T5_mT6_T7_P12ihipStream_tbENKUlT_T0_E_clISt17integral_constantIbLb0EESX_EEDaSS_ST_EUlSS_E_NS1_11comp_targetILNS1_3genE8ELNS1_11target_archE1030ELNS1_3gpuE2ELNS1_3repE0EEENS1_30default_config_static_selectorELNS0_4arch9wavefront6targetE1EEEvT1_.has_indirect_call, 0
	.section	.AMDGPU.csdata,"",@progbits
; Kernel info:
; codeLenInByte = 0
; TotalNumSgprs: 6
; NumVgprs: 0
; NumAgprs: 0
; TotalNumVgprs: 0
; ScratchSize: 0
; MemoryBound: 0
; FloatMode: 240
; IeeeMode: 1
; LDSByteSize: 0 bytes/workgroup (compile time only)
; SGPRBlocks: 0
; VGPRBlocks: 0
; NumSGPRsForWavesPerEU: 6
; NumVGPRsForWavesPerEU: 1
; AccumOffset: 4
; Occupancy: 8
; WaveLimiterHint : 0
; COMPUTE_PGM_RSRC2:SCRATCH_EN: 0
; COMPUTE_PGM_RSRC2:USER_SGPR: 2
; COMPUTE_PGM_RSRC2:TRAP_HANDLER: 0
; COMPUTE_PGM_RSRC2:TGID_X_EN: 1
; COMPUTE_PGM_RSRC2:TGID_Y_EN: 0
; COMPUTE_PGM_RSRC2:TGID_Z_EN: 0
; COMPUTE_PGM_RSRC2:TIDIG_COMP_CNT: 0
; COMPUTE_PGM_RSRC3_GFX90A:ACCUM_OFFSET: 0
; COMPUTE_PGM_RSRC3_GFX90A:TG_SPLIT: 0
	.section	.text._ZN7rocprim17ROCPRIM_400000_NS6detail30init_device_scan_by_key_kernelINS1_19lookback_scan_stateINS0_5tupleIJibEEELb1ELb1EEEPKijNS1_16block_id_wrapperIjLb1EEEEEvT_jjPNSB_10value_typeET0_PNSt15iterator_traitsISE_E10value_typeEmT1_T2_,"axG",@progbits,_ZN7rocprim17ROCPRIM_400000_NS6detail30init_device_scan_by_key_kernelINS1_19lookback_scan_stateINS0_5tupleIJibEEELb1ELb1EEEPKijNS1_16block_id_wrapperIjLb1EEEEEvT_jjPNSB_10value_typeET0_PNSt15iterator_traitsISE_E10value_typeEmT1_T2_,comdat
	.protected	_ZN7rocprim17ROCPRIM_400000_NS6detail30init_device_scan_by_key_kernelINS1_19lookback_scan_stateINS0_5tupleIJibEEELb1ELb1EEEPKijNS1_16block_id_wrapperIjLb1EEEEEvT_jjPNSB_10value_typeET0_PNSt15iterator_traitsISE_E10value_typeEmT1_T2_ ; -- Begin function _ZN7rocprim17ROCPRIM_400000_NS6detail30init_device_scan_by_key_kernelINS1_19lookback_scan_stateINS0_5tupleIJibEEELb1ELb1EEEPKijNS1_16block_id_wrapperIjLb1EEEEEvT_jjPNSB_10value_typeET0_PNSt15iterator_traitsISE_E10value_typeEmT1_T2_
	.globl	_ZN7rocprim17ROCPRIM_400000_NS6detail30init_device_scan_by_key_kernelINS1_19lookback_scan_stateINS0_5tupleIJibEEELb1ELb1EEEPKijNS1_16block_id_wrapperIjLb1EEEEEvT_jjPNSB_10value_typeET0_PNSt15iterator_traitsISE_E10value_typeEmT1_T2_
	.p2align	8
	.type	_ZN7rocprim17ROCPRIM_400000_NS6detail30init_device_scan_by_key_kernelINS1_19lookback_scan_stateINS0_5tupleIJibEEELb1ELb1EEEPKijNS1_16block_id_wrapperIjLb1EEEEEvT_jjPNSB_10value_typeET0_PNSt15iterator_traitsISE_E10value_typeEmT1_T2_,@function
_ZN7rocprim17ROCPRIM_400000_NS6detail30init_device_scan_by_key_kernelINS1_19lookback_scan_stateINS0_5tupleIJibEEELb1ELb1EEEPKijNS1_16block_id_wrapperIjLb1EEEEEvT_jjPNSB_10value_typeET0_PNSt15iterator_traitsISE_E10value_typeEmT1_T2_: ; @_ZN7rocprim17ROCPRIM_400000_NS6detail30init_device_scan_by_key_kernelINS1_19lookback_scan_stateINS0_5tupleIJibEEELb1ELb1EEEPKijNS1_16block_id_wrapperIjLb1EEEEEvT_jjPNSB_10value_typeET0_PNSt15iterator_traitsISE_E10value_typeEmT1_T2_
; %bb.0:
	s_load_dword s3, s[0:1], 0x4c
	s_load_dwordx8 s[4:11], s[0:1], 0x0
	s_load_dword s18, s[0:1], 0x40
	s_waitcnt lgkmcnt(0)
	s_and_b32 s19, s3, 0xffff
	s_mul_i32 s2, s2, s19
	s_cmp_eq_u64 s[8:9], 0
	v_add_u32_e32 v4, s2, v0
	s_cbranch_scc1 .LBB19_10
; %bb.1:
	s_cmp_lt_u32 s7, s6
	s_cselect_b32 s2, s7, 0
	s_mov_b32 s13, 0
	v_cmp_eq_u32_e32 vcc, s2, v4
	s_and_saveexec_b64 s[2:3], vcc
	s_cbranch_execz .LBB19_9
; %bb.2:
	s_add_i32 s12, s7, 64
	s_lshl_b64 s[12:13], s[12:13], 4
	s_add_u32 s16, s4, s12
	s_addc_u32 s17, s5, s13
	v_mov_b64_e32 v[0:1], s[16:17]
	;;#ASMSTART
	global_load_dwordx4 v[0:3], v[0:1] off sc1	
s_waitcnt vmcnt(0)
	;;#ASMEND
	v_mov_b32_e32 v7, 0
	v_and_b32_e32 v6, 0xff, v2
	s_mov_b64 s[14:15], 0
	v_cmp_eq_u64_e32 vcc, 0, v[6:7]
	s_and_saveexec_b64 s[12:13], vcc
	s_cbranch_execz .LBB19_8
; %bb.3:
	s_mov_b32 s7, 1
	v_mov_b64_e32 v[8:9], s[16:17]
.LBB19_4:                               ; =>This Loop Header: Depth=1
                                        ;     Child Loop BB19_5 Depth 2
	s_mov_b32 s16, s7
.LBB19_5:                               ;   Parent Loop BB19_4 Depth=1
                                        ; =>  This Inner Loop Header: Depth=2
	s_add_i32 s16, s16, -1
	s_cmp_eq_u32 s16, 0
	s_sleep 1
	s_cbranch_scc0 .LBB19_5
; %bb.6:                                ;   in Loop: Header=BB19_4 Depth=1
	s_cmp_lt_u32 s7, 32
	s_cselect_b64 s[16:17], -1, 0
	s_cmp_lg_u64 s[16:17], 0
	;;#ASMSTART
	global_load_dwordx4 v[0:3], v[8:9] off sc1	
s_waitcnt vmcnt(0)
	;;#ASMEND
	s_addc_u32 s7, s7, 0
	v_and_b32_e32 v6, 0xff, v2
	v_cmp_ne_u64_e32 vcc, 0, v[6:7]
	s_or_b64 s[14:15], vcc, s[14:15]
	s_andn2_b64 exec, exec, s[14:15]
	s_cbranch_execnz .LBB19_4
; %bb.7:
	s_or_b64 exec, exec, s[14:15]
.LBB19_8:
	s_or_b64 exec, exec, s[12:13]
	v_mov_b32_e32 v2, 0
	global_store_dword v2, v0, s[8:9]
	global_store_byte v2, v1, s[8:9] offset:4
.LBB19_9:
	s_or_b64 exec, exec, s[2:3]
.LBB19_10:
	v_cmp_eq_u32_e32 vcc, 0, v4
	s_and_saveexec_b64 s[2:3], vcc
	s_cbranch_execz .LBB19_12
; %bb.11:
	s_load_dwordx2 s[8:9], s[0:1], 0x38
	v_mov_b32_e32 v0, 0
	s_waitcnt lgkmcnt(0)
	global_store_dword v0, v0, s[8:9]
.LBB19_12:
	s_or_b64 exec, exec, s[2:3]
	v_cmp_gt_u32_e32 vcc, s6, v4
	s_and_saveexec_b64 s[2:3], vcc
	s_cbranch_execz .LBB19_14
; %bb.13:
	v_add_u32_e32 v0, 64, v4
	v_mov_b32_e32 v1, 0
	v_lshl_add_u64 v[6:7], v[0:1], 4, s[4:5]
	v_mov_b32_e32 v0, v1
	v_mov_b32_e32 v2, v1
	;; [unrolled: 1-line block ×3, first 2 shown]
	global_store_dwordx4 v[6:7], v[0:3], off
.LBB19_14:
	s_or_b64 exec, exec, s[2:3]
	v_cmp_gt_u32_e32 vcc, 64, v4
	v_mov_b32_e32 v5, 0
	s_and_saveexec_b64 s[2:3], vcc
	s_cbranch_execz .LBB19_16
; %bb.15:
	v_lshl_add_u64 v[6:7], v[4:5], 4, s[4:5]
	v_mov_b32_e32 v2, 0xff
	v_mov_b32_e32 v0, v5
	;; [unrolled: 1-line block ×4, first 2 shown]
	global_store_dwordx4 v[6:7], v[0:3], off
.LBB19_16:
	s_or_b64 exec, exec, s[2:3]
	s_load_dwordx2 s[2:3], s[0:1], 0x28
	s_waitcnt lgkmcnt(0)
	v_cmp_gt_u64_e32 vcc, s[2:3], v[4:5]
	s_and_saveexec_b64 s[4:5], vcc
	s_cbranch_execz .LBB19_19
; %bb.17:
	s_load_dword s12, s[0:1], 0x30
	s_load_dwordx2 s[6:7], s[0:1], 0x20
	s_mov_b32 s5, 0
	s_mov_b32 s1, s5
	s_mul_i32 s0, s18, s19
	s_waitcnt lgkmcnt(0)
	s_add_i32 s4, s12, -1
	s_lshl_b64 s[4:5], s[4:5], 2
	s_add_u32 s4, s10, s4
	v_mad_u64_u32 v[0:1], s[8:9], s12, v4, 0
	s_addc_u32 s5, s11, s5
	v_lshl_add_u64 v[0:1], v[0:1], 2, s[4:5]
	s_mul_hi_u32 s5, s12, s0
	s_mul_i32 s4, s12, s0
	s_lshl_b64 s[4:5], s[4:5], 2
	v_lshl_add_u64 v[2:3], v[4:5], 2, s[6:7]
	s_lshl_b64 s[6:7], s[0:1], 2
	s_mov_b64 s[8:9], 0
.LBB19_18:                              ; =>This Inner Loop Header: Depth=1
	global_load_dword v6, v[0:1], off
	v_lshl_add_u64 v[4:5], v[4:5], 0, s[0:1]
	v_cmp_le_u64_e32 vcc, s[2:3], v[4:5]
	v_lshl_add_u64 v[0:1], v[0:1], 0, s[4:5]
	s_or_b64 s[8:9], vcc, s[8:9]
	s_waitcnt vmcnt(0)
	global_store_dword v[2:3], v6, off
	v_lshl_add_u64 v[2:3], v[2:3], 0, s[6:7]
	s_andn2_b64 exec, exec, s[8:9]
	s_cbranch_execnz .LBB19_18
.LBB19_19:
	s_endpgm
	.section	.rodata,"a",@progbits
	.p2align	6, 0x0
	.amdhsa_kernel _ZN7rocprim17ROCPRIM_400000_NS6detail30init_device_scan_by_key_kernelINS1_19lookback_scan_stateINS0_5tupleIJibEEELb1ELb1EEEPKijNS1_16block_id_wrapperIjLb1EEEEEvT_jjPNSB_10value_typeET0_PNSt15iterator_traitsISE_E10value_typeEmT1_T2_
		.amdhsa_group_segment_fixed_size 0
		.amdhsa_private_segment_fixed_size 0
		.amdhsa_kernarg_size 320
		.amdhsa_user_sgpr_count 2
		.amdhsa_user_sgpr_dispatch_ptr 0
		.amdhsa_user_sgpr_queue_ptr 0
		.amdhsa_user_sgpr_kernarg_segment_ptr 1
		.amdhsa_user_sgpr_dispatch_id 0
		.amdhsa_user_sgpr_kernarg_preload_length 0
		.amdhsa_user_sgpr_kernarg_preload_offset 0
		.amdhsa_user_sgpr_private_segment_size 0
		.amdhsa_uses_dynamic_stack 0
		.amdhsa_enable_private_segment 0
		.amdhsa_system_sgpr_workgroup_id_x 1
		.amdhsa_system_sgpr_workgroup_id_y 0
		.amdhsa_system_sgpr_workgroup_id_z 0
		.amdhsa_system_sgpr_workgroup_info 0
		.amdhsa_system_vgpr_workitem_id 0
		.amdhsa_next_free_vgpr 10
		.amdhsa_next_free_sgpr 20
		.amdhsa_accum_offset 12
		.amdhsa_reserve_vcc 1
		.amdhsa_float_round_mode_32 0
		.amdhsa_float_round_mode_16_64 0
		.amdhsa_float_denorm_mode_32 3
		.amdhsa_float_denorm_mode_16_64 3
		.amdhsa_dx10_clamp 1
		.amdhsa_ieee_mode 1
		.amdhsa_fp16_overflow 0
		.amdhsa_tg_split 0
		.amdhsa_exception_fp_ieee_invalid_op 0
		.amdhsa_exception_fp_denorm_src 0
		.amdhsa_exception_fp_ieee_div_zero 0
		.amdhsa_exception_fp_ieee_overflow 0
		.amdhsa_exception_fp_ieee_underflow 0
		.amdhsa_exception_fp_ieee_inexact 0
		.amdhsa_exception_int_div_zero 0
	.end_amdhsa_kernel
	.section	.text._ZN7rocprim17ROCPRIM_400000_NS6detail30init_device_scan_by_key_kernelINS1_19lookback_scan_stateINS0_5tupleIJibEEELb1ELb1EEEPKijNS1_16block_id_wrapperIjLb1EEEEEvT_jjPNSB_10value_typeET0_PNSt15iterator_traitsISE_E10value_typeEmT1_T2_,"axG",@progbits,_ZN7rocprim17ROCPRIM_400000_NS6detail30init_device_scan_by_key_kernelINS1_19lookback_scan_stateINS0_5tupleIJibEEELb1ELb1EEEPKijNS1_16block_id_wrapperIjLb1EEEEEvT_jjPNSB_10value_typeET0_PNSt15iterator_traitsISE_E10value_typeEmT1_T2_,comdat
.Lfunc_end19:
	.size	_ZN7rocprim17ROCPRIM_400000_NS6detail30init_device_scan_by_key_kernelINS1_19lookback_scan_stateINS0_5tupleIJibEEELb1ELb1EEEPKijNS1_16block_id_wrapperIjLb1EEEEEvT_jjPNSB_10value_typeET0_PNSt15iterator_traitsISE_E10value_typeEmT1_T2_, .Lfunc_end19-_ZN7rocprim17ROCPRIM_400000_NS6detail30init_device_scan_by_key_kernelINS1_19lookback_scan_stateINS0_5tupleIJibEEELb1ELb1EEEPKijNS1_16block_id_wrapperIjLb1EEEEEvT_jjPNSB_10value_typeET0_PNSt15iterator_traitsISE_E10value_typeEmT1_T2_
                                        ; -- End function
	.set _ZN7rocprim17ROCPRIM_400000_NS6detail30init_device_scan_by_key_kernelINS1_19lookback_scan_stateINS0_5tupleIJibEEELb1ELb1EEEPKijNS1_16block_id_wrapperIjLb1EEEEEvT_jjPNSB_10value_typeET0_PNSt15iterator_traitsISE_E10value_typeEmT1_T2_.num_vgpr, 10
	.set _ZN7rocprim17ROCPRIM_400000_NS6detail30init_device_scan_by_key_kernelINS1_19lookback_scan_stateINS0_5tupleIJibEEELb1ELb1EEEPKijNS1_16block_id_wrapperIjLb1EEEEEvT_jjPNSB_10value_typeET0_PNSt15iterator_traitsISE_E10value_typeEmT1_T2_.num_agpr, 0
	.set _ZN7rocprim17ROCPRIM_400000_NS6detail30init_device_scan_by_key_kernelINS1_19lookback_scan_stateINS0_5tupleIJibEEELb1ELb1EEEPKijNS1_16block_id_wrapperIjLb1EEEEEvT_jjPNSB_10value_typeET0_PNSt15iterator_traitsISE_E10value_typeEmT1_T2_.numbered_sgpr, 20
	.set _ZN7rocprim17ROCPRIM_400000_NS6detail30init_device_scan_by_key_kernelINS1_19lookback_scan_stateINS0_5tupleIJibEEELb1ELb1EEEPKijNS1_16block_id_wrapperIjLb1EEEEEvT_jjPNSB_10value_typeET0_PNSt15iterator_traitsISE_E10value_typeEmT1_T2_.num_named_barrier, 0
	.set _ZN7rocprim17ROCPRIM_400000_NS6detail30init_device_scan_by_key_kernelINS1_19lookback_scan_stateINS0_5tupleIJibEEELb1ELb1EEEPKijNS1_16block_id_wrapperIjLb1EEEEEvT_jjPNSB_10value_typeET0_PNSt15iterator_traitsISE_E10value_typeEmT1_T2_.private_seg_size, 0
	.set _ZN7rocprim17ROCPRIM_400000_NS6detail30init_device_scan_by_key_kernelINS1_19lookback_scan_stateINS0_5tupleIJibEEELb1ELb1EEEPKijNS1_16block_id_wrapperIjLb1EEEEEvT_jjPNSB_10value_typeET0_PNSt15iterator_traitsISE_E10value_typeEmT1_T2_.uses_vcc, 1
	.set _ZN7rocprim17ROCPRIM_400000_NS6detail30init_device_scan_by_key_kernelINS1_19lookback_scan_stateINS0_5tupleIJibEEELb1ELb1EEEPKijNS1_16block_id_wrapperIjLb1EEEEEvT_jjPNSB_10value_typeET0_PNSt15iterator_traitsISE_E10value_typeEmT1_T2_.uses_flat_scratch, 0
	.set _ZN7rocprim17ROCPRIM_400000_NS6detail30init_device_scan_by_key_kernelINS1_19lookback_scan_stateINS0_5tupleIJibEEELb1ELb1EEEPKijNS1_16block_id_wrapperIjLb1EEEEEvT_jjPNSB_10value_typeET0_PNSt15iterator_traitsISE_E10value_typeEmT1_T2_.has_dyn_sized_stack, 0
	.set _ZN7rocprim17ROCPRIM_400000_NS6detail30init_device_scan_by_key_kernelINS1_19lookback_scan_stateINS0_5tupleIJibEEELb1ELb1EEEPKijNS1_16block_id_wrapperIjLb1EEEEEvT_jjPNSB_10value_typeET0_PNSt15iterator_traitsISE_E10value_typeEmT1_T2_.has_recursion, 0
	.set _ZN7rocprim17ROCPRIM_400000_NS6detail30init_device_scan_by_key_kernelINS1_19lookback_scan_stateINS0_5tupleIJibEEELb1ELb1EEEPKijNS1_16block_id_wrapperIjLb1EEEEEvT_jjPNSB_10value_typeET0_PNSt15iterator_traitsISE_E10value_typeEmT1_T2_.has_indirect_call, 0
	.section	.AMDGPU.csdata,"",@progbits
; Kernel info:
; codeLenInByte = 616
; TotalNumSgprs: 26
; NumVgprs: 10
; NumAgprs: 0
; TotalNumVgprs: 10
; ScratchSize: 0
; MemoryBound: 0
; FloatMode: 240
; IeeeMode: 1
; LDSByteSize: 0 bytes/workgroup (compile time only)
; SGPRBlocks: 3
; VGPRBlocks: 1
; NumSGPRsForWavesPerEU: 26
; NumVGPRsForWavesPerEU: 10
; AccumOffset: 12
; Occupancy: 8
; WaveLimiterHint : 0
; COMPUTE_PGM_RSRC2:SCRATCH_EN: 0
; COMPUTE_PGM_RSRC2:USER_SGPR: 2
; COMPUTE_PGM_RSRC2:TRAP_HANDLER: 0
; COMPUTE_PGM_RSRC2:TGID_X_EN: 1
; COMPUTE_PGM_RSRC2:TGID_Y_EN: 0
; COMPUTE_PGM_RSRC2:TGID_Z_EN: 0
; COMPUTE_PGM_RSRC2:TIDIG_COMP_CNT: 0
; COMPUTE_PGM_RSRC3_GFX90A:ACCUM_OFFSET: 2
; COMPUTE_PGM_RSRC3_GFX90A:TG_SPLIT: 0
	.section	.text._ZN7rocprim17ROCPRIM_400000_NS6detail30init_device_scan_by_key_kernelINS1_19lookback_scan_stateINS0_5tupleIJibEEELb1ELb1EEENS1_16block_id_wrapperIjLb1EEEEEvT_jjPNS9_10value_typeET0_,"axG",@progbits,_ZN7rocprim17ROCPRIM_400000_NS6detail30init_device_scan_by_key_kernelINS1_19lookback_scan_stateINS0_5tupleIJibEEELb1ELb1EEENS1_16block_id_wrapperIjLb1EEEEEvT_jjPNS9_10value_typeET0_,comdat
	.protected	_ZN7rocprim17ROCPRIM_400000_NS6detail30init_device_scan_by_key_kernelINS1_19lookback_scan_stateINS0_5tupleIJibEEELb1ELb1EEENS1_16block_id_wrapperIjLb1EEEEEvT_jjPNS9_10value_typeET0_ ; -- Begin function _ZN7rocprim17ROCPRIM_400000_NS6detail30init_device_scan_by_key_kernelINS1_19lookback_scan_stateINS0_5tupleIJibEEELb1ELb1EEENS1_16block_id_wrapperIjLb1EEEEEvT_jjPNS9_10value_typeET0_
	.globl	_ZN7rocprim17ROCPRIM_400000_NS6detail30init_device_scan_by_key_kernelINS1_19lookback_scan_stateINS0_5tupleIJibEEELb1ELb1EEENS1_16block_id_wrapperIjLb1EEEEEvT_jjPNS9_10value_typeET0_
	.p2align	8
	.type	_ZN7rocprim17ROCPRIM_400000_NS6detail30init_device_scan_by_key_kernelINS1_19lookback_scan_stateINS0_5tupleIJibEEELb1ELb1EEENS1_16block_id_wrapperIjLb1EEEEEvT_jjPNS9_10value_typeET0_,@function
_ZN7rocprim17ROCPRIM_400000_NS6detail30init_device_scan_by_key_kernelINS1_19lookback_scan_stateINS0_5tupleIJibEEELb1ELb1EEENS1_16block_id_wrapperIjLb1EEEEEvT_jjPNS9_10value_typeET0_: ; @_ZN7rocprim17ROCPRIM_400000_NS6detail30init_device_scan_by_key_kernelINS1_19lookback_scan_stateINS0_5tupleIJibEEELb1ELb1EEENS1_16block_id_wrapperIjLb1EEEEEvT_jjPNS9_10value_typeET0_
; %bb.0:
	s_load_dword s3, s[0:1], 0x2c
	s_load_dwordx8 s[4:11], s[0:1], 0x0
	s_waitcnt lgkmcnt(0)
	s_and_b32 s0, s3, 0xffff
	s_mul_i32 s2, s2, s0
	s_cmp_eq_u64 s[8:9], 0
	v_add_u32_e32 v0, s2, v0
	s_cbranch_scc1 .LBB20_10
; %bb.1:
	s_cmp_lt_u32 s7, s6
	s_cselect_b32 s0, s7, 0
	s_mov_b32 s3, 0
	v_cmp_eq_u32_e32 vcc, s0, v0
	s_and_saveexec_b64 s[0:1], vcc
	s_cbranch_execz .LBB20_9
; %bb.2:
	s_add_i32 s2, s7, 64
	s_lshl_b64 s[2:3], s[2:3], 4
	s_add_u32 s14, s4, s2
	s_addc_u32 s15, s5, s3
	v_mov_b64_e32 v[2:3], s[14:15]
	;;#ASMSTART
	global_load_dwordx4 v[2:5], v[2:3] off sc1	
s_waitcnt vmcnt(0)
	;;#ASMEND
	v_mov_b32_e32 v7, 0
	v_and_b32_e32 v6, 0xff, v4
	s_mov_b64 s[12:13], 0
	v_cmp_eq_u64_e32 vcc, 0, v[6:7]
	s_and_saveexec_b64 s[2:3], vcc
	s_cbranch_execz .LBB20_8
; %bb.3:
	s_mov_b32 s7, 1
	v_mov_b64_e32 v[8:9], s[14:15]
.LBB20_4:                               ; =>This Loop Header: Depth=1
                                        ;     Child Loop BB20_5 Depth 2
	s_mov_b32 s14, s7
.LBB20_5:                               ;   Parent Loop BB20_4 Depth=1
                                        ; =>  This Inner Loop Header: Depth=2
	s_add_i32 s14, s14, -1
	s_cmp_eq_u32 s14, 0
	s_sleep 1
	s_cbranch_scc0 .LBB20_5
; %bb.6:                                ;   in Loop: Header=BB20_4 Depth=1
	s_cmp_lt_u32 s7, 32
	s_cselect_b64 s[14:15], -1, 0
	s_cmp_lg_u64 s[14:15], 0
	;;#ASMSTART
	global_load_dwordx4 v[2:5], v[8:9] off sc1	
s_waitcnt vmcnt(0)
	;;#ASMEND
	s_addc_u32 s7, s7, 0
	v_and_b32_e32 v6, 0xff, v4
	v_cmp_ne_u64_e32 vcc, 0, v[6:7]
	s_or_b64 s[12:13], vcc, s[12:13]
	s_andn2_b64 exec, exec, s[12:13]
	s_cbranch_execnz .LBB20_4
; %bb.7:
	s_or_b64 exec, exec, s[12:13]
.LBB20_8:
	s_or_b64 exec, exec, s[2:3]
	v_mov_b32_e32 v1, 0
	global_store_dword v1, v2, s[8:9]
	global_store_byte v1, v3, s[8:9] offset:4
.LBB20_9:
	s_or_b64 exec, exec, s[0:1]
.LBB20_10:
	v_cmp_eq_u32_e32 vcc, 0, v0
	s_and_saveexec_b64 s[0:1], vcc
	s_cbranch_execnz .LBB20_14
; %bb.11:
	s_or_b64 exec, exec, s[0:1]
	v_cmp_gt_u32_e32 vcc, s6, v0
	s_and_saveexec_b64 s[0:1], vcc
	s_cbranch_execnz .LBB20_15
.LBB20_12:
	s_or_b64 exec, exec, s[0:1]
	v_cmp_gt_u32_e32 vcc, 64, v0
	s_and_saveexec_b64 s[0:1], vcc
	s_cbranch_execnz .LBB20_16
.LBB20_13:
	s_endpgm
.LBB20_14:
	v_mov_b32_e32 v1, 0
	global_store_dword v1, v1, s[10:11]
	s_or_b64 exec, exec, s[0:1]
	v_cmp_gt_u32_e32 vcc, s6, v0
	s_and_saveexec_b64 s[0:1], vcc
	s_cbranch_execz .LBB20_12
.LBB20_15:
	v_add_u32_e32 v2, 64, v0
	v_mov_b32_e32 v3, 0
	v_lshl_add_u64 v[6:7], v[2:3], 4, s[4:5]
	v_mov_b32_e32 v2, v3
	v_mov_b32_e32 v4, v3
	;; [unrolled: 1-line block ×3, first 2 shown]
	global_store_dwordx4 v[6:7], v[2:5], off
	s_or_b64 exec, exec, s[0:1]
	v_cmp_gt_u32_e32 vcc, 64, v0
	s_and_saveexec_b64 s[0:1], vcc
	s_cbranch_execz .LBB20_13
.LBB20_16:
	v_mov_b32_e32 v1, 0
	v_lshl_add_u64 v[4:5], v[0:1], 4, s[4:5]
	v_mov_b32_e32 v2, 0xff
	v_mov_b32_e32 v0, v1
	;; [unrolled: 1-line block ×3, first 2 shown]
	global_store_dwordx4 v[4:5], v[0:3], off
	s_endpgm
	.section	.rodata,"a",@progbits
	.p2align	6, 0x0
	.amdhsa_kernel _ZN7rocprim17ROCPRIM_400000_NS6detail30init_device_scan_by_key_kernelINS1_19lookback_scan_stateINS0_5tupleIJibEEELb1ELb1EEENS1_16block_id_wrapperIjLb1EEEEEvT_jjPNS9_10value_typeET0_
		.amdhsa_group_segment_fixed_size 0
		.amdhsa_private_segment_fixed_size 0
		.amdhsa_kernarg_size 288
		.amdhsa_user_sgpr_count 2
		.amdhsa_user_sgpr_dispatch_ptr 0
		.amdhsa_user_sgpr_queue_ptr 0
		.amdhsa_user_sgpr_kernarg_segment_ptr 1
		.amdhsa_user_sgpr_dispatch_id 0
		.amdhsa_user_sgpr_kernarg_preload_length 0
		.amdhsa_user_sgpr_kernarg_preload_offset 0
		.amdhsa_user_sgpr_private_segment_size 0
		.amdhsa_uses_dynamic_stack 0
		.amdhsa_enable_private_segment 0
		.amdhsa_system_sgpr_workgroup_id_x 1
		.amdhsa_system_sgpr_workgroup_id_y 0
		.amdhsa_system_sgpr_workgroup_id_z 0
		.amdhsa_system_sgpr_workgroup_info 0
		.amdhsa_system_vgpr_workitem_id 0
		.amdhsa_next_free_vgpr 10
		.amdhsa_next_free_sgpr 16
		.amdhsa_accum_offset 12
		.amdhsa_reserve_vcc 1
		.amdhsa_float_round_mode_32 0
		.amdhsa_float_round_mode_16_64 0
		.amdhsa_float_denorm_mode_32 3
		.amdhsa_float_denorm_mode_16_64 3
		.amdhsa_dx10_clamp 1
		.amdhsa_ieee_mode 1
		.amdhsa_fp16_overflow 0
		.amdhsa_tg_split 0
		.amdhsa_exception_fp_ieee_invalid_op 0
		.amdhsa_exception_fp_denorm_src 0
		.amdhsa_exception_fp_ieee_div_zero 0
		.amdhsa_exception_fp_ieee_overflow 0
		.amdhsa_exception_fp_ieee_underflow 0
		.amdhsa_exception_fp_ieee_inexact 0
		.amdhsa_exception_int_div_zero 0
	.end_amdhsa_kernel
	.section	.text._ZN7rocprim17ROCPRIM_400000_NS6detail30init_device_scan_by_key_kernelINS1_19lookback_scan_stateINS0_5tupleIJibEEELb1ELb1EEENS1_16block_id_wrapperIjLb1EEEEEvT_jjPNS9_10value_typeET0_,"axG",@progbits,_ZN7rocprim17ROCPRIM_400000_NS6detail30init_device_scan_by_key_kernelINS1_19lookback_scan_stateINS0_5tupleIJibEEELb1ELb1EEENS1_16block_id_wrapperIjLb1EEEEEvT_jjPNS9_10value_typeET0_,comdat
.Lfunc_end20:
	.size	_ZN7rocprim17ROCPRIM_400000_NS6detail30init_device_scan_by_key_kernelINS1_19lookback_scan_stateINS0_5tupleIJibEEELb1ELb1EEENS1_16block_id_wrapperIjLb1EEEEEvT_jjPNS9_10value_typeET0_, .Lfunc_end20-_ZN7rocprim17ROCPRIM_400000_NS6detail30init_device_scan_by_key_kernelINS1_19lookback_scan_stateINS0_5tupleIJibEEELb1ELb1EEENS1_16block_id_wrapperIjLb1EEEEEvT_jjPNS9_10value_typeET0_
                                        ; -- End function
	.set _ZN7rocprim17ROCPRIM_400000_NS6detail30init_device_scan_by_key_kernelINS1_19lookback_scan_stateINS0_5tupleIJibEEELb1ELb1EEENS1_16block_id_wrapperIjLb1EEEEEvT_jjPNS9_10value_typeET0_.num_vgpr, 10
	.set _ZN7rocprim17ROCPRIM_400000_NS6detail30init_device_scan_by_key_kernelINS1_19lookback_scan_stateINS0_5tupleIJibEEELb1ELb1EEENS1_16block_id_wrapperIjLb1EEEEEvT_jjPNS9_10value_typeET0_.num_agpr, 0
	.set _ZN7rocprim17ROCPRIM_400000_NS6detail30init_device_scan_by_key_kernelINS1_19lookback_scan_stateINS0_5tupleIJibEEELb1ELb1EEENS1_16block_id_wrapperIjLb1EEEEEvT_jjPNS9_10value_typeET0_.numbered_sgpr, 16
	.set _ZN7rocprim17ROCPRIM_400000_NS6detail30init_device_scan_by_key_kernelINS1_19lookback_scan_stateINS0_5tupleIJibEEELb1ELb1EEENS1_16block_id_wrapperIjLb1EEEEEvT_jjPNS9_10value_typeET0_.num_named_barrier, 0
	.set _ZN7rocprim17ROCPRIM_400000_NS6detail30init_device_scan_by_key_kernelINS1_19lookback_scan_stateINS0_5tupleIJibEEELb1ELb1EEENS1_16block_id_wrapperIjLb1EEEEEvT_jjPNS9_10value_typeET0_.private_seg_size, 0
	.set _ZN7rocprim17ROCPRIM_400000_NS6detail30init_device_scan_by_key_kernelINS1_19lookback_scan_stateINS0_5tupleIJibEEELb1ELb1EEENS1_16block_id_wrapperIjLb1EEEEEvT_jjPNS9_10value_typeET0_.uses_vcc, 1
	.set _ZN7rocprim17ROCPRIM_400000_NS6detail30init_device_scan_by_key_kernelINS1_19lookback_scan_stateINS0_5tupleIJibEEELb1ELb1EEENS1_16block_id_wrapperIjLb1EEEEEvT_jjPNS9_10value_typeET0_.uses_flat_scratch, 0
	.set _ZN7rocprim17ROCPRIM_400000_NS6detail30init_device_scan_by_key_kernelINS1_19lookback_scan_stateINS0_5tupleIJibEEELb1ELb1EEENS1_16block_id_wrapperIjLb1EEEEEvT_jjPNS9_10value_typeET0_.has_dyn_sized_stack, 0
	.set _ZN7rocprim17ROCPRIM_400000_NS6detail30init_device_scan_by_key_kernelINS1_19lookback_scan_stateINS0_5tupleIJibEEELb1ELb1EEENS1_16block_id_wrapperIjLb1EEEEEvT_jjPNS9_10value_typeET0_.has_recursion, 0
	.set _ZN7rocprim17ROCPRIM_400000_NS6detail30init_device_scan_by_key_kernelINS1_19lookback_scan_stateINS0_5tupleIJibEEELb1ELb1EEENS1_16block_id_wrapperIjLb1EEEEEvT_jjPNS9_10value_typeET0_.has_indirect_call, 0
	.section	.AMDGPU.csdata,"",@progbits
; Kernel info:
; codeLenInByte = 448
; TotalNumSgprs: 22
; NumVgprs: 10
; NumAgprs: 0
; TotalNumVgprs: 10
; ScratchSize: 0
; MemoryBound: 0
; FloatMode: 240
; IeeeMode: 1
; LDSByteSize: 0 bytes/workgroup (compile time only)
; SGPRBlocks: 2
; VGPRBlocks: 1
; NumSGPRsForWavesPerEU: 22
; NumVGPRsForWavesPerEU: 10
; AccumOffset: 12
; Occupancy: 8
; WaveLimiterHint : 0
; COMPUTE_PGM_RSRC2:SCRATCH_EN: 0
; COMPUTE_PGM_RSRC2:USER_SGPR: 2
; COMPUTE_PGM_RSRC2:TRAP_HANDLER: 0
; COMPUTE_PGM_RSRC2:TGID_X_EN: 1
; COMPUTE_PGM_RSRC2:TGID_Y_EN: 0
; COMPUTE_PGM_RSRC2:TGID_Z_EN: 0
; COMPUTE_PGM_RSRC2:TIDIG_COMP_CNT: 0
; COMPUTE_PGM_RSRC3_GFX90A:ACCUM_OFFSET: 2
; COMPUTE_PGM_RSRC3_GFX90A:TG_SPLIT: 0
	.section	.text._ZN7rocprim17ROCPRIM_400000_NS6detail17trampoline_kernelINS0_14default_configENS1_27scan_by_key_config_selectorIiiEEZZNS1_16scan_by_key_implILNS1_25lookback_scan_determinismE0ELb0ES3_PKiN6hipcub16HIPCUB_304000_NS21ConstantInputIteratorIilEEPiiNSB_3SumENSB_8EqualityEiEE10hipError_tPvRmT2_T3_T4_T5_mT6_T7_P12ihipStream_tbENKUlT_T0_E_clISt17integral_constantIbLb1EESX_EEDaSS_ST_EUlSS_E_NS1_11comp_targetILNS1_3genE0ELNS1_11target_archE4294967295ELNS1_3gpuE0ELNS1_3repE0EEENS1_30default_config_static_selectorELNS0_4arch9wavefront6targetE1EEEvT1_,"axG",@progbits,_ZN7rocprim17ROCPRIM_400000_NS6detail17trampoline_kernelINS0_14default_configENS1_27scan_by_key_config_selectorIiiEEZZNS1_16scan_by_key_implILNS1_25lookback_scan_determinismE0ELb0ES3_PKiN6hipcub16HIPCUB_304000_NS21ConstantInputIteratorIilEEPiiNSB_3SumENSB_8EqualityEiEE10hipError_tPvRmT2_T3_T4_T5_mT6_T7_P12ihipStream_tbENKUlT_T0_E_clISt17integral_constantIbLb1EESX_EEDaSS_ST_EUlSS_E_NS1_11comp_targetILNS1_3genE0ELNS1_11target_archE4294967295ELNS1_3gpuE0ELNS1_3repE0EEENS1_30default_config_static_selectorELNS0_4arch9wavefront6targetE1EEEvT1_,comdat
	.protected	_ZN7rocprim17ROCPRIM_400000_NS6detail17trampoline_kernelINS0_14default_configENS1_27scan_by_key_config_selectorIiiEEZZNS1_16scan_by_key_implILNS1_25lookback_scan_determinismE0ELb0ES3_PKiN6hipcub16HIPCUB_304000_NS21ConstantInputIteratorIilEEPiiNSB_3SumENSB_8EqualityEiEE10hipError_tPvRmT2_T3_T4_T5_mT6_T7_P12ihipStream_tbENKUlT_T0_E_clISt17integral_constantIbLb1EESX_EEDaSS_ST_EUlSS_E_NS1_11comp_targetILNS1_3genE0ELNS1_11target_archE4294967295ELNS1_3gpuE0ELNS1_3repE0EEENS1_30default_config_static_selectorELNS0_4arch9wavefront6targetE1EEEvT1_ ; -- Begin function _ZN7rocprim17ROCPRIM_400000_NS6detail17trampoline_kernelINS0_14default_configENS1_27scan_by_key_config_selectorIiiEEZZNS1_16scan_by_key_implILNS1_25lookback_scan_determinismE0ELb0ES3_PKiN6hipcub16HIPCUB_304000_NS21ConstantInputIteratorIilEEPiiNSB_3SumENSB_8EqualityEiEE10hipError_tPvRmT2_T3_T4_T5_mT6_T7_P12ihipStream_tbENKUlT_T0_E_clISt17integral_constantIbLb1EESX_EEDaSS_ST_EUlSS_E_NS1_11comp_targetILNS1_3genE0ELNS1_11target_archE4294967295ELNS1_3gpuE0ELNS1_3repE0EEENS1_30default_config_static_selectorELNS0_4arch9wavefront6targetE1EEEvT1_
	.globl	_ZN7rocprim17ROCPRIM_400000_NS6detail17trampoline_kernelINS0_14default_configENS1_27scan_by_key_config_selectorIiiEEZZNS1_16scan_by_key_implILNS1_25lookback_scan_determinismE0ELb0ES3_PKiN6hipcub16HIPCUB_304000_NS21ConstantInputIteratorIilEEPiiNSB_3SumENSB_8EqualityEiEE10hipError_tPvRmT2_T3_T4_T5_mT6_T7_P12ihipStream_tbENKUlT_T0_E_clISt17integral_constantIbLb1EESX_EEDaSS_ST_EUlSS_E_NS1_11comp_targetILNS1_3genE0ELNS1_11target_archE4294967295ELNS1_3gpuE0ELNS1_3repE0EEENS1_30default_config_static_selectorELNS0_4arch9wavefront6targetE1EEEvT1_
	.p2align	8
	.type	_ZN7rocprim17ROCPRIM_400000_NS6detail17trampoline_kernelINS0_14default_configENS1_27scan_by_key_config_selectorIiiEEZZNS1_16scan_by_key_implILNS1_25lookback_scan_determinismE0ELb0ES3_PKiN6hipcub16HIPCUB_304000_NS21ConstantInputIteratorIilEEPiiNSB_3SumENSB_8EqualityEiEE10hipError_tPvRmT2_T3_T4_T5_mT6_T7_P12ihipStream_tbENKUlT_T0_E_clISt17integral_constantIbLb1EESX_EEDaSS_ST_EUlSS_E_NS1_11comp_targetILNS1_3genE0ELNS1_11target_archE4294967295ELNS1_3gpuE0ELNS1_3repE0EEENS1_30default_config_static_selectorELNS0_4arch9wavefront6targetE1EEEvT1_,@function
_ZN7rocprim17ROCPRIM_400000_NS6detail17trampoline_kernelINS0_14default_configENS1_27scan_by_key_config_selectorIiiEEZZNS1_16scan_by_key_implILNS1_25lookback_scan_determinismE0ELb0ES3_PKiN6hipcub16HIPCUB_304000_NS21ConstantInputIteratorIilEEPiiNSB_3SumENSB_8EqualityEiEE10hipError_tPvRmT2_T3_T4_T5_mT6_T7_P12ihipStream_tbENKUlT_T0_E_clISt17integral_constantIbLb1EESX_EEDaSS_ST_EUlSS_E_NS1_11comp_targetILNS1_3genE0ELNS1_11target_archE4294967295ELNS1_3gpuE0ELNS1_3repE0EEENS1_30default_config_static_selectorELNS0_4arch9wavefront6targetE1EEEvT1_: ; @_ZN7rocprim17ROCPRIM_400000_NS6detail17trampoline_kernelINS0_14default_configENS1_27scan_by_key_config_selectorIiiEEZZNS1_16scan_by_key_implILNS1_25lookback_scan_determinismE0ELb0ES3_PKiN6hipcub16HIPCUB_304000_NS21ConstantInputIteratorIilEEPiiNSB_3SumENSB_8EqualityEiEE10hipError_tPvRmT2_T3_T4_T5_mT6_T7_P12ihipStream_tbENKUlT_T0_E_clISt17integral_constantIbLb1EESX_EEDaSS_ST_EUlSS_E_NS1_11comp_targetILNS1_3genE0ELNS1_11target_archE4294967295ELNS1_3gpuE0ELNS1_3repE0EEENS1_30default_config_static_selectorELNS0_4arch9wavefront6targetE1EEEvT1_
; %bb.0:
	s_endpgm
	.section	.rodata,"a",@progbits
	.p2align	6, 0x0
	.amdhsa_kernel _ZN7rocprim17ROCPRIM_400000_NS6detail17trampoline_kernelINS0_14default_configENS1_27scan_by_key_config_selectorIiiEEZZNS1_16scan_by_key_implILNS1_25lookback_scan_determinismE0ELb0ES3_PKiN6hipcub16HIPCUB_304000_NS21ConstantInputIteratorIilEEPiiNSB_3SumENSB_8EqualityEiEE10hipError_tPvRmT2_T3_T4_T5_mT6_T7_P12ihipStream_tbENKUlT_T0_E_clISt17integral_constantIbLb1EESX_EEDaSS_ST_EUlSS_E_NS1_11comp_targetILNS1_3genE0ELNS1_11target_archE4294967295ELNS1_3gpuE0ELNS1_3repE0EEENS1_30default_config_static_selectorELNS0_4arch9wavefront6targetE1EEEvT1_
		.amdhsa_group_segment_fixed_size 0
		.amdhsa_private_segment_fixed_size 0
		.amdhsa_kernarg_size 120
		.amdhsa_user_sgpr_count 2
		.amdhsa_user_sgpr_dispatch_ptr 0
		.amdhsa_user_sgpr_queue_ptr 0
		.amdhsa_user_sgpr_kernarg_segment_ptr 1
		.amdhsa_user_sgpr_dispatch_id 0
		.amdhsa_user_sgpr_kernarg_preload_length 0
		.amdhsa_user_sgpr_kernarg_preload_offset 0
		.amdhsa_user_sgpr_private_segment_size 0
		.amdhsa_uses_dynamic_stack 0
		.amdhsa_enable_private_segment 0
		.amdhsa_system_sgpr_workgroup_id_x 1
		.amdhsa_system_sgpr_workgroup_id_y 0
		.amdhsa_system_sgpr_workgroup_id_z 0
		.amdhsa_system_sgpr_workgroup_info 0
		.amdhsa_system_vgpr_workitem_id 0
		.amdhsa_next_free_vgpr 1
		.amdhsa_next_free_sgpr 0
		.amdhsa_accum_offset 4
		.amdhsa_reserve_vcc 0
		.amdhsa_float_round_mode_32 0
		.amdhsa_float_round_mode_16_64 0
		.amdhsa_float_denorm_mode_32 3
		.amdhsa_float_denorm_mode_16_64 3
		.amdhsa_dx10_clamp 1
		.amdhsa_ieee_mode 1
		.amdhsa_fp16_overflow 0
		.amdhsa_tg_split 0
		.amdhsa_exception_fp_ieee_invalid_op 0
		.amdhsa_exception_fp_denorm_src 0
		.amdhsa_exception_fp_ieee_div_zero 0
		.amdhsa_exception_fp_ieee_overflow 0
		.amdhsa_exception_fp_ieee_underflow 0
		.amdhsa_exception_fp_ieee_inexact 0
		.amdhsa_exception_int_div_zero 0
	.end_amdhsa_kernel
	.section	.text._ZN7rocprim17ROCPRIM_400000_NS6detail17trampoline_kernelINS0_14default_configENS1_27scan_by_key_config_selectorIiiEEZZNS1_16scan_by_key_implILNS1_25lookback_scan_determinismE0ELb0ES3_PKiN6hipcub16HIPCUB_304000_NS21ConstantInputIteratorIilEEPiiNSB_3SumENSB_8EqualityEiEE10hipError_tPvRmT2_T3_T4_T5_mT6_T7_P12ihipStream_tbENKUlT_T0_E_clISt17integral_constantIbLb1EESX_EEDaSS_ST_EUlSS_E_NS1_11comp_targetILNS1_3genE0ELNS1_11target_archE4294967295ELNS1_3gpuE0ELNS1_3repE0EEENS1_30default_config_static_selectorELNS0_4arch9wavefront6targetE1EEEvT1_,"axG",@progbits,_ZN7rocprim17ROCPRIM_400000_NS6detail17trampoline_kernelINS0_14default_configENS1_27scan_by_key_config_selectorIiiEEZZNS1_16scan_by_key_implILNS1_25lookback_scan_determinismE0ELb0ES3_PKiN6hipcub16HIPCUB_304000_NS21ConstantInputIteratorIilEEPiiNSB_3SumENSB_8EqualityEiEE10hipError_tPvRmT2_T3_T4_T5_mT6_T7_P12ihipStream_tbENKUlT_T0_E_clISt17integral_constantIbLb1EESX_EEDaSS_ST_EUlSS_E_NS1_11comp_targetILNS1_3genE0ELNS1_11target_archE4294967295ELNS1_3gpuE0ELNS1_3repE0EEENS1_30default_config_static_selectorELNS0_4arch9wavefront6targetE1EEEvT1_,comdat
.Lfunc_end21:
	.size	_ZN7rocprim17ROCPRIM_400000_NS6detail17trampoline_kernelINS0_14default_configENS1_27scan_by_key_config_selectorIiiEEZZNS1_16scan_by_key_implILNS1_25lookback_scan_determinismE0ELb0ES3_PKiN6hipcub16HIPCUB_304000_NS21ConstantInputIteratorIilEEPiiNSB_3SumENSB_8EqualityEiEE10hipError_tPvRmT2_T3_T4_T5_mT6_T7_P12ihipStream_tbENKUlT_T0_E_clISt17integral_constantIbLb1EESX_EEDaSS_ST_EUlSS_E_NS1_11comp_targetILNS1_3genE0ELNS1_11target_archE4294967295ELNS1_3gpuE0ELNS1_3repE0EEENS1_30default_config_static_selectorELNS0_4arch9wavefront6targetE1EEEvT1_, .Lfunc_end21-_ZN7rocprim17ROCPRIM_400000_NS6detail17trampoline_kernelINS0_14default_configENS1_27scan_by_key_config_selectorIiiEEZZNS1_16scan_by_key_implILNS1_25lookback_scan_determinismE0ELb0ES3_PKiN6hipcub16HIPCUB_304000_NS21ConstantInputIteratorIilEEPiiNSB_3SumENSB_8EqualityEiEE10hipError_tPvRmT2_T3_T4_T5_mT6_T7_P12ihipStream_tbENKUlT_T0_E_clISt17integral_constantIbLb1EESX_EEDaSS_ST_EUlSS_E_NS1_11comp_targetILNS1_3genE0ELNS1_11target_archE4294967295ELNS1_3gpuE0ELNS1_3repE0EEENS1_30default_config_static_selectorELNS0_4arch9wavefront6targetE1EEEvT1_
                                        ; -- End function
	.set _ZN7rocprim17ROCPRIM_400000_NS6detail17trampoline_kernelINS0_14default_configENS1_27scan_by_key_config_selectorIiiEEZZNS1_16scan_by_key_implILNS1_25lookback_scan_determinismE0ELb0ES3_PKiN6hipcub16HIPCUB_304000_NS21ConstantInputIteratorIilEEPiiNSB_3SumENSB_8EqualityEiEE10hipError_tPvRmT2_T3_T4_T5_mT6_T7_P12ihipStream_tbENKUlT_T0_E_clISt17integral_constantIbLb1EESX_EEDaSS_ST_EUlSS_E_NS1_11comp_targetILNS1_3genE0ELNS1_11target_archE4294967295ELNS1_3gpuE0ELNS1_3repE0EEENS1_30default_config_static_selectorELNS0_4arch9wavefront6targetE1EEEvT1_.num_vgpr, 0
	.set _ZN7rocprim17ROCPRIM_400000_NS6detail17trampoline_kernelINS0_14default_configENS1_27scan_by_key_config_selectorIiiEEZZNS1_16scan_by_key_implILNS1_25lookback_scan_determinismE0ELb0ES3_PKiN6hipcub16HIPCUB_304000_NS21ConstantInputIteratorIilEEPiiNSB_3SumENSB_8EqualityEiEE10hipError_tPvRmT2_T3_T4_T5_mT6_T7_P12ihipStream_tbENKUlT_T0_E_clISt17integral_constantIbLb1EESX_EEDaSS_ST_EUlSS_E_NS1_11comp_targetILNS1_3genE0ELNS1_11target_archE4294967295ELNS1_3gpuE0ELNS1_3repE0EEENS1_30default_config_static_selectorELNS0_4arch9wavefront6targetE1EEEvT1_.num_agpr, 0
	.set _ZN7rocprim17ROCPRIM_400000_NS6detail17trampoline_kernelINS0_14default_configENS1_27scan_by_key_config_selectorIiiEEZZNS1_16scan_by_key_implILNS1_25lookback_scan_determinismE0ELb0ES3_PKiN6hipcub16HIPCUB_304000_NS21ConstantInputIteratorIilEEPiiNSB_3SumENSB_8EqualityEiEE10hipError_tPvRmT2_T3_T4_T5_mT6_T7_P12ihipStream_tbENKUlT_T0_E_clISt17integral_constantIbLb1EESX_EEDaSS_ST_EUlSS_E_NS1_11comp_targetILNS1_3genE0ELNS1_11target_archE4294967295ELNS1_3gpuE0ELNS1_3repE0EEENS1_30default_config_static_selectorELNS0_4arch9wavefront6targetE1EEEvT1_.numbered_sgpr, 0
	.set _ZN7rocprim17ROCPRIM_400000_NS6detail17trampoline_kernelINS0_14default_configENS1_27scan_by_key_config_selectorIiiEEZZNS1_16scan_by_key_implILNS1_25lookback_scan_determinismE0ELb0ES3_PKiN6hipcub16HIPCUB_304000_NS21ConstantInputIteratorIilEEPiiNSB_3SumENSB_8EqualityEiEE10hipError_tPvRmT2_T3_T4_T5_mT6_T7_P12ihipStream_tbENKUlT_T0_E_clISt17integral_constantIbLb1EESX_EEDaSS_ST_EUlSS_E_NS1_11comp_targetILNS1_3genE0ELNS1_11target_archE4294967295ELNS1_3gpuE0ELNS1_3repE0EEENS1_30default_config_static_selectorELNS0_4arch9wavefront6targetE1EEEvT1_.num_named_barrier, 0
	.set _ZN7rocprim17ROCPRIM_400000_NS6detail17trampoline_kernelINS0_14default_configENS1_27scan_by_key_config_selectorIiiEEZZNS1_16scan_by_key_implILNS1_25lookback_scan_determinismE0ELb0ES3_PKiN6hipcub16HIPCUB_304000_NS21ConstantInputIteratorIilEEPiiNSB_3SumENSB_8EqualityEiEE10hipError_tPvRmT2_T3_T4_T5_mT6_T7_P12ihipStream_tbENKUlT_T0_E_clISt17integral_constantIbLb1EESX_EEDaSS_ST_EUlSS_E_NS1_11comp_targetILNS1_3genE0ELNS1_11target_archE4294967295ELNS1_3gpuE0ELNS1_3repE0EEENS1_30default_config_static_selectorELNS0_4arch9wavefront6targetE1EEEvT1_.private_seg_size, 0
	.set _ZN7rocprim17ROCPRIM_400000_NS6detail17trampoline_kernelINS0_14default_configENS1_27scan_by_key_config_selectorIiiEEZZNS1_16scan_by_key_implILNS1_25lookback_scan_determinismE0ELb0ES3_PKiN6hipcub16HIPCUB_304000_NS21ConstantInputIteratorIilEEPiiNSB_3SumENSB_8EqualityEiEE10hipError_tPvRmT2_T3_T4_T5_mT6_T7_P12ihipStream_tbENKUlT_T0_E_clISt17integral_constantIbLb1EESX_EEDaSS_ST_EUlSS_E_NS1_11comp_targetILNS1_3genE0ELNS1_11target_archE4294967295ELNS1_3gpuE0ELNS1_3repE0EEENS1_30default_config_static_selectorELNS0_4arch9wavefront6targetE1EEEvT1_.uses_vcc, 0
	.set _ZN7rocprim17ROCPRIM_400000_NS6detail17trampoline_kernelINS0_14default_configENS1_27scan_by_key_config_selectorIiiEEZZNS1_16scan_by_key_implILNS1_25lookback_scan_determinismE0ELb0ES3_PKiN6hipcub16HIPCUB_304000_NS21ConstantInputIteratorIilEEPiiNSB_3SumENSB_8EqualityEiEE10hipError_tPvRmT2_T3_T4_T5_mT6_T7_P12ihipStream_tbENKUlT_T0_E_clISt17integral_constantIbLb1EESX_EEDaSS_ST_EUlSS_E_NS1_11comp_targetILNS1_3genE0ELNS1_11target_archE4294967295ELNS1_3gpuE0ELNS1_3repE0EEENS1_30default_config_static_selectorELNS0_4arch9wavefront6targetE1EEEvT1_.uses_flat_scratch, 0
	.set _ZN7rocprim17ROCPRIM_400000_NS6detail17trampoline_kernelINS0_14default_configENS1_27scan_by_key_config_selectorIiiEEZZNS1_16scan_by_key_implILNS1_25lookback_scan_determinismE0ELb0ES3_PKiN6hipcub16HIPCUB_304000_NS21ConstantInputIteratorIilEEPiiNSB_3SumENSB_8EqualityEiEE10hipError_tPvRmT2_T3_T4_T5_mT6_T7_P12ihipStream_tbENKUlT_T0_E_clISt17integral_constantIbLb1EESX_EEDaSS_ST_EUlSS_E_NS1_11comp_targetILNS1_3genE0ELNS1_11target_archE4294967295ELNS1_3gpuE0ELNS1_3repE0EEENS1_30default_config_static_selectorELNS0_4arch9wavefront6targetE1EEEvT1_.has_dyn_sized_stack, 0
	.set _ZN7rocprim17ROCPRIM_400000_NS6detail17trampoline_kernelINS0_14default_configENS1_27scan_by_key_config_selectorIiiEEZZNS1_16scan_by_key_implILNS1_25lookback_scan_determinismE0ELb0ES3_PKiN6hipcub16HIPCUB_304000_NS21ConstantInputIteratorIilEEPiiNSB_3SumENSB_8EqualityEiEE10hipError_tPvRmT2_T3_T4_T5_mT6_T7_P12ihipStream_tbENKUlT_T0_E_clISt17integral_constantIbLb1EESX_EEDaSS_ST_EUlSS_E_NS1_11comp_targetILNS1_3genE0ELNS1_11target_archE4294967295ELNS1_3gpuE0ELNS1_3repE0EEENS1_30default_config_static_selectorELNS0_4arch9wavefront6targetE1EEEvT1_.has_recursion, 0
	.set _ZN7rocprim17ROCPRIM_400000_NS6detail17trampoline_kernelINS0_14default_configENS1_27scan_by_key_config_selectorIiiEEZZNS1_16scan_by_key_implILNS1_25lookback_scan_determinismE0ELb0ES3_PKiN6hipcub16HIPCUB_304000_NS21ConstantInputIteratorIilEEPiiNSB_3SumENSB_8EqualityEiEE10hipError_tPvRmT2_T3_T4_T5_mT6_T7_P12ihipStream_tbENKUlT_T0_E_clISt17integral_constantIbLb1EESX_EEDaSS_ST_EUlSS_E_NS1_11comp_targetILNS1_3genE0ELNS1_11target_archE4294967295ELNS1_3gpuE0ELNS1_3repE0EEENS1_30default_config_static_selectorELNS0_4arch9wavefront6targetE1EEEvT1_.has_indirect_call, 0
	.section	.AMDGPU.csdata,"",@progbits
; Kernel info:
; codeLenInByte = 4
; TotalNumSgprs: 6
; NumVgprs: 0
; NumAgprs: 0
; TotalNumVgprs: 0
; ScratchSize: 0
; MemoryBound: 0
; FloatMode: 240
; IeeeMode: 1
; LDSByteSize: 0 bytes/workgroup (compile time only)
; SGPRBlocks: 0
; VGPRBlocks: 0
; NumSGPRsForWavesPerEU: 6
; NumVGPRsForWavesPerEU: 1
; AccumOffset: 4
; Occupancy: 8
; WaveLimiterHint : 0
; COMPUTE_PGM_RSRC2:SCRATCH_EN: 0
; COMPUTE_PGM_RSRC2:USER_SGPR: 2
; COMPUTE_PGM_RSRC2:TRAP_HANDLER: 0
; COMPUTE_PGM_RSRC2:TGID_X_EN: 1
; COMPUTE_PGM_RSRC2:TGID_Y_EN: 0
; COMPUTE_PGM_RSRC2:TGID_Z_EN: 0
; COMPUTE_PGM_RSRC2:TIDIG_COMP_CNT: 0
; COMPUTE_PGM_RSRC3_GFX90A:ACCUM_OFFSET: 0
; COMPUTE_PGM_RSRC3_GFX90A:TG_SPLIT: 0
	.section	.text._ZN7rocprim17ROCPRIM_400000_NS6detail17trampoline_kernelINS0_14default_configENS1_27scan_by_key_config_selectorIiiEEZZNS1_16scan_by_key_implILNS1_25lookback_scan_determinismE0ELb0ES3_PKiN6hipcub16HIPCUB_304000_NS21ConstantInputIteratorIilEEPiiNSB_3SumENSB_8EqualityEiEE10hipError_tPvRmT2_T3_T4_T5_mT6_T7_P12ihipStream_tbENKUlT_T0_E_clISt17integral_constantIbLb1EESX_EEDaSS_ST_EUlSS_E_NS1_11comp_targetILNS1_3genE10ELNS1_11target_archE1201ELNS1_3gpuE5ELNS1_3repE0EEENS1_30default_config_static_selectorELNS0_4arch9wavefront6targetE1EEEvT1_,"axG",@progbits,_ZN7rocprim17ROCPRIM_400000_NS6detail17trampoline_kernelINS0_14default_configENS1_27scan_by_key_config_selectorIiiEEZZNS1_16scan_by_key_implILNS1_25lookback_scan_determinismE0ELb0ES3_PKiN6hipcub16HIPCUB_304000_NS21ConstantInputIteratorIilEEPiiNSB_3SumENSB_8EqualityEiEE10hipError_tPvRmT2_T3_T4_T5_mT6_T7_P12ihipStream_tbENKUlT_T0_E_clISt17integral_constantIbLb1EESX_EEDaSS_ST_EUlSS_E_NS1_11comp_targetILNS1_3genE10ELNS1_11target_archE1201ELNS1_3gpuE5ELNS1_3repE0EEENS1_30default_config_static_selectorELNS0_4arch9wavefront6targetE1EEEvT1_,comdat
	.protected	_ZN7rocprim17ROCPRIM_400000_NS6detail17trampoline_kernelINS0_14default_configENS1_27scan_by_key_config_selectorIiiEEZZNS1_16scan_by_key_implILNS1_25lookback_scan_determinismE0ELb0ES3_PKiN6hipcub16HIPCUB_304000_NS21ConstantInputIteratorIilEEPiiNSB_3SumENSB_8EqualityEiEE10hipError_tPvRmT2_T3_T4_T5_mT6_T7_P12ihipStream_tbENKUlT_T0_E_clISt17integral_constantIbLb1EESX_EEDaSS_ST_EUlSS_E_NS1_11comp_targetILNS1_3genE10ELNS1_11target_archE1201ELNS1_3gpuE5ELNS1_3repE0EEENS1_30default_config_static_selectorELNS0_4arch9wavefront6targetE1EEEvT1_ ; -- Begin function _ZN7rocprim17ROCPRIM_400000_NS6detail17trampoline_kernelINS0_14default_configENS1_27scan_by_key_config_selectorIiiEEZZNS1_16scan_by_key_implILNS1_25lookback_scan_determinismE0ELb0ES3_PKiN6hipcub16HIPCUB_304000_NS21ConstantInputIteratorIilEEPiiNSB_3SumENSB_8EqualityEiEE10hipError_tPvRmT2_T3_T4_T5_mT6_T7_P12ihipStream_tbENKUlT_T0_E_clISt17integral_constantIbLb1EESX_EEDaSS_ST_EUlSS_E_NS1_11comp_targetILNS1_3genE10ELNS1_11target_archE1201ELNS1_3gpuE5ELNS1_3repE0EEENS1_30default_config_static_selectorELNS0_4arch9wavefront6targetE1EEEvT1_
	.globl	_ZN7rocprim17ROCPRIM_400000_NS6detail17trampoline_kernelINS0_14default_configENS1_27scan_by_key_config_selectorIiiEEZZNS1_16scan_by_key_implILNS1_25lookback_scan_determinismE0ELb0ES3_PKiN6hipcub16HIPCUB_304000_NS21ConstantInputIteratorIilEEPiiNSB_3SumENSB_8EqualityEiEE10hipError_tPvRmT2_T3_T4_T5_mT6_T7_P12ihipStream_tbENKUlT_T0_E_clISt17integral_constantIbLb1EESX_EEDaSS_ST_EUlSS_E_NS1_11comp_targetILNS1_3genE10ELNS1_11target_archE1201ELNS1_3gpuE5ELNS1_3repE0EEENS1_30default_config_static_selectorELNS0_4arch9wavefront6targetE1EEEvT1_
	.p2align	8
	.type	_ZN7rocprim17ROCPRIM_400000_NS6detail17trampoline_kernelINS0_14default_configENS1_27scan_by_key_config_selectorIiiEEZZNS1_16scan_by_key_implILNS1_25lookback_scan_determinismE0ELb0ES3_PKiN6hipcub16HIPCUB_304000_NS21ConstantInputIteratorIilEEPiiNSB_3SumENSB_8EqualityEiEE10hipError_tPvRmT2_T3_T4_T5_mT6_T7_P12ihipStream_tbENKUlT_T0_E_clISt17integral_constantIbLb1EESX_EEDaSS_ST_EUlSS_E_NS1_11comp_targetILNS1_3genE10ELNS1_11target_archE1201ELNS1_3gpuE5ELNS1_3repE0EEENS1_30default_config_static_selectorELNS0_4arch9wavefront6targetE1EEEvT1_,@function
_ZN7rocprim17ROCPRIM_400000_NS6detail17trampoline_kernelINS0_14default_configENS1_27scan_by_key_config_selectorIiiEEZZNS1_16scan_by_key_implILNS1_25lookback_scan_determinismE0ELb0ES3_PKiN6hipcub16HIPCUB_304000_NS21ConstantInputIteratorIilEEPiiNSB_3SumENSB_8EqualityEiEE10hipError_tPvRmT2_T3_T4_T5_mT6_T7_P12ihipStream_tbENKUlT_T0_E_clISt17integral_constantIbLb1EESX_EEDaSS_ST_EUlSS_E_NS1_11comp_targetILNS1_3genE10ELNS1_11target_archE1201ELNS1_3gpuE5ELNS1_3repE0EEENS1_30default_config_static_selectorELNS0_4arch9wavefront6targetE1EEEvT1_: ; @_ZN7rocprim17ROCPRIM_400000_NS6detail17trampoline_kernelINS0_14default_configENS1_27scan_by_key_config_selectorIiiEEZZNS1_16scan_by_key_implILNS1_25lookback_scan_determinismE0ELb0ES3_PKiN6hipcub16HIPCUB_304000_NS21ConstantInputIteratorIilEEPiiNSB_3SumENSB_8EqualityEiEE10hipError_tPvRmT2_T3_T4_T5_mT6_T7_P12ihipStream_tbENKUlT_T0_E_clISt17integral_constantIbLb1EESX_EEDaSS_ST_EUlSS_E_NS1_11comp_targetILNS1_3genE10ELNS1_11target_archE1201ELNS1_3gpuE5ELNS1_3repE0EEENS1_30default_config_static_selectorELNS0_4arch9wavefront6targetE1EEEvT1_
; %bb.0:
	.section	.rodata,"a",@progbits
	.p2align	6, 0x0
	.amdhsa_kernel _ZN7rocprim17ROCPRIM_400000_NS6detail17trampoline_kernelINS0_14default_configENS1_27scan_by_key_config_selectorIiiEEZZNS1_16scan_by_key_implILNS1_25lookback_scan_determinismE0ELb0ES3_PKiN6hipcub16HIPCUB_304000_NS21ConstantInputIteratorIilEEPiiNSB_3SumENSB_8EqualityEiEE10hipError_tPvRmT2_T3_T4_T5_mT6_T7_P12ihipStream_tbENKUlT_T0_E_clISt17integral_constantIbLb1EESX_EEDaSS_ST_EUlSS_E_NS1_11comp_targetILNS1_3genE10ELNS1_11target_archE1201ELNS1_3gpuE5ELNS1_3repE0EEENS1_30default_config_static_selectorELNS0_4arch9wavefront6targetE1EEEvT1_
		.amdhsa_group_segment_fixed_size 0
		.amdhsa_private_segment_fixed_size 0
		.amdhsa_kernarg_size 120
		.amdhsa_user_sgpr_count 2
		.amdhsa_user_sgpr_dispatch_ptr 0
		.amdhsa_user_sgpr_queue_ptr 0
		.amdhsa_user_sgpr_kernarg_segment_ptr 1
		.amdhsa_user_sgpr_dispatch_id 0
		.amdhsa_user_sgpr_kernarg_preload_length 0
		.amdhsa_user_sgpr_kernarg_preload_offset 0
		.amdhsa_user_sgpr_private_segment_size 0
		.amdhsa_uses_dynamic_stack 0
		.amdhsa_enable_private_segment 0
		.amdhsa_system_sgpr_workgroup_id_x 1
		.amdhsa_system_sgpr_workgroup_id_y 0
		.amdhsa_system_sgpr_workgroup_id_z 0
		.amdhsa_system_sgpr_workgroup_info 0
		.amdhsa_system_vgpr_workitem_id 0
		.amdhsa_next_free_vgpr 1
		.amdhsa_next_free_sgpr 0
		.amdhsa_accum_offset 4
		.amdhsa_reserve_vcc 0
		.amdhsa_float_round_mode_32 0
		.amdhsa_float_round_mode_16_64 0
		.amdhsa_float_denorm_mode_32 3
		.amdhsa_float_denorm_mode_16_64 3
		.amdhsa_dx10_clamp 1
		.amdhsa_ieee_mode 1
		.amdhsa_fp16_overflow 0
		.amdhsa_tg_split 0
		.amdhsa_exception_fp_ieee_invalid_op 0
		.amdhsa_exception_fp_denorm_src 0
		.amdhsa_exception_fp_ieee_div_zero 0
		.amdhsa_exception_fp_ieee_overflow 0
		.amdhsa_exception_fp_ieee_underflow 0
		.amdhsa_exception_fp_ieee_inexact 0
		.amdhsa_exception_int_div_zero 0
	.end_amdhsa_kernel
	.section	.text._ZN7rocprim17ROCPRIM_400000_NS6detail17trampoline_kernelINS0_14default_configENS1_27scan_by_key_config_selectorIiiEEZZNS1_16scan_by_key_implILNS1_25lookback_scan_determinismE0ELb0ES3_PKiN6hipcub16HIPCUB_304000_NS21ConstantInputIteratorIilEEPiiNSB_3SumENSB_8EqualityEiEE10hipError_tPvRmT2_T3_T4_T5_mT6_T7_P12ihipStream_tbENKUlT_T0_E_clISt17integral_constantIbLb1EESX_EEDaSS_ST_EUlSS_E_NS1_11comp_targetILNS1_3genE10ELNS1_11target_archE1201ELNS1_3gpuE5ELNS1_3repE0EEENS1_30default_config_static_selectorELNS0_4arch9wavefront6targetE1EEEvT1_,"axG",@progbits,_ZN7rocprim17ROCPRIM_400000_NS6detail17trampoline_kernelINS0_14default_configENS1_27scan_by_key_config_selectorIiiEEZZNS1_16scan_by_key_implILNS1_25lookback_scan_determinismE0ELb0ES3_PKiN6hipcub16HIPCUB_304000_NS21ConstantInputIteratorIilEEPiiNSB_3SumENSB_8EqualityEiEE10hipError_tPvRmT2_T3_T4_T5_mT6_T7_P12ihipStream_tbENKUlT_T0_E_clISt17integral_constantIbLb1EESX_EEDaSS_ST_EUlSS_E_NS1_11comp_targetILNS1_3genE10ELNS1_11target_archE1201ELNS1_3gpuE5ELNS1_3repE0EEENS1_30default_config_static_selectorELNS0_4arch9wavefront6targetE1EEEvT1_,comdat
.Lfunc_end22:
	.size	_ZN7rocprim17ROCPRIM_400000_NS6detail17trampoline_kernelINS0_14default_configENS1_27scan_by_key_config_selectorIiiEEZZNS1_16scan_by_key_implILNS1_25lookback_scan_determinismE0ELb0ES3_PKiN6hipcub16HIPCUB_304000_NS21ConstantInputIteratorIilEEPiiNSB_3SumENSB_8EqualityEiEE10hipError_tPvRmT2_T3_T4_T5_mT6_T7_P12ihipStream_tbENKUlT_T0_E_clISt17integral_constantIbLb1EESX_EEDaSS_ST_EUlSS_E_NS1_11comp_targetILNS1_3genE10ELNS1_11target_archE1201ELNS1_3gpuE5ELNS1_3repE0EEENS1_30default_config_static_selectorELNS0_4arch9wavefront6targetE1EEEvT1_, .Lfunc_end22-_ZN7rocprim17ROCPRIM_400000_NS6detail17trampoline_kernelINS0_14default_configENS1_27scan_by_key_config_selectorIiiEEZZNS1_16scan_by_key_implILNS1_25lookback_scan_determinismE0ELb0ES3_PKiN6hipcub16HIPCUB_304000_NS21ConstantInputIteratorIilEEPiiNSB_3SumENSB_8EqualityEiEE10hipError_tPvRmT2_T3_T4_T5_mT6_T7_P12ihipStream_tbENKUlT_T0_E_clISt17integral_constantIbLb1EESX_EEDaSS_ST_EUlSS_E_NS1_11comp_targetILNS1_3genE10ELNS1_11target_archE1201ELNS1_3gpuE5ELNS1_3repE0EEENS1_30default_config_static_selectorELNS0_4arch9wavefront6targetE1EEEvT1_
                                        ; -- End function
	.set _ZN7rocprim17ROCPRIM_400000_NS6detail17trampoline_kernelINS0_14default_configENS1_27scan_by_key_config_selectorIiiEEZZNS1_16scan_by_key_implILNS1_25lookback_scan_determinismE0ELb0ES3_PKiN6hipcub16HIPCUB_304000_NS21ConstantInputIteratorIilEEPiiNSB_3SumENSB_8EqualityEiEE10hipError_tPvRmT2_T3_T4_T5_mT6_T7_P12ihipStream_tbENKUlT_T0_E_clISt17integral_constantIbLb1EESX_EEDaSS_ST_EUlSS_E_NS1_11comp_targetILNS1_3genE10ELNS1_11target_archE1201ELNS1_3gpuE5ELNS1_3repE0EEENS1_30default_config_static_selectorELNS0_4arch9wavefront6targetE1EEEvT1_.num_vgpr, 0
	.set _ZN7rocprim17ROCPRIM_400000_NS6detail17trampoline_kernelINS0_14default_configENS1_27scan_by_key_config_selectorIiiEEZZNS1_16scan_by_key_implILNS1_25lookback_scan_determinismE0ELb0ES3_PKiN6hipcub16HIPCUB_304000_NS21ConstantInputIteratorIilEEPiiNSB_3SumENSB_8EqualityEiEE10hipError_tPvRmT2_T3_T4_T5_mT6_T7_P12ihipStream_tbENKUlT_T0_E_clISt17integral_constantIbLb1EESX_EEDaSS_ST_EUlSS_E_NS1_11comp_targetILNS1_3genE10ELNS1_11target_archE1201ELNS1_3gpuE5ELNS1_3repE0EEENS1_30default_config_static_selectorELNS0_4arch9wavefront6targetE1EEEvT1_.num_agpr, 0
	.set _ZN7rocprim17ROCPRIM_400000_NS6detail17trampoline_kernelINS0_14default_configENS1_27scan_by_key_config_selectorIiiEEZZNS1_16scan_by_key_implILNS1_25lookback_scan_determinismE0ELb0ES3_PKiN6hipcub16HIPCUB_304000_NS21ConstantInputIteratorIilEEPiiNSB_3SumENSB_8EqualityEiEE10hipError_tPvRmT2_T3_T4_T5_mT6_T7_P12ihipStream_tbENKUlT_T0_E_clISt17integral_constantIbLb1EESX_EEDaSS_ST_EUlSS_E_NS1_11comp_targetILNS1_3genE10ELNS1_11target_archE1201ELNS1_3gpuE5ELNS1_3repE0EEENS1_30default_config_static_selectorELNS0_4arch9wavefront6targetE1EEEvT1_.numbered_sgpr, 0
	.set _ZN7rocprim17ROCPRIM_400000_NS6detail17trampoline_kernelINS0_14default_configENS1_27scan_by_key_config_selectorIiiEEZZNS1_16scan_by_key_implILNS1_25lookback_scan_determinismE0ELb0ES3_PKiN6hipcub16HIPCUB_304000_NS21ConstantInputIteratorIilEEPiiNSB_3SumENSB_8EqualityEiEE10hipError_tPvRmT2_T3_T4_T5_mT6_T7_P12ihipStream_tbENKUlT_T0_E_clISt17integral_constantIbLb1EESX_EEDaSS_ST_EUlSS_E_NS1_11comp_targetILNS1_3genE10ELNS1_11target_archE1201ELNS1_3gpuE5ELNS1_3repE0EEENS1_30default_config_static_selectorELNS0_4arch9wavefront6targetE1EEEvT1_.num_named_barrier, 0
	.set _ZN7rocprim17ROCPRIM_400000_NS6detail17trampoline_kernelINS0_14default_configENS1_27scan_by_key_config_selectorIiiEEZZNS1_16scan_by_key_implILNS1_25lookback_scan_determinismE0ELb0ES3_PKiN6hipcub16HIPCUB_304000_NS21ConstantInputIteratorIilEEPiiNSB_3SumENSB_8EqualityEiEE10hipError_tPvRmT2_T3_T4_T5_mT6_T7_P12ihipStream_tbENKUlT_T0_E_clISt17integral_constantIbLb1EESX_EEDaSS_ST_EUlSS_E_NS1_11comp_targetILNS1_3genE10ELNS1_11target_archE1201ELNS1_3gpuE5ELNS1_3repE0EEENS1_30default_config_static_selectorELNS0_4arch9wavefront6targetE1EEEvT1_.private_seg_size, 0
	.set _ZN7rocprim17ROCPRIM_400000_NS6detail17trampoline_kernelINS0_14default_configENS1_27scan_by_key_config_selectorIiiEEZZNS1_16scan_by_key_implILNS1_25lookback_scan_determinismE0ELb0ES3_PKiN6hipcub16HIPCUB_304000_NS21ConstantInputIteratorIilEEPiiNSB_3SumENSB_8EqualityEiEE10hipError_tPvRmT2_T3_T4_T5_mT6_T7_P12ihipStream_tbENKUlT_T0_E_clISt17integral_constantIbLb1EESX_EEDaSS_ST_EUlSS_E_NS1_11comp_targetILNS1_3genE10ELNS1_11target_archE1201ELNS1_3gpuE5ELNS1_3repE0EEENS1_30default_config_static_selectorELNS0_4arch9wavefront6targetE1EEEvT1_.uses_vcc, 0
	.set _ZN7rocprim17ROCPRIM_400000_NS6detail17trampoline_kernelINS0_14default_configENS1_27scan_by_key_config_selectorIiiEEZZNS1_16scan_by_key_implILNS1_25lookback_scan_determinismE0ELb0ES3_PKiN6hipcub16HIPCUB_304000_NS21ConstantInputIteratorIilEEPiiNSB_3SumENSB_8EqualityEiEE10hipError_tPvRmT2_T3_T4_T5_mT6_T7_P12ihipStream_tbENKUlT_T0_E_clISt17integral_constantIbLb1EESX_EEDaSS_ST_EUlSS_E_NS1_11comp_targetILNS1_3genE10ELNS1_11target_archE1201ELNS1_3gpuE5ELNS1_3repE0EEENS1_30default_config_static_selectorELNS0_4arch9wavefront6targetE1EEEvT1_.uses_flat_scratch, 0
	.set _ZN7rocprim17ROCPRIM_400000_NS6detail17trampoline_kernelINS0_14default_configENS1_27scan_by_key_config_selectorIiiEEZZNS1_16scan_by_key_implILNS1_25lookback_scan_determinismE0ELb0ES3_PKiN6hipcub16HIPCUB_304000_NS21ConstantInputIteratorIilEEPiiNSB_3SumENSB_8EqualityEiEE10hipError_tPvRmT2_T3_T4_T5_mT6_T7_P12ihipStream_tbENKUlT_T0_E_clISt17integral_constantIbLb1EESX_EEDaSS_ST_EUlSS_E_NS1_11comp_targetILNS1_3genE10ELNS1_11target_archE1201ELNS1_3gpuE5ELNS1_3repE0EEENS1_30default_config_static_selectorELNS0_4arch9wavefront6targetE1EEEvT1_.has_dyn_sized_stack, 0
	.set _ZN7rocprim17ROCPRIM_400000_NS6detail17trampoline_kernelINS0_14default_configENS1_27scan_by_key_config_selectorIiiEEZZNS1_16scan_by_key_implILNS1_25lookback_scan_determinismE0ELb0ES3_PKiN6hipcub16HIPCUB_304000_NS21ConstantInputIteratorIilEEPiiNSB_3SumENSB_8EqualityEiEE10hipError_tPvRmT2_T3_T4_T5_mT6_T7_P12ihipStream_tbENKUlT_T0_E_clISt17integral_constantIbLb1EESX_EEDaSS_ST_EUlSS_E_NS1_11comp_targetILNS1_3genE10ELNS1_11target_archE1201ELNS1_3gpuE5ELNS1_3repE0EEENS1_30default_config_static_selectorELNS0_4arch9wavefront6targetE1EEEvT1_.has_recursion, 0
	.set _ZN7rocprim17ROCPRIM_400000_NS6detail17trampoline_kernelINS0_14default_configENS1_27scan_by_key_config_selectorIiiEEZZNS1_16scan_by_key_implILNS1_25lookback_scan_determinismE0ELb0ES3_PKiN6hipcub16HIPCUB_304000_NS21ConstantInputIteratorIilEEPiiNSB_3SumENSB_8EqualityEiEE10hipError_tPvRmT2_T3_T4_T5_mT6_T7_P12ihipStream_tbENKUlT_T0_E_clISt17integral_constantIbLb1EESX_EEDaSS_ST_EUlSS_E_NS1_11comp_targetILNS1_3genE10ELNS1_11target_archE1201ELNS1_3gpuE5ELNS1_3repE0EEENS1_30default_config_static_selectorELNS0_4arch9wavefront6targetE1EEEvT1_.has_indirect_call, 0
	.section	.AMDGPU.csdata,"",@progbits
; Kernel info:
; codeLenInByte = 0
; TotalNumSgprs: 6
; NumVgprs: 0
; NumAgprs: 0
; TotalNumVgprs: 0
; ScratchSize: 0
; MemoryBound: 0
; FloatMode: 240
; IeeeMode: 1
; LDSByteSize: 0 bytes/workgroup (compile time only)
; SGPRBlocks: 0
; VGPRBlocks: 0
; NumSGPRsForWavesPerEU: 6
; NumVGPRsForWavesPerEU: 1
; AccumOffset: 4
; Occupancy: 8
; WaveLimiterHint : 0
; COMPUTE_PGM_RSRC2:SCRATCH_EN: 0
; COMPUTE_PGM_RSRC2:USER_SGPR: 2
; COMPUTE_PGM_RSRC2:TRAP_HANDLER: 0
; COMPUTE_PGM_RSRC2:TGID_X_EN: 1
; COMPUTE_PGM_RSRC2:TGID_Y_EN: 0
; COMPUTE_PGM_RSRC2:TGID_Z_EN: 0
; COMPUTE_PGM_RSRC2:TIDIG_COMP_CNT: 0
; COMPUTE_PGM_RSRC3_GFX90A:ACCUM_OFFSET: 0
; COMPUTE_PGM_RSRC3_GFX90A:TG_SPLIT: 0
	.section	.text._ZN7rocprim17ROCPRIM_400000_NS6detail17trampoline_kernelINS0_14default_configENS1_27scan_by_key_config_selectorIiiEEZZNS1_16scan_by_key_implILNS1_25lookback_scan_determinismE0ELb0ES3_PKiN6hipcub16HIPCUB_304000_NS21ConstantInputIteratorIilEEPiiNSB_3SumENSB_8EqualityEiEE10hipError_tPvRmT2_T3_T4_T5_mT6_T7_P12ihipStream_tbENKUlT_T0_E_clISt17integral_constantIbLb1EESX_EEDaSS_ST_EUlSS_E_NS1_11comp_targetILNS1_3genE5ELNS1_11target_archE942ELNS1_3gpuE9ELNS1_3repE0EEENS1_30default_config_static_selectorELNS0_4arch9wavefront6targetE1EEEvT1_,"axG",@progbits,_ZN7rocprim17ROCPRIM_400000_NS6detail17trampoline_kernelINS0_14default_configENS1_27scan_by_key_config_selectorIiiEEZZNS1_16scan_by_key_implILNS1_25lookback_scan_determinismE0ELb0ES3_PKiN6hipcub16HIPCUB_304000_NS21ConstantInputIteratorIilEEPiiNSB_3SumENSB_8EqualityEiEE10hipError_tPvRmT2_T3_T4_T5_mT6_T7_P12ihipStream_tbENKUlT_T0_E_clISt17integral_constantIbLb1EESX_EEDaSS_ST_EUlSS_E_NS1_11comp_targetILNS1_3genE5ELNS1_11target_archE942ELNS1_3gpuE9ELNS1_3repE0EEENS1_30default_config_static_selectorELNS0_4arch9wavefront6targetE1EEEvT1_,comdat
	.protected	_ZN7rocprim17ROCPRIM_400000_NS6detail17trampoline_kernelINS0_14default_configENS1_27scan_by_key_config_selectorIiiEEZZNS1_16scan_by_key_implILNS1_25lookback_scan_determinismE0ELb0ES3_PKiN6hipcub16HIPCUB_304000_NS21ConstantInputIteratorIilEEPiiNSB_3SumENSB_8EqualityEiEE10hipError_tPvRmT2_T3_T4_T5_mT6_T7_P12ihipStream_tbENKUlT_T0_E_clISt17integral_constantIbLb1EESX_EEDaSS_ST_EUlSS_E_NS1_11comp_targetILNS1_3genE5ELNS1_11target_archE942ELNS1_3gpuE9ELNS1_3repE0EEENS1_30default_config_static_selectorELNS0_4arch9wavefront6targetE1EEEvT1_ ; -- Begin function _ZN7rocprim17ROCPRIM_400000_NS6detail17trampoline_kernelINS0_14default_configENS1_27scan_by_key_config_selectorIiiEEZZNS1_16scan_by_key_implILNS1_25lookback_scan_determinismE0ELb0ES3_PKiN6hipcub16HIPCUB_304000_NS21ConstantInputIteratorIilEEPiiNSB_3SumENSB_8EqualityEiEE10hipError_tPvRmT2_T3_T4_T5_mT6_T7_P12ihipStream_tbENKUlT_T0_E_clISt17integral_constantIbLb1EESX_EEDaSS_ST_EUlSS_E_NS1_11comp_targetILNS1_3genE5ELNS1_11target_archE942ELNS1_3gpuE9ELNS1_3repE0EEENS1_30default_config_static_selectorELNS0_4arch9wavefront6targetE1EEEvT1_
	.globl	_ZN7rocprim17ROCPRIM_400000_NS6detail17trampoline_kernelINS0_14default_configENS1_27scan_by_key_config_selectorIiiEEZZNS1_16scan_by_key_implILNS1_25lookback_scan_determinismE0ELb0ES3_PKiN6hipcub16HIPCUB_304000_NS21ConstantInputIteratorIilEEPiiNSB_3SumENSB_8EqualityEiEE10hipError_tPvRmT2_T3_T4_T5_mT6_T7_P12ihipStream_tbENKUlT_T0_E_clISt17integral_constantIbLb1EESX_EEDaSS_ST_EUlSS_E_NS1_11comp_targetILNS1_3genE5ELNS1_11target_archE942ELNS1_3gpuE9ELNS1_3repE0EEENS1_30default_config_static_selectorELNS0_4arch9wavefront6targetE1EEEvT1_
	.p2align	8
	.type	_ZN7rocprim17ROCPRIM_400000_NS6detail17trampoline_kernelINS0_14default_configENS1_27scan_by_key_config_selectorIiiEEZZNS1_16scan_by_key_implILNS1_25lookback_scan_determinismE0ELb0ES3_PKiN6hipcub16HIPCUB_304000_NS21ConstantInputIteratorIilEEPiiNSB_3SumENSB_8EqualityEiEE10hipError_tPvRmT2_T3_T4_T5_mT6_T7_P12ihipStream_tbENKUlT_T0_E_clISt17integral_constantIbLb1EESX_EEDaSS_ST_EUlSS_E_NS1_11comp_targetILNS1_3genE5ELNS1_11target_archE942ELNS1_3gpuE9ELNS1_3repE0EEENS1_30default_config_static_selectorELNS0_4arch9wavefront6targetE1EEEvT1_,@function
_ZN7rocprim17ROCPRIM_400000_NS6detail17trampoline_kernelINS0_14default_configENS1_27scan_by_key_config_selectorIiiEEZZNS1_16scan_by_key_implILNS1_25lookback_scan_determinismE0ELb0ES3_PKiN6hipcub16HIPCUB_304000_NS21ConstantInputIteratorIilEEPiiNSB_3SumENSB_8EqualityEiEE10hipError_tPvRmT2_T3_T4_T5_mT6_T7_P12ihipStream_tbENKUlT_T0_E_clISt17integral_constantIbLb1EESX_EEDaSS_ST_EUlSS_E_NS1_11comp_targetILNS1_3genE5ELNS1_11target_archE942ELNS1_3gpuE9ELNS1_3repE0EEENS1_30default_config_static_selectorELNS0_4arch9wavefront6targetE1EEEvT1_: ; @_ZN7rocprim17ROCPRIM_400000_NS6detail17trampoline_kernelINS0_14default_configENS1_27scan_by_key_config_selectorIiiEEZZNS1_16scan_by_key_implILNS1_25lookback_scan_determinismE0ELb0ES3_PKiN6hipcub16HIPCUB_304000_NS21ConstantInputIteratorIilEEPiiNSB_3SumENSB_8EqualityEiEE10hipError_tPvRmT2_T3_T4_T5_mT6_T7_P12ihipStream_tbENKUlT_T0_E_clISt17integral_constantIbLb1EESX_EEDaSS_ST_EUlSS_E_NS1_11comp_targetILNS1_3genE5ELNS1_11target_archE942ELNS1_3gpuE9ELNS1_3repE0EEENS1_30default_config_static_selectorELNS0_4arch9wavefront6targetE1EEEvT1_
; %bb.0:
	.section	.rodata,"a",@progbits
	.p2align	6, 0x0
	.amdhsa_kernel _ZN7rocprim17ROCPRIM_400000_NS6detail17trampoline_kernelINS0_14default_configENS1_27scan_by_key_config_selectorIiiEEZZNS1_16scan_by_key_implILNS1_25lookback_scan_determinismE0ELb0ES3_PKiN6hipcub16HIPCUB_304000_NS21ConstantInputIteratorIilEEPiiNSB_3SumENSB_8EqualityEiEE10hipError_tPvRmT2_T3_T4_T5_mT6_T7_P12ihipStream_tbENKUlT_T0_E_clISt17integral_constantIbLb1EESX_EEDaSS_ST_EUlSS_E_NS1_11comp_targetILNS1_3genE5ELNS1_11target_archE942ELNS1_3gpuE9ELNS1_3repE0EEENS1_30default_config_static_selectorELNS0_4arch9wavefront6targetE1EEEvT1_
		.amdhsa_group_segment_fixed_size 0
		.amdhsa_private_segment_fixed_size 0
		.amdhsa_kernarg_size 120
		.amdhsa_user_sgpr_count 2
		.amdhsa_user_sgpr_dispatch_ptr 0
		.amdhsa_user_sgpr_queue_ptr 0
		.amdhsa_user_sgpr_kernarg_segment_ptr 1
		.amdhsa_user_sgpr_dispatch_id 0
		.amdhsa_user_sgpr_kernarg_preload_length 0
		.amdhsa_user_sgpr_kernarg_preload_offset 0
		.amdhsa_user_sgpr_private_segment_size 0
		.amdhsa_uses_dynamic_stack 0
		.amdhsa_enable_private_segment 0
		.amdhsa_system_sgpr_workgroup_id_x 1
		.amdhsa_system_sgpr_workgroup_id_y 0
		.amdhsa_system_sgpr_workgroup_id_z 0
		.amdhsa_system_sgpr_workgroup_info 0
		.amdhsa_system_vgpr_workitem_id 0
		.amdhsa_next_free_vgpr 1
		.amdhsa_next_free_sgpr 0
		.amdhsa_accum_offset 4
		.amdhsa_reserve_vcc 0
		.amdhsa_float_round_mode_32 0
		.amdhsa_float_round_mode_16_64 0
		.amdhsa_float_denorm_mode_32 3
		.amdhsa_float_denorm_mode_16_64 3
		.amdhsa_dx10_clamp 1
		.amdhsa_ieee_mode 1
		.amdhsa_fp16_overflow 0
		.amdhsa_tg_split 0
		.amdhsa_exception_fp_ieee_invalid_op 0
		.amdhsa_exception_fp_denorm_src 0
		.amdhsa_exception_fp_ieee_div_zero 0
		.amdhsa_exception_fp_ieee_overflow 0
		.amdhsa_exception_fp_ieee_underflow 0
		.amdhsa_exception_fp_ieee_inexact 0
		.amdhsa_exception_int_div_zero 0
	.end_amdhsa_kernel
	.section	.text._ZN7rocprim17ROCPRIM_400000_NS6detail17trampoline_kernelINS0_14default_configENS1_27scan_by_key_config_selectorIiiEEZZNS1_16scan_by_key_implILNS1_25lookback_scan_determinismE0ELb0ES3_PKiN6hipcub16HIPCUB_304000_NS21ConstantInputIteratorIilEEPiiNSB_3SumENSB_8EqualityEiEE10hipError_tPvRmT2_T3_T4_T5_mT6_T7_P12ihipStream_tbENKUlT_T0_E_clISt17integral_constantIbLb1EESX_EEDaSS_ST_EUlSS_E_NS1_11comp_targetILNS1_3genE5ELNS1_11target_archE942ELNS1_3gpuE9ELNS1_3repE0EEENS1_30default_config_static_selectorELNS0_4arch9wavefront6targetE1EEEvT1_,"axG",@progbits,_ZN7rocprim17ROCPRIM_400000_NS6detail17trampoline_kernelINS0_14default_configENS1_27scan_by_key_config_selectorIiiEEZZNS1_16scan_by_key_implILNS1_25lookback_scan_determinismE0ELb0ES3_PKiN6hipcub16HIPCUB_304000_NS21ConstantInputIteratorIilEEPiiNSB_3SumENSB_8EqualityEiEE10hipError_tPvRmT2_T3_T4_T5_mT6_T7_P12ihipStream_tbENKUlT_T0_E_clISt17integral_constantIbLb1EESX_EEDaSS_ST_EUlSS_E_NS1_11comp_targetILNS1_3genE5ELNS1_11target_archE942ELNS1_3gpuE9ELNS1_3repE0EEENS1_30default_config_static_selectorELNS0_4arch9wavefront6targetE1EEEvT1_,comdat
.Lfunc_end23:
	.size	_ZN7rocprim17ROCPRIM_400000_NS6detail17trampoline_kernelINS0_14default_configENS1_27scan_by_key_config_selectorIiiEEZZNS1_16scan_by_key_implILNS1_25lookback_scan_determinismE0ELb0ES3_PKiN6hipcub16HIPCUB_304000_NS21ConstantInputIteratorIilEEPiiNSB_3SumENSB_8EqualityEiEE10hipError_tPvRmT2_T3_T4_T5_mT6_T7_P12ihipStream_tbENKUlT_T0_E_clISt17integral_constantIbLb1EESX_EEDaSS_ST_EUlSS_E_NS1_11comp_targetILNS1_3genE5ELNS1_11target_archE942ELNS1_3gpuE9ELNS1_3repE0EEENS1_30default_config_static_selectorELNS0_4arch9wavefront6targetE1EEEvT1_, .Lfunc_end23-_ZN7rocprim17ROCPRIM_400000_NS6detail17trampoline_kernelINS0_14default_configENS1_27scan_by_key_config_selectorIiiEEZZNS1_16scan_by_key_implILNS1_25lookback_scan_determinismE0ELb0ES3_PKiN6hipcub16HIPCUB_304000_NS21ConstantInputIteratorIilEEPiiNSB_3SumENSB_8EqualityEiEE10hipError_tPvRmT2_T3_T4_T5_mT6_T7_P12ihipStream_tbENKUlT_T0_E_clISt17integral_constantIbLb1EESX_EEDaSS_ST_EUlSS_E_NS1_11comp_targetILNS1_3genE5ELNS1_11target_archE942ELNS1_3gpuE9ELNS1_3repE0EEENS1_30default_config_static_selectorELNS0_4arch9wavefront6targetE1EEEvT1_
                                        ; -- End function
	.set _ZN7rocprim17ROCPRIM_400000_NS6detail17trampoline_kernelINS0_14default_configENS1_27scan_by_key_config_selectorIiiEEZZNS1_16scan_by_key_implILNS1_25lookback_scan_determinismE0ELb0ES3_PKiN6hipcub16HIPCUB_304000_NS21ConstantInputIteratorIilEEPiiNSB_3SumENSB_8EqualityEiEE10hipError_tPvRmT2_T3_T4_T5_mT6_T7_P12ihipStream_tbENKUlT_T0_E_clISt17integral_constantIbLb1EESX_EEDaSS_ST_EUlSS_E_NS1_11comp_targetILNS1_3genE5ELNS1_11target_archE942ELNS1_3gpuE9ELNS1_3repE0EEENS1_30default_config_static_selectorELNS0_4arch9wavefront6targetE1EEEvT1_.num_vgpr, 0
	.set _ZN7rocprim17ROCPRIM_400000_NS6detail17trampoline_kernelINS0_14default_configENS1_27scan_by_key_config_selectorIiiEEZZNS1_16scan_by_key_implILNS1_25lookback_scan_determinismE0ELb0ES3_PKiN6hipcub16HIPCUB_304000_NS21ConstantInputIteratorIilEEPiiNSB_3SumENSB_8EqualityEiEE10hipError_tPvRmT2_T3_T4_T5_mT6_T7_P12ihipStream_tbENKUlT_T0_E_clISt17integral_constantIbLb1EESX_EEDaSS_ST_EUlSS_E_NS1_11comp_targetILNS1_3genE5ELNS1_11target_archE942ELNS1_3gpuE9ELNS1_3repE0EEENS1_30default_config_static_selectorELNS0_4arch9wavefront6targetE1EEEvT1_.num_agpr, 0
	.set _ZN7rocprim17ROCPRIM_400000_NS6detail17trampoline_kernelINS0_14default_configENS1_27scan_by_key_config_selectorIiiEEZZNS1_16scan_by_key_implILNS1_25lookback_scan_determinismE0ELb0ES3_PKiN6hipcub16HIPCUB_304000_NS21ConstantInputIteratorIilEEPiiNSB_3SumENSB_8EqualityEiEE10hipError_tPvRmT2_T3_T4_T5_mT6_T7_P12ihipStream_tbENKUlT_T0_E_clISt17integral_constantIbLb1EESX_EEDaSS_ST_EUlSS_E_NS1_11comp_targetILNS1_3genE5ELNS1_11target_archE942ELNS1_3gpuE9ELNS1_3repE0EEENS1_30default_config_static_selectorELNS0_4arch9wavefront6targetE1EEEvT1_.numbered_sgpr, 0
	.set _ZN7rocprim17ROCPRIM_400000_NS6detail17trampoline_kernelINS0_14default_configENS1_27scan_by_key_config_selectorIiiEEZZNS1_16scan_by_key_implILNS1_25lookback_scan_determinismE0ELb0ES3_PKiN6hipcub16HIPCUB_304000_NS21ConstantInputIteratorIilEEPiiNSB_3SumENSB_8EqualityEiEE10hipError_tPvRmT2_T3_T4_T5_mT6_T7_P12ihipStream_tbENKUlT_T0_E_clISt17integral_constantIbLb1EESX_EEDaSS_ST_EUlSS_E_NS1_11comp_targetILNS1_3genE5ELNS1_11target_archE942ELNS1_3gpuE9ELNS1_3repE0EEENS1_30default_config_static_selectorELNS0_4arch9wavefront6targetE1EEEvT1_.num_named_barrier, 0
	.set _ZN7rocprim17ROCPRIM_400000_NS6detail17trampoline_kernelINS0_14default_configENS1_27scan_by_key_config_selectorIiiEEZZNS1_16scan_by_key_implILNS1_25lookback_scan_determinismE0ELb0ES3_PKiN6hipcub16HIPCUB_304000_NS21ConstantInputIteratorIilEEPiiNSB_3SumENSB_8EqualityEiEE10hipError_tPvRmT2_T3_T4_T5_mT6_T7_P12ihipStream_tbENKUlT_T0_E_clISt17integral_constantIbLb1EESX_EEDaSS_ST_EUlSS_E_NS1_11comp_targetILNS1_3genE5ELNS1_11target_archE942ELNS1_3gpuE9ELNS1_3repE0EEENS1_30default_config_static_selectorELNS0_4arch9wavefront6targetE1EEEvT1_.private_seg_size, 0
	.set _ZN7rocprim17ROCPRIM_400000_NS6detail17trampoline_kernelINS0_14default_configENS1_27scan_by_key_config_selectorIiiEEZZNS1_16scan_by_key_implILNS1_25lookback_scan_determinismE0ELb0ES3_PKiN6hipcub16HIPCUB_304000_NS21ConstantInputIteratorIilEEPiiNSB_3SumENSB_8EqualityEiEE10hipError_tPvRmT2_T3_T4_T5_mT6_T7_P12ihipStream_tbENKUlT_T0_E_clISt17integral_constantIbLb1EESX_EEDaSS_ST_EUlSS_E_NS1_11comp_targetILNS1_3genE5ELNS1_11target_archE942ELNS1_3gpuE9ELNS1_3repE0EEENS1_30default_config_static_selectorELNS0_4arch9wavefront6targetE1EEEvT1_.uses_vcc, 0
	.set _ZN7rocprim17ROCPRIM_400000_NS6detail17trampoline_kernelINS0_14default_configENS1_27scan_by_key_config_selectorIiiEEZZNS1_16scan_by_key_implILNS1_25lookback_scan_determinismE0ELb0ES3_PKiN6hipcub16HIPCUB_304000_NS21ConstantInputIteratorIilEEPiiNSB_3SumENSB_8EqualityEiEE10hipError_tPvRmT2_T3_T4_T5_mT6_T7_P12ihipStream_tbENKUlT_T0_E_clISt17integral_constantIbLb1EESX_EEDaSS_ST_EUlSS_E_NS1_11comp_targetILNS1_3genE5ELNS1_11target_archE942ELNS1_3gpuE9ELNS1_3repE0EEENS1_30default_config_static_selectorELNS0_4arch9wavefront6targetE1EEEvT1_.uses_flat_scratch, 0
	.set _ZN7rocprim17ROCPRIM_400000_NS6detail17trampoline_kernelINS0_14default_configENS1_27scan_by_key_config_selectorIiiEEZZNS1_16scan_by_key_implILNS1_25lookback_scan_determinismE0ELb0ES3_PKiN6hipcub16HIPCUB_304000_NS21ConstantInputIteratorIilEEPiiNSB_3SumENSB_8EqualityEiEE10hipError_tPvRmT2_T3_T4_T5_mT6_T7_P12ihipStream_tbENKUlT_T0_E_clISt17integral_constantIbLb1EESX_EEDaSS_ST_EUlSS_E_NS1_11comp_targetILNS1_3genE5ELNS1_11target_archE942ELNS1_3gpuE9ELNS1_3repE0EEENS1_30default_config_static_selectorELNS0_4arch9wavefront6targetE1EEEvT1_.has_dyn_sized_stack, 0
	.set _ZN7rocprim17ROCPRIM_400000_NS6detail17trampoline_kernelINS0_14default_configENS1_27scan_by_key_config_selectorIiiEEZZNS1_16scan_by_key_implILNS1_25lookback_scan_determinismE0ELb0ES3_PKiN6hipcub16HIPCUB_304000_NS21ConstantInputIteratorIilEEPiiNSB_3SumENSB_8EqualityEiEE10hipError_tPvRmT2_T3_T4_T5_mT6_T7_P12ihipStream_tbENKUlT_T0_E_clISt17integral_constantIbLb1EESX_EEDaSS_ST_EUlSS_E_NS1_11comp_targetILNS1_3genE5ELNS1_11target_archE942ELNS1_3gpuE9ELNS1_3repE0EEENS1_30default_config_static_selectorELNS0_4arch9wavefront6targetE1EEEvT1_.has_recursion, 0
	.set _ZN7rocprim17ROCPRIM_400000_NS6detail17trampoline_kernelINS0_14default_configENS1_27scan_by_key_config_selectorIiiEEZZNS1_16scan_by_key_implILNS1_25lookback_scan_determinismE0ELb0ES3_PKiN6hipcub16HIPCUB_304000_NS21ConstantInputIteratorIilEEPiiNSB_3SumENSB_8EqualityEiEE10hipError_tPvRmT2_T3_T4_T5_mT6_T7_P12ihipStream_tbENKUlT_T0_E_clISt17integral_constantIbLb1EESX_EEDaSS_ST_EUlSS_E_NS1_11comp_targetILNS1_3genE5ELNS1_11target_archE942ELNS1_3gpuE9ELNS1_3repE0EEENS1_30default_config_static_selectorELNS0_4arch9wavefront6targetE1EEEvT1_.has_indirect_call, 0
	.section	.AMDGPU.csdata,"",@progbits
; Kernel info:
; codeLenInByte = 0
; TotalNumSgprs: 6
; NumVgprs: 0
; NumAgprs: 0
; TotalNumVgprs: 0
; ScratchSize: 0
; MemoryBound: 0
; FloatMode: 240
; IeeeMode: 1
; LDSByteSize: 0 bytes/workgroup (compile time only)
; SGPRBlocks: 0
; VGPRBlocks: 0
; NumSGPRsForWavesPerEU: 6
; NumVGPRsForWavesPerEU: 1
; AccumOffset: 4
; Occupancy: 8
; WaveLimiterHint : 0
; COMPUTE_PGM_RSRC2:SCRATCH_EN: 0
; COMPUTE_PGM_RSRC2:USER_SGPR: 2
; COMPUTE_PGM_RSRC2:TRAP_HANDLER: 0
; COMPUTE_PGM_RSRC2:TGID_X_EN: 1
; COMPUTE_PGM_RSRC2:TGID_Y_EN: 0
; COMPUTE_PGM_RSRC2:TGID_Z_EN: 0
; COMPUTE_PGM_RSRC2:TIDIG_COMP_CNT: 0
; COMPUTE_PGM_RSRC3_GFX90A:ACCUM_OFFSET: 0
; COMPUTE_PGM_RSRC3_GFX90A:TG_SPLIT: 0
	.section	.text._ZN7rocprim17ROCPRIM_400000_NS6detail17trampoline_kernelINS0_14default_configENS1_27scan_by_key_config_selectorIiiEEZZNS1_16scan_by_key_implILNS1_25lookback_scan_determinismE0ELb0ES3_PKiN6hipcub16HIPCUB_304000_NS21ConstantInputIteratorIilEEPiiNSB_3SumENSB_8EqualityEiEE10hipError_tPvRmT2_T3_T4_T5_mT6_T7_P12ihipStream_tbENKUlT_T0_E_clISt17integral_constantIbLb1EESX_EEDaSS_ST_EUlSS_E_NS1_11comp_targetILNS1_3genE4ELNS1_11target_archE910ELNS1_3gpuE8ELNS1_3repE0EEENS1_30default_config_static_selectorELNS0_4arch9wavefront6targetE1EEEvT1_,"axG",@progbits,_ZN7rocprim17ROCPRIM_400000_NS6detail17trampoline_kernelINS0_14default_configENS1_27scan_by_key_config_selectorIiiEEZZNS1_16scan_by_key_implILNS1_25lookback_scan_determinismE0ELb0ES3_PKiN6hipcub16HIPCUB_304000_NS21ConstantInputIteratorIilEEPiiNSB_3SumENSB_8EqualityEiEE10hipError_tPvRmT2_T3_T4_T5_mT6_T7_P12ihipStream_tbENKUlT_T0_E_clISt17integral_constantIbLb1EESX_EEDaSS_ST_EUlSS_E_NS1_11comp_targetILNS1_3genE4ELNS1_11target_archE910ELNS1_3gpuE8ELNS1_3repE0EEENS1_30default_config_static_selectorELNS0_4arch9wavefront6targetE1EEEvT1_,comdat
	.protected	_ZN7rocprim17ROCPRIM_400000_NS6detail17trampoline_kernelINS0_14default_configENS1_27scan_by_key_config_selectorIiiEEZZNS1_16scan_by_key_implILNS1_25lookback_scan_determinismE0ELb0ES3_PKiN6hipcub16HIPCUB_304000_NS21ConstantInputIteratorIilEEPiiNSB_3SumENSB_8EqualityEiEE10hipError_tPvRmT2_T3_T4_T5_mT6_T7_P12ihipStream_tbENKUlT_T0_E_clISt17integral_constantIbLb1EESX_EEDaSS_ST_EUlSS_E_NS1_11comp_targetILNS1_3genE4ELNS1_11target_archE910ELNS1_3gpuE8ELNS1_3repE0EEENS1_30default_config_static_selectorELNS0_4arch9wavefront6targetE1EEEvT1_ ; -- Begin function _ZN7rocprim17ROCPRIM_400000_NS6detail17trampoline_kernelINS0_14default_configENS1_27scan_by_key_config_selectorIiiEEZZNS1_16scan_by_key_implILNS1_25lookback_scan_determinismE0ELb0ES3_PKiN6hipcub16HIPCUB_304000_NS21ConstantInputIteratorIilEEPiiNSB_3SumENSB_8EqualityEiEE10hipError_tPvRmT2_T3_T4_T5_mT6_T7_P12ihipStream_tbENKUlT_T0_E_clISt17integral_constantIbLb1EESX_EEDaSS_ST_EUlSS_E_NS1_11comp_targetILNS1_3genE4ELNS1_11target_archE910ELNS1_3gpuE8ELNS1_3repE0EEENS1_30default_config_static_selectorELNS0_4arch9wavefront6targetE1EEEvT1_
	.globl	_ZN7rocprim17ROCPRIM_400000_NS6detail17trampoline_kernelINS0_14default_configENS1_27scan_by_key_config_selectorIiiEEZZNS1_16scan_by_key_implILNS1_25lookback_scan_determinismE0ELb0ES3_PKiN6hipcub16HIPCUB_304000_NS21ConstantInputIteratorIilEEPiiNSB_3SumENSB_8EqualityEiEE10hipError_tPvRmT2_T3_T4_T5_mT6_T7_P12ihipStream_tbENKUlT_T0_E_clISt17integral_constantIbLb1EESX_EEDaSS_ST_EUlSS_E_NS1_11comp_targetILNS1_3genE4ELNS1_11target_archE910ELNS1_3gpuE8ELNS1_3repE0EEENS1_30default_config_static_selectorELNS0_4arch9wavefront6targetE1EEEvT1_
	.p2align	8
	.type	_ZN7rocprim17ROCPRIM_400000_NS6detail17trampoline_kernelINS0_14default_configENS1_27scan_by_key_config_selectorIiiEEZZNS1_16scan_by_key_implILNS1_25lookback_scan_determinismE0ELb0ES3_PKiN6hipcub16HIPCUB_304000_NS21ConstantInputIteratorIilEEPiiNSB_3SumENSB_8EqualityEiEE10hipError_tPvRmT2_T3_T4_T5_mT6_T7_P12ihipStream_tbENKUlT_T0_E_clISt17integral_constantIbLb1EESX_EEDaSS_ST_EUlSS_E_NS1_11comp_targetILNS1_3genE4ELNS1_11target_archE910ELNS1_3gpuE8ELNS1_3repE0EEENS1_30default_config_static_selectorELNS0_4arch9wavefront6targetE1EEEvT1_,@function
_ZN7rocprim17ROCPRIM_400000_NS6detail17trampoline_kernelINS0_14default_configENS1_27scan_by_key_config_selectorIiiEEZZNS1_16scan_by_key_implILNS1_25lookback_scan_determinismE0ELb0ES3_PKiN6hipcub16HIPCUB_304000_NS21ConstantInputIteratorIilEEPiiNSB_3SumENSB_8EqualityEiEE10hipError_tPvRmT2_T3_T4_T5_mT6_T7_P12ihipStream_tbENKUlT_T0_E_clISt17integral_constantIbLb1EESX_EEDaSS_ST_EUlSS_E_NS1_11comp_targetILNS1_3genE4ELNS1_11target_archE910ELNS1_3gpuE8ELNS1_3repE0EEENS1_30default_config_static_selectorELNS0_4arch9wavefront6targetE1EEEvT1_: ; @_ZN7rocprim17ROCPRIM_400000_NS6detail17trampoline_kernelINS0_14default_configENS1_27scan_by_key_config_selectorIiiEEZZNS1_16scan_by_key_implILNS1_25lookback_scan_determinismE0ELb0ES3_PKiN6hipcub16HIPCUB_304000_NS21ConstantInputIteratorIilEEPiiNSB_3SumENSB_8EqualityEiEE10hipError_tPvRmT2_T3_T4_T5_mT6_T7_P12ihipStream_tbENKUlT_T0_E_clISt17integral_constantIbLb1EESX_EEDaSS_ST_EUlSS_E_NS1_11comp_targetILNS1_3genE4ELNS1_11target_archE910ELNS1_3gpuE8ELNS1_3repE0EEENS1_30default_config_static_selectorELNS0_4arch9wavefront6targetE1EEEvT1_
; %bb.0:
	.section	.rodata,"a",@progbits
	.p2align	6, 0x0
	.amdhsa_kernel _ZN7rocprim17ROCPRIM_400000_NS6detail17trampoline_kernelINS0_14default_configENS1_27scan_by_key_config_selectorIiiEEZZNS1_16scan_by_key_implILNS1_25lookback_scan_determinismE0ELb0ES3_PKiN6hipcub16HIPCUB_304000_NS21ConstantInputIteratorIilEEPiiNSB_3SumENSB_8EqualityEiEE10hipError_tPvRmT2_T3_T4_T5_mT6_T7_P12ihipStream_tbENKUlT_T0_E_clISt17integral_constantIbLb1EESX_EEDaSS_ST_EUlSS_E_NS1_11comp_targetILNS1_3genE4ELNS1_11target_archE910ELNS1_3gpuE8ELNS1_3repE0EEENS1_30default_config_static_selectorELNS0_4arch9wavefront6targetE1EEEvT1_
		.amdhsa_group_segment_fixed_size 0
		.amdhsa_private_segment_fixed_size 0
		.amdhsa_kernarg_size 120
		.amdhsa_user_sgpr_count 2
		.amdhsa_user_sgpr_dispatch_ptr 0
		.amdhsa_user_sgpr_queue_ptr 0
		.amdhsa_user_sgpr_kernarg_segment_ptr 1
		.amdhsa_user_sgpr_dispatch_id 0
		.amdhsa_user_sgpr_kernarg_preload_length 0
		.amdhsa_user_sgpr_kernarg_preload_offset 0
		.amdhsa_user_sgpr_private_segment_size 0
		.amdhsa_uses_dynamic_stack 0
		.amdhsa_enable_private_segment 0
		.amdhsa_system_sgpr_workgroup_id_x 1
		.amdhsa_system_sgpr_workgroup_id_y 0
		.amdhsa_system_sgpr_workgroup_id_z 0
		.amdhsa_system_sgpr_workgroup_info 0
		.amdhsa_system_vgpr_workitem_id 0
		.amdhsa_next_free_vgpr 1
		.amdhsa_next_free_sgpr 0
		.amdhsa_accum_offset 4
		.amdhsa_reserve_vcc 0
		.amdhsa_float_round_mode_32 0
		.amdhsa_float_round_mode_16_64 0
		.amdhsa_float_denorm_mode_32 3
		.amdhsa_float_denorm_mode_16_64 3
		.amdhsa_dx10_clamp 1
		.amdhsa_ieee_mode 1
		.amdhsa_fp16_overflow 0
		.amdhsa_tg_split 0
		.amdhsa_exception_fp_ieee_invalid_op 0
		.amdhsa_exception_fp_denorm_src 0
		.amdhsa_exception_fp_ieee_div_zero 0
		.amdhsa_exception_fp_ieee_overflow 0
		.amdhsa_exception_fp_ieee_underflow 0
		.amdhsa_exception_fp_ieee_inexact 0
		.amdhsa_exception_int_div_zero 0
	.end_amdhsa_kernel
	.section	.text._ZN7rocprim17ROCPRIM_400000_NS6detail17trampoline_kernelINS0_14default_configENS1_27scan_by_key_config_selectorIiiEEZZNS1_16scan_by_key_implILNS1_25lookback_scan_determinismE0ELb0ES3_PKiN6hipcub16HIPCUB_304000_NS21ConstantInputIteratorIilEEPiiNSB_3SumENSB_8EqualityEiEE10hipError_tPvRmT2_T3_T4_T5_mT6_T7_P12ihipStream_tbENKUlT_T0_E_clISt17integral_constantIbLb1EESX_EEDaSS_ST_EUlSS_E_NS1_11comp_targetILNS1_3genE4ELNS1_11target_archE910ELNS1_3gpuE8ELNS1_3repE0EEENS1_30default_config_static_selectorELNS0_4arch9wavefront6targetE1EEEvT1_,"axG",@progbits,_ZN7rocprim17ROCPRIM_400000_NS6detail17trampoline_kernelINS0_14default_configENS1_27scan_by_key_config_selectorIiiEEZZNS1_16scan_by_key_implILNS1_25lookback_scan_determinismE0ELb0ES3_PKiN6hipcub16HIPCUB_304000_NS21ConstantInputIteratorIilEEPiiNSB_3SumENSB_8EqualityEiEE10hipError_tPvRmT2_T3_T4_T5_mT6_T7_P12ihipStream_tbENKUlT_T0_E_clISt17integral_constantIbLb1EESX_EEDaSS_ST_EUlSS_E_NS1_11comp_targetILNS1_3genE4ELNS1_11target_archE910ELNS1_3gpuE8ELNS1_3repE0EEENS1_30default_config_static_selectorELNS0_4arch9wavefront6targetE1EEEvT1_,comdat
.Lfunc_end24:
	.size	_ZN7rocprim17ROCPRIM_400000_NS6detail17trampoline_kernelINS0_14default_configENS1_27scan_by_key_config_selectorIiiEEZZNS1_16scan_by_key_implILNS1_25lookback_scan_determinismE0ELb0ES3_PKiN6hipcub16HIPCUB_304000_NS21ConstantInputIteratorIilEEPiiNSB_3SumENSB_8EqualityEiEE10hipError_tPvRmT2_T3_T4_T5_mT6_T7_P12ihipStream_tbENKUlT_T0_E_clISt17integral_constantIbLb1EESX_EEDaSS_ST_EUlSS_E_NS1_11comp_targetILNS1_3genE4ELNS1_11target_archE910ELNS1_3gpuE8ELNS1_3repE0EEENS1_30default_config_static_selectorELNS0_4arch9wavefront6targetE1EEEvT1_, .Lfunc_end24-_ZN7rocprim17ROCPRIM_400000_NS6detail17trampoline_kernelINS0_14default_configENS1_27scan_by_key_config_selectorIiiEEZZNS1_16scan_by_key_implILNS1_25lookback_scan_determinismE0ELb0ES3_PKiN6hipcub16HIPCUB_304000_NS21ConstantInputIteratorIilEEPiiNSB_3SumENSB_8EqualityEiEE10hipError_tPvRmT2_T3_T4_T5_mT6_T7_P12ihipStream_tbENKUlT_T0_E_clISt17integral_constantIbLb1EESX_EEDaSS_ST_EUlSS_E_NS1_11comp_targetILNS1_3genE4ELNS1_11target_archE910ELNS1_3gpuE8ELNS1_3repE0EEENS1_30default_config_static_selectorELNS0_4arch9wavefront6targetE1EEEvT1_
                                        ; -- End function
	.set _ZN7rocprim17ROCPRIM_400000_NS6detail17trampoline_kernelINS0_14default_configENS1_27scan_by_key_config_selectorIiiEEZZNS1_16scan_by_key_implILNS1_25lookback_scan_determinismE0ELb0ES3_PKiN6hipcub16HIPCUB_304000_NS21ConstantInputIteratorIilEEPiiNSB_3SumENSB_8EqualityEiEE10hipError_tPvRmT2_T3_T4_T5_mT6_T7_P12ihipStream_tbENKUlT_T0_E_clISt17integral_constantIbLb1EESX_EEDaSS_ST_EUlSS_E_NS1_11comp_targetILNS1_3genE4ELNS1_11target_archE910ELNS1_3gpuE8ELNS1_3repE0EEENS1_30default_config_static_selectorELNS0_4arch9wavefront6targetE1EEEvT1_.num_vgpr, 0
	.set _ZN7rocprim17ROCPRIM_400000_NS6detail17trampoline_kernelINS0_14default_configENS1_27scan_by_key_config_selectorIiiEEZZNS1_16scan_by_key_implILNS1_25lookback_scan_determinismE0ELb0ES3_PKiN6hipcub16HIPCUB_304000_NS21ConstantInputIteratorIilEEPiiNSB_3SumENSB_8EqualityEiEE10hipError_tPvRmT2_T3_T4_T5_mT6_T7_P12ihipStream_tbENKUlT_T0_E_clISt17integral_constantIbLb1EESX_EEDaSS_ST_EUlSS_E_NS1_11comp_targetILNS1_3genE4ELNS1_11target_archE910ELNS1_3gpuE8ELNS1_3repE0EEENS1_30default_config_static_selectorELNS0_4arch9wavefront6targetE1EEEvT1_.num_agpr, 0
	.set _ZN7rocprim17ROCPRIM_400000_NS6detail17trampoline_kernelINS0_14default_configENS1_27scan_by_key_config_selectorIiiEEZZNS1_16scan_by_key_implILNS1_25lookback_scan_determinismE0ELb0ES3_PKiN6hipcub16HIPCUB_304000_NS21ConstantInputIteratorIilEEPiiNSB_3SumENSB_8EqualityEiEE10hipError_tPvRmT2_T3_T4_T5_mT6_T7_P12ihipStream_tbENKUlT_T0_E_clISt17integral_constantIbLb1EESX_EEDaSS_ST_EUlSS_E_NS1_11comp_targetILNS1_3genE4ELNS1_11target_archE910ELNS1_3gpuE8ELNS1_3repE0EEENS1_30default_config_static_selectorELNS0_4arch9wavefront6targetE1EEEvT1_.numbered_sgpr, 0
	.set _ZN7rocprim17ROCPRIM_400000_NS6detail17trampoline_kernelINS0_14default_configENS1_27scan_by_key_config_selectorIiiEEZZNS1_16scan_by_key_implILNS1_25lookback_scan_determinismE0ELb0ES3_PKiN6hipcub16HIPCUB_304000_NS21ConstantInputIteratorIilEEPiiNSB_3SumENSB_8EqualityEiEE10hipError_tPvRmT2_T3_T4_T5_mT6_T7_P12ihipStream_tbENKUlT_T0_E_clISt17integral_constantIbLb1EESX_EEDaSS_ST_EUlSS_E_NS1_11comp_targetILNS1_3genE4ELNS1_11target_archE910ELNS1_3gpuE8ELNS1_3repE0EEENS1_30default_config_static_selectorELNS0_4arch9wavefront6targetE1EEEvT1_.num_named_barrier, 0
	.set _ZN7rocprim17ROCPRIM_400000_NS6detail17trampoline_kernelINS0_14default_configENS1_27scan_by_key_config_selectorIiiEEZZNS1_16scan_by_key_implILNS1_25lookback_scan_determinismE0ELb0ES3_PKiN6hipcub16HIPCUB_304000_NS21ConstantInputIteratorIilEEPiiNSB_3SumENSB_8EqualityEiEE10hipError_tPvRmT2_T3_T4_T5_mT6_T7_P12ihipStream_tbENKUlT_T0_E_clISt17integral_constantIbLb1EESX_EEDaSS_ST_EUlSS_E_NS1_11comp_targetILNS1_3genE4ELNS1_11target_archE910ELNS1_3gpuE8ELNS1_3repE0EEENS1_30default_config_static_selectorELNS0_4arch9wavefront6targetE1EEEvT1_.private_seg_size, 0
	.set _ZN7rocprim17ROCPRIM_400000_NS6detail17trampoline_kernelINS0_14default_configENS1_27scan_by_key_config_selectorIiiEEZZNS1_16scan_by_key_implILNS1_25lookback_scan_determinismE0ELb0ES3_PKiN6hipcub16HIPCUB_304000_NS21ConstantInputIteratorIilEEPiiNSB_3SumENSB_8EqualityEiEE10hipError_tPvRmT2_T3_T4_T5_mT6_T7_P12ihipStream_tbENKUlT_T0_E_clISt17integral_constantIbLb1EESX_EEDaSS_ST_EUlSS_E_NS1_11comp_targetILNS1_3genE4ELNS1_11target_archE910ELNS1_3gpuE8ELNS1_3repE0EEENS1_30default_config_static_selectorELNS0_4arch9wavefront6targetE1EEEvT1_.uses_vcc, 0
	.set _ZN7rocprim17ROCPRIM_400000_NS6detail17trampoline_kernelINS0_14default_configENS1_27scan_by_key_config_selectorIiiEEZZNS1_16scan_by_key_implILNS1_25lookback_scan_determinismE0ELb0ES3_PKiN6hipcub16HIPCUB_304000_NS21ConstantInputIteratorIilEEPiiNSB_3SumENSB_8EqualityEiEE10hipError_tPvRmT2_T3_T4_T5_mT6_T7_P12ihipStream_tbENKUlT_T0_E_clISt17integral_constantIbLb1EESX_EEDaSS_ST_EUlSS_E_NS1_11comp_targetILNS1_3genE4ELNS1_11target_archE910ELNS1_3gpuE8ELNS1_3repE0EEENS1_30default_config_static_selectorELNS0_4arch9wavefront6targetE1EEEvT1_.uses_flat_scratch, 0
	.set _ZN7rocprim17ROCPRIM_400000_NS6detail17trampoline_kernelINS0_14default_configENS1_27scan_by_key_config_selectorIiiEEZZNS1_16scan_by_key_implILNS1_25lookback_scan_determinismE0ELb0ES3_PKiN6hipcub16HIPCUB_304000_NS21ConstantInputIteratorIilEEPiiNSB_3SumENSB_8EqualityEiEE10hipError_tPvRmT2_T3_T4_T5_mT6_T7_P12ihipStream_tbENKUlT_T0_E_clISt17integral_constantIbLb1EESX_EEDaSS_ST_EUlSS_E_NS1_11comp_targetILNS1_3genE4ELNS1_11target_archE910ELNS1_3gpuE8ELNS1_3repE0EEENS1_30default_config_static_selectorELNS0_4arch9wavefront6targetE1EEEvT1_.has_dyn_sized_stack, 0
	.set _ZN7rocprim17ROCPRIM_400000_NS6detail17trampoline_kernelINS0_14default_configENS1_27scan_by_key_config_selectorIiiEEZZNS1_16scan_by_key_implILNS1_25lookback_scan_determinismE0ELb0ES3_PKiN6hipcub16HIPCUB_304000_NS21ConstantInputIteratorIilEEPiiNSB_3SumENSB_8EqualityEiEE10hipError_tPvRmT2_T3_T4_T5_mT6_T7_P12ihipStream_tbENKUlT_T0_E_clISt17integral_constantIbLb1EESX_EEDaSS_ST_EUlSS_E_NS1_11comp_targetILNS1_3genE4ELNS1_11target_archE910ELNS1_3gpuE8ELNS1_3repE0EEENS1_30default_config_static_selectorELNS0_4arch9wavefront6targetE1EEEvT1_.has_recursion, 0
	.set _ZN7rocprim17ROCPRIM_400000_NS6detail17trampoline_kernelINS0_14default_configENS1_27scan_by_key_config_selectorIiiEEZZNS1_16scan_by_key_implILNS1_25lookback_scan_determinismE0ELb0ES3_PKiN6hipcub16HIPCUB_304000_NS21ConstantInputIteratorIilEEPiiNSB_3SumENSB_8EqualityEiEE10hipError_tPvRmT2_T3_T4_T5_mT6_T7_P12ihipStream_tbENKUlT_T0_E_clISt17integral_constantIbLb1EESX_EEDaSS_ST_EUlSS_E_NS1_11comp_targetILNS1_3genE4ELNS1_11target_archE910ELNS1_3gpuE8ELNS1_3repE0EEENS1_30default_config_static_selectorELNS0_4arch9wavefront6targetE1EEEvT1_.has_indirect_call, 0
	.section	.AMDGPU.csdata,"",@progbits
; Kernel info:
; codeLenInByte = 0
; TotalNumSgprs: 6
; NumVgprs: 0
; NumAgprs: 0
; TotalNumVgprs: 0
; ScratchSize: 0
; MemoryBound: 0
; FloatMode: 240
; IeeeMode: 1
; LDSByteSize: 0 bytes/workgroup (compile time only)
; SGPRBlocks: 0
; VGPRBlocks: 0
; NumSGPRsForWavesPerEU: 6
; NumVGPRsForWavesPerEU: 1
; AccumOffset: 4
; Occupancy: 8
; WaveLimiterHint : 0
; COMPUTE_PGM_RSRC2:SCRATCH_EN: 0
; COMPUTE_PGM_RSRC2:USER_SGPR: 2
; COMPUTE_PGM_RSRC2:TRAP_HANDLER: 0
; COMPUTE_PGM_RSRC2:TGID_X_EN: 1
; COMPUTE_PGM_RSRC2:TGID_Y_EN: 0
; COMPUTE_PGM_RSRC2:TGID_Z_EN: 0
; COMPUTE_PGM_RSRC2:TIDIG_COMP_CNT: 0
; COMPUTE_PGM_RSRC3_GFX90A:ACCUM_OFFSET: 0
; COMPUTE_PGM_RSRC3_GFX90A:TG_SPLIT: 0
	.section	.text._ZN7rocprim17ROCPRIM_400000_NS6detail17trampoline_kernelINS0_14default_configENS1_27scan_by_key_config_selectorIiiEEZZNS1_16scan_by_key_implILNS1_25lookback_scan_determinismE0ELb0ES3_PKiN6hipcub16HIPCUB_304000_NS21ConstantInputIteratorIilEEPiiNSB_3SumENSB_8EqualityEiEE10hipError_tPvRmT2_T3_T4_T5_mT6_T7_P12ihipStream_tbENKUlT_T0_E_clISt17integral_constantIbLb1EESX_EEDaSS_ST_EUlSS_E_NS1_11comp_targetILNS1_3genE3ELNS1_11target_archE908ELNS1_3gpuE7ELNS1_3repE0EEENS1_30default_config_static_selectorELNS0_4arch9wavefront6targetE1EEEvT1_,"axG",@progbits,_ZN7rocprim17ROCPRIM_400000_NS6detail17trampoline_kernelINS0_14default_configENS1_27scan_by_key_config_selectorIiiEEZZNS1_16scan_by_key_implILNS1_25lookback_scan_determinismE0ELb0ES3_PKiN6hipcub16HIPCUB_304000_NS21ConstantInputIteratorIilEEPiiNSB_3SumENSB_8EqualityEiEE10hipError_tPvRmT2_T3_T4_T5_mT6_T7_P12ihipStream_tbENKUlT_T0_E_clISt17integral_constantIbLb1EESX_EEDaSS_ST_EUlSS_E_NS1_11comp_targetILNS1_3genE3ELNS1_11target_archE908ELNS1_3gpuE7ELNS1_3repE0EEENS1_30default_config_static_selectorELNS0_4arch9wavefront6targetE1EEEvT1_,comdat
	.protected	_ZN7rocprim17ROCPRIM_400000_NS6detail17trampoline_kernelINS0_14default_configENS1_27scan_by_key_config_selectorIiiEEZZNS1_16scan_by_key_implILNS1_25lookback_scan_determinismE0ELb0ES3_PKiN6hipcub16HIPCUB_304000_NS21ConstantInputIteratorIilEEPiiNSB_3SumENSB_8EqualityEiEE10hipError_tPvRmT2_T3_T4_T5_mT6_T7_P12ihipStream_tbENKUlT_T0_E_clISt17integral_constantIbLb1EESX_EEDaSS_ST_EUlSS_E_NS1_11comp_targetILNS1_3genE3ELNS1_11target_archE908ELNS1_3gpuE7ELNS1_3repE0EEENS1_30default_config_static_selectorELNS0_4arch9wavefront6targetE1EEEvT1_ ; -- Begin function _ZN7rocprim17ROCPRIM_400000_NS6detail17trampoline_kernelINS0_14default_configENS1_27scan_by_key_config_selectorIiiEEZZNS1_16scan_by_key_implILNS1_25lookback_scan_determinismE0ELb0ES3_PKiN6hipcub16HIPCUB_304000_NS21ConstantInputIteratorIilEEPiiNSB_3SumENSB_8EqualityEiEE10hipError_tPvRmT2_T3_T4_T5_mT6_T7_P12ihipStream_tbENKUlT_T0_E_clISt17integral_constantIbLb1EESX_EEDaSS_ST_EUlSS_E_NS1_11comp_targetILNS1_3genE3ELNS1_11target_archE908ELNS1_3gpuE7ELNS1_3repE0EEENS1_30default_config_static_selectorELNS0_4arch9wavefront6targetE1EEEvT1_
	.globl	_ZN7rocprim17ROCPRIM_400000_NS6detail17trampoline_kernelINS0_14default_configENS1_27scan_by_key_config_selectorIiiEEZZNS1_16scan_by_key_implILNS1_25lookback_scan_determinismE0ELb0ES3_PKiN6hipcub16HIPCUB_304000_NS21ConstantInputIteratorIilEEPiiNSB_3SumENSB_8EqualityEiEE10hipError_tPvRmT2_T3_T4_T5_mT6_T7_P12ihipStream_tbENKUlT_T0_E_clISt17integral_constantIbLb1EESX_EEDaSS_ST_EUlSS_E_NS1_11comp_targetILNS1_3genE3ELNS1_11target_archE908ELNS1_3gpuE7ELNS1_3repE0EEENS1_30default_config_static_selectorELNS0_4arch9wavefront6targetE1EEEvT1_
	.p2align	8
	.type	_ZN7rocprim17ROCPRIM_400000_NS6detail17trampoline_kernelINS0_14default_configENS1_27scan_by_key_config_selectorIiiEEZZNS1_16scan_by_key_implILNS1_25lookback_scan_determinismE0ELb0ES3_PKiN6hipcub16HIPCUB_304000_NS21ConstantInputIteratorIilEEPiiNSB_3SumENSB_8EqualityEiEE10hipError_tPvRmT2_T3_T4_T5_mT6_T7_P12ihipStream_tbENKUlT_T0_E_clISt17integral_constantIbLb1EESX_EEDaSS_ST_EUlSS_E_NS1_11comp_targetILNS1_3genE3ELNS1_11target_archE908ELNS1_3gpuE7ELNS1_3repE0EEENS1_30default_config_static_selectorELNS0_4arch9wavefront6targetE1EEEvT1_,@function
_ZN7rocprim17ROCPRIM_400000_NS6detail17trampoline_kernelINS0_14default_configENS1_27scan_by_key_config_selectorIiiEEZZNS1_16scan_by_key_implILNS1_25lookback_scan_determinismE0ELb0ES3_PKiN6hipcub16HIPCUB_304000_NS21ConstantInputIteratorIilEEPiiNSB_3SumENSB_8EqualityEiEE10hipError_tPvRmT2_T3_T4_T5_mT6_T7_P12ihipStream_tbENKUlT_T0_E_clISt17integral_constantIbLb1EESX_EEDaSS_ST_EUlSS_E_NS1_11comp_targetILNS1_3genE3ELNS1_11target_archE908ELNS1_3gpuE7ELNS1_3repE0EEENS1_30default_config_static_selectorELNS0_4arch9wavefront6targetE1EEEvT1_: ; @_ZN7rocprim17ROCPRIM_400000_NS6detail17trampoline_kernelINS0_14default_configENS1_27scan_by_key_config_selectorIiiEEZZNS1_16scan_by_key_implILNS1_25lookback_scan_determinismE0ELb0ES3_PKiN6hipcub16HIPCUB_304000_NS21ConstantInputIteratorIilEEPiiNSB_3SumENSB_8EqualityEiEE10hipError_tPvRmT2_T3_T4_T5_mT6_T7_P12ihipStream_tbENKUlT_T0_E_clISt17integral_constantIbLb1EESX_EEDaSS_ST_EUlSS_E_NS1_11comp_targetILNS1_3genE3ELNS1_11target_archE908ELNS1_3gpuE7ELNS1_3repE0EEENS1_30default_config_static_selectorELNS0_4arch9wavefront6targetE1EEEvT1_
; %bb.0:
	.section	.rodata,"a",@progbits
	.p2align	6, 0x0
	.amdhsa_kernel _ZN7rocprim17ROCPRIM_400000_NS6detail17trampoline_kernelINS0_14default_configENS1_27scan_by_key_config_selectorIiiEEZZNS1_16scan_by_key_implILNS1_25lookback_scan_determinismE0ELb0ES3_PKiN6hipcub16HIPCUB_304000_NS21ConstantInputIteratorIilEEPiiNSB_3SumENSB_8EqualityEiEE10hipError_tPvRmT2_T3_T4_T5_mT6_T7_P12ihipStream_tbENKUlT_T0_E_clISt17integral_constantIbLb1EESX_EEDaSS_ST_EUlSS_E_NS1_11comp_targetILNS1_3genE3ELNS1_11target_archE908ELNS1_3gpuE7ELNS1_3repE0EEENS1_30default_config_static_selectorELNS0_4arch9wavefront6targetE1EEEvT1_
		.amdhsa_group_segment_fixed_size 0
		.amdhsa_private_segment_fixed_size 0
		.amdhsa_kernarg_size 120
		.amdhsa_user_sgpr_count 2
		.amdhsa_user_sgpr_dispatch_ptr 0
		.amdhsa_user_sgpr_queue_ptr 0
		.amdhsa_user_sgpr_kernarg_segment_ptr 1
		.amdhsa_user_sgpr_dispatch_id 0
		.amdhsa_user_sgpr_kernarg_preload_length 0
		.amdhsa_user_sgpr_kernarg_preload_offset 0
		.amdhsa_user_sgpr_private_segment_size 0
		.amdhsa_uses_dynamic_stack 0
		.amdhsa_enable_private_segment 0
		.amdhsa_system_sgpr_workgroup_id_x 1
		.amdhsa_system_sgpr_workgroup_id_y 0
		.amdhsa_system_sgpr_workgroup_id_z 0
		.amdhsa_system_sgpr_workgroup_info 0
		.amdhsa_system_vgpr_workitem_id 0
		.amdhsa_next_free_vgpr 1
		.amdhsa_next_free_sgpr 0
		.amdhsa_accum_offset 4
		.amdhsa_reserve_vcc 0
		.amdhsa_float_round_mode_32 0
		.amdhsa_float_round_mode_16_64 0
		.amdhsa_float_denorm_mode_32 3
		.amdhsa_float_denorm_mode_16_64 3
		.amdhsa_dx10_clamp 1
		.amdhsa_ieee_mode 1
		.amdhsa_fp16_overflow 0
		.amdhsa_tg_split 0
		.amdhsa_exception_fp_ieee_invalid_op 0
		.amdhsa_exception_fp_denorm_src 0
		.amdhsa_exception_fp_ieee_div_zero 0
		.amdhsa_exception_fp_ieee_overflow 0
		.amdhsa_exception_fp_ieee_underflow 0
		.amdhsa_exception_fp_ieee_inexact 0
		.amdhsa_exception_int_div_zero 0
	.end_amdhsa_kernel
	.section	.text._ZN7rocprim17ROCPRIM_400000_NS6detail17trampoline_kernelINS0_14default_configENS1_27scan_by_key_config_selectorIiiEEZZNS1_16scan_by_key_implILNS1_25lookback_scan_determinismE0ELb0ES3_PKiN6hipcub16HIPCUB_304000_NS21ConstantInputIteratorIilEEPiiNSB_3SumENSB_8EqualityEiEE10hipError_tPvRmT2_T3_T4_T5_mT6_T7_P12ihipStream_tbENKUlT_T0_E_clISt17integral_constantIbLb1EESX_EEDaSS_ST_EUlSS_E_NS1_11comp_targetILNS1_3genE3ELNS1_11target_archE908ELNS1_3gpuE7ELNS1_3repE0EEENS1_30default_config_static_selectorELNS0_4arch9wavefront6targetE1EEEvT1_,"axG",@progbits,_ZN7rocprim17ROCPRIM_400000_NS6detail17trampoline_kernelINS0_14default_configENS1_27scan_by_key_config_selectorIiiEEZZNS1_16scan_by_key_implILNS1_25lookback_scan_determinismE0ELb0ES3_PKiN6hipcub16HIPCUB_304000_NS21ConstantInputIteratorIilEEPiiNSB_3SumENSB_8EqualityEiEE10hipError_tPvRmT2_T3_T4_T5_mT6_T7_P12ihipStream_tbENKUlT_T0_E_clISt17integral_constantIbLb1EESX_EEDaSS_ST_EUlSS_E_NS1_11comp_targetILNS1_3genE3ELNS1_11target_archE908ELNS1_3gpuE7ELNS1_3repE0EEENS1_30default_config_static_selectorELNS0_4arch9wavefront6targetE1EEEvT1_,comdat
.Lfunc_end25:
	.size	_ZN7rocprim17ROCPRIM_400000_NS6detail17trampoline_kernelINS0_14default_configENS1_27scan_by_key_config_selectorIiiEEZZNS1_16scan_by_key_implILNS1_25lookback_scan_determinismE0ELb0ES3_PKiN6hipcub16HIPCUB_304000_NS21ConstantInputIteratorIilEEPiiNSB_3SumENSB_8EqualityEiEE10hipError_tPvRmT2_T3_T4_T5_mT6_T7_P12ihipStream_tbENKUlT_T0_E_clISt17integral_constantIbLb1EESX_EEDaSS_ST_EUlSS_E_NS1_11comp_targetILNS1_3genE3ELNS1_11target_archE908ELNS1_3gpuE7ELNS1_3repE0EEENS1_30default_config_static_selectorELNS0_4arch9wavefront6targetE1EEEvT1_, .Lfunc_end25-_ZN7rocprim17ROCPRIM_400000_NS6detail17trampoline_kernelINS0_14default_configENS1_27scan_by_key_config_selectorIiiEEZZNS1_16scan_by_key_implILNS1_25lookback_scan_determinismE0ELb0ES3_PKiN6hipcub16HIPCUB_304000_NS21ConstantInputIteratorIilEEPiiNSB_3SumENSB_8EqualityEiEE10hipError_tPvRmT2_T3_T4_T5_mT6_T7_P12ihipStream_tbENKUlT_T0_E_clISt17integral_constantIbLb1EESX_EEDaSS_ST_EUlSS_E_NS1_11comp_targetILNS1_3genE3ELNS1_11target_archE908ELNS1_3gpuE7ELNS1_3repE0EEENS1_30default_config_static_selectorELNS0_4arch9wavefront6targetE1EEEvT1_
                                        ; -- End function
	.set _ZN7rocprim17ROCPRIM_400000_NS6detail17trampoline_kernelINS0_14default_configENS1_27scan_by_key_config_selectorIiiEEZZNS1_16scan_by_key_implILNS1_25lookback_scan_determinismE0ELb0ES3_PKiN6hipcub16HIPCUB_304000_NS21ConstantInputIteratorIilEEPiiNSB_3SumENSB_8EqualityEiEE10hipError_tPvRmT2_T3_T4_T5_mT6_T7_P12ihipStream_tbENKUlT_T0_E_clISt17integral_constantIbLb1EESX_EEDaSS_ST_EUlSS_E_NS1_11comp_targetILNS1_3genE3ELNS1_11target_archE908ELNS1_3gpuE7ELNS1_3repE0EEENS1_30default_config_static_selectorELNS0_4arch9wavefront6targetE1EEEvT1_.num_vgpr, 0
	.set _ZN7rocprim17ROCPRIM_400000_NS6detail17trampoline_kernelINS0_14default_configENS1_27scan_by_key_config_selectorIiiEEZZNS1_16scan_by_key_implILNS1_25lookback_scan_determinismE0ELb0ES3_PKiN6hipcub16HIPCUB_304000_NS21ConstantInputIteratorIilEEPiiNSB_3SumENSB_8EqualityEiEE10hipError_tPvRmT2_T3_T4_T5_mT6_T7_P12ihipStream_tbENKUlT_T0_E_clISt17integral_constantIbLb1EESX_EEDaSS_ST_EUlSS_E_NS1_11comp_targetILNS1_3genE3ELNS1_11target_archE908ELNS1_3gpuE7ELNS1_3repE0EEENS1_30default_config_static_selectorELNS0_4arch9wavefront6targetE1EEEvT1_.num_agpr, 0
	.set _ZN7rocprim17ROCPRIM_400000_NS6detail17trampoline_kernelINS0_14default_configENS1_27scan_by_key_config_selectorIiiEEZZNS1_16scan_by_key_implILNS1_25lookback_scan_determinismE0ELb0ES3_PKiN6hipcub16HIPCUB_304000_NS21ConstantInputIteratorIilEEPiiNSB_3SumENSB_8EqualityEiEE10hipError_tPvRmT2_T3_T4_T5_mT6_T7_P12ihipStream_tbENKUlT_T0_E_clISt17integral_constantIbLb1EESX_EEDaSS_ST_EUlSS_E_NS1_11comp_targetILNS1_3genE3ELNS1_11target_archE908ELNS1_3gpuE7ELNS1_3repE0EEENS1_30default_config_static_selectorELNS0_4arch9wavefront6targetE1EEEvT1_.numbered_sgpr, 0
	.set _ZN7rocprim17ROCPRIM_400000_NS6detail17trampoline_kernelINS0_14default_configENS1_27scan_by_key_config_selectorIiiEEZZNS1_16scan_by_key_implILNS1_25lookback_scan_determinismE0ELb0ES3_PKiN6hipcub16HIPCUB_304000_NS21ConstantInputIteratorIilEEPiiNSB_3SumENSB_8EqualityEiEE10hipError_tPvRmT2_T3_T4_T5_mT6_T7_P12ihipStream_tbENKUlT_T0_E_clISt17integral_constantIbLb1EESX_EEDaSS_ST_EUlSS_E_NS1_11comp_targetILNS1_3genE3ELNS1_11target_archE908ELNS1_3gpuE7ELNS1_3repE0EEENS1_30default_config_static_selectorELNS0_4arch9wavefront6targetE1EEEvT1_.num_named_barrier, 0
	.set _ZN7rocprim17ROCPRIM_400000_NS6detail17trampoline_kernelINS0_14default_configENS1_27scan_by_key_config_selectorIiiEEZZNS1_16scan_by_key_implILNS1_25lookback_scan_determinismE0ELb0ES3_PKiN6hipcub16HIPCUB_304000_NS21ConstantInputIteratorIilEEPiiNSB_3SumENSB_8EqualityEiEE10hipError_tPvRmT2_T3_T4_T5_mT6_T7_P12ihipStream_tbENKUlT_T0_E_clISt17integral_constantIbLb1EESX_EEDaSS_ST_EUlSS_E_NS1_11comp_targetILNS1_3genE3ELNS1_11target_archE908ELNS1_3gpuE7ELNS1_3repE0EEENS1_30default_config_static_selectorELNS0_4arch9wavefront6targetE1EEEvT1_.private_seg_size, 0
	.set _ZN7rocprim17ROCPRIM_400000_NS6detail17trampoline_kernelINS0_14default_configENS1_27scan_by_key_config_selectorIiiEEZZNS1_16scan_by_key_implILNS1_25lookback_scan_determinismE0ELb0ES3_PKiN6hipcub16HIPCUB_304000_NS21ConstantInputIteratorIilEEPiiNSB_3SumENSB_8EqualityEiEE10hipError_tPvRmT2_T3_T4_T5_mT6_T7_P12ihipStream_tbENKUlT_T0_E_clISt17integral_constantIbLb1EESX_EEDaSS_ST_EUlSS_E_NS1_11comp_targetILNS1_3genE3ELNS1_11target_archE908ELNS1_3gpuE7ELNS1_3repE0EEENS1_30default_config_static_selectorELNS0_4arch9wavefront6targetE1EEEvT1_.uses_vcc, 0
	.set _ZN7rocprim17ROCPRIM_400000_NS6detail17trampoline_kernelINS0_14default_configENS1_27scan_by_key_config_selectorIiiEEZZNS1_16scan_by_key_implILNS1_25lookback_scan_determinismE0ELb0ES3_PKiN6hipcub16HIPCUB_304000_NS21ConstantInputIteratorIilEEPiiNSB_3SumENSB_8EqualityEiEE10hipError_tPvRmT2_T3_T4_T5_mT6_T7_P12ihipStream_tbENKUlT_T0_E_clISt17integral_constantIbLb1EESX_EEDaSS_ST_EUlSS_E_NS1_11comp_targetILNS1_3genE3ELNS1_11target_archE908ELNS1_3gpuE7ELNS1_3repE0EEENS1_30default_config_static_selectorELNS0_4arch9wavefront6targetE1EEEvT1_.uses_flat_scratch, 0
	.set _ZN7rocprim17ROCPRIM_400000_NS6detail17trampoline_kernelINS0_14default_configENS1_27scan_by_key_config_selectorIiiEEZZNS1_16scan_by_key_implILNS1_25lookback_scan_determinismE0ELb0ES3_PKiN6hipcub16HIPCUB_304000_NS21ConstantInputIteratorIilEEPiiNSB_3SumENSB_8EqualityEiEE10hipError_tPvRmT2_T3_T4_T5_mT6_T7_P12ihipStream_tbENKUlT_T0_E_clISt17integral_constantIbLb1EESX_EEDaSS_ST_EUlSS_E_NS1_11comp_targetILNS1_3genE3ELNS1_11target_archE908ELNS1_3gpuE7ELNS1_3repE0EEENS1_30default_config_static_selectorELNS0_4arch9wavefront6targetE1EEEvT1_.has_dyn_sized_stack, 0
	.set _ZN7rocprim17ROCPRIM_400000_NS6detail17trampoline_kernelINS0_14default_configENS1_27scan_by_key_config_selectorIiiEEZZNS1_16scan_by_key_implILNS1_25lookback_scan_determinismE0ELb0ES3_PKiN6hipcub16HIPCUB_304000_NS21ConstantInputIteratorIilEEPiiNSB_3SumENSB_8EqualityEiEE10hipError_tPvRmT2_T3_T4_T5_mT6_T7_P12ihipStream_tbENKUlT_T0_E_clISt17integral_constantIbLb1EESX_EEDaSS_ST_EUlSS_E_NS1_11comp_targetILNS1_3genE3ELNS1_11target_archE908ELNS1_3gpuE7ELNS1_3repE0EEENS1_30default_config_static_selectorELNS0_4arch9wavefront6targetE1EEEvT1_.has_recursion, 0
	.set _ZN7rocprim17ROCPRIM_400000_NS6detail17trampoline_kernelINS0_14default_configENS1_27scan_by_key_config_selectorIiiEEZZNS1_16scan_by_key_implILNS1_25lookback_scan_determinismE0ELb0ES3_PKiN6hipcub16HIPCUB_304000_NS21ConstantInputIteratorIilEEPiiNSB_3SumENSB_8EqualityEiEE10hipError_tPvRmT2_T3_T4_T5_mT6_T7_P12ihipStream_tbENKUlT_T0_E_clISt17integral_constantIbLb1EESX_EEDaSS_ST_EUlSS_E_NS1_11comp_targetILNS1_3genE3ELNS1_11target_archE908ELNS1_3gpuE7ELNS1_3repE0EEENS1_30default_config_static_selectorELNS0_4arch9wavefront6targetE1EEEvT1_.has_indirect_call, 0
	.section	.AMDGPU.csdata,"",@progbits
; Kernel info:
; codeLenInByte = 0
; TotalNumSgprs: 6
; NumVgprs: 0
; NumAgprs: 0
; TotalNumVgprs: 0
; ScratchSize: 0
; MemoryBound: 0
; FloatMode: 240
; IeeeMode: 1
; LDSByteSize: 0 bytes/workgroup (compile time only)
; SGPRBlocks: 0
; VGPRBlocks: 0
; NumSGPRsForWavesPerEU: 6
; NumVGPRsForWavesPerEU: 1
; AccumOffset: 4
; Occupancy: 8
; WaveLimiterHint : 0
; COMPUTE_PGM_RSRC2:SCRATCH_EN: 0
; COMPUTE_PGM_RSRC2:USER_SGPR: 2
; COMPUTE_PGM_RSRC2:TRAP_HANDLER: 0
; COMPUTE_PGM_RSRC2:TGID_X_EN: 1
; COMPUTE_PGM_RSRC2:TGID_Y_EN: 0
; COMPUTE_PGM_RSRC2:TGID_Z_EN: 0
; COMPUTE_PGM_RSRC2:TIDIG_COMP_CNT: 0
; COMPUTE_PGM_RSRC3_GFX90A:ACCUM_OFFSET: 0
; COMPUTE_PGM_RSRC3_GFX90A:TG_SPLIT: 0
	.section	.text._ZN7rocprim17ROCPRIM_400000_NS6detail17trampoline_kernelINS0_14default_configENS1_27scan_by_key_config_selectorIiiEEZZNS1_16scan_by_key_implILNS1_25lookback_scan_determinismE0ELb0ES3_PKiN6hipcub16HIPCUB_304000_NS21ConstantInputIteratorIilEEPiiNSB_3SumENSB_8EqualityEiEE10hipError_tPvRmT2_T3_T4_T5_mT6_T7_P12ihipStream_tbENKUlT_T0_E_clISt17integral_constantIbLb1EESX_EEDaSS_ST_EUlSS_E_NS1_11comp_targetILNS1_3genE2ELNS1_11target_archE906ELNS1_3gpuE6ELNS1_3repE0EEENS1_30default_config_static_selectorELNS0_4arch9wavefront6targetE1EEEvT1_,"axG",@progbits,_ZN7rocprim17ROCPRIM_400000_NS6detail17trampoline_kernelINS0_14default_configENS1_27scan_by_key_config_selectorIiiEEZZNS1_16scan_by_key_implILNS1_25lookback_scan_determinismE0ELb0ES3_PKiN6hipcub16HIPCUB_304000_NS21ConstantInputIteratorIilEEPiiNSB_3SumENSB_8EqualityEiEE10hipError_tPvRmT2_T3_T4_T5_mT6_T7_P12ihipStream_tbENKUlT_T0_E_clISt17integral_constantIbLb1EESX_EEDaSS_ST_EUlSS_E_NS1_11comp_targetILNS1_3genE2ELNS1_11target_archE906ELNS1_3gpuE6ELNS1_3repE0EEENS1_30default_config_static_selectorELNS0_4arch9wavefront6targetE1EEEvT1_,comdat
	.protected	_ZN7rocprim17ROCPRIM_400000_NS6detail17trampoline_kernelINS0_14default_configENS1_27scan_by_key_config_selectorIiiEEZZNS1_16scan_by_key_implILNS1_25lookback_scan_determinismE0ELb0ES3_PKiN6hipcub16HIPCUB_304000_NS21ConstantInputIteratorIilEEPiiNSB_3SumENSB_8EqualityEiEE10hipError_tPvRmT2_T3_T4_T5_mT6_T7_P12ihipStream_tbENKUlT_T0_E_clISt17integral_constantIbLb1EESX_EEDaSS_ST_EUlSS_E_NS1_11comp_targetILNS1_3genE2ELNS1_11target_archE906ELNS1_3gpuE6ELNS1_3repE0EEENS1_30default_config_static_selectorELNS0_4arch9wavefront6targetE1EEEvT1_ ; -- Begin function _ZN7rocprim17ROCPRIM_400000_NS6detail17trampoline_kernelINS0_14default_configENS1_27scan_by_key_config_selectorIiiEEZZNS1_16scan_by_key_implILNS1_25lookback_scan_determinismE0ELb0ES3_PKiN6hipcub16HIPCUB_304000_NS21ConstantInputIteratorIilEEPiiNSB_3SumENSB_8EqualityEiEE10hipError_tPvRmT2_T3_T4_T5_mT6_T7_P12ihipStream_tbENKUlT_T0_E_clISt17integral_constantIbLb1EESX_EEDaSS_ST_EUlSS_E_NS1_11comp_targetILNS1_3genE2ELNS1_11target_archE906ELNS1_3gpuE6ELNS1_3repE0EEENS1_30default_config_static_selectorELNS0_4arch9wavefront6targetE1EEEvT1_
	.globl	_ZN7rocprim17ROCPRIM_400000_NS6detail17trampoline_kernelINS0_14default_configENS1_27scan_by_key_config_selectorIiiEEZZNS1_16scan_by_key_implILNS1_25lookback_scan_determinismE0ELb0ES3_PKiN6hipcub16HIPCUB_304000_NS21ConstantInputIteratorIilEEPiiNSB_3SumENSB_8EqualityEiEE10hipError_tPvRmT2_T3_T4_T5_mT6_T7_P12ihipStream_tbENKUlT_T0_E_clISt17integral_constantIbLb1EESX_EEDaSS_ST_EUlSS_E_NS1_11comp_targetILNS1_3genE2ELNS1_11target_archE906ELNS1_3gpuE6ELNS1_3repE0EEENS1_30default_config_static_selectorELNS0_4arch9wavefront6targetE1EEEvT1_
	.p2align	8
	.type	_ZN7rocprim17ROCPRIM_400000_NS6detail17trampoline_kernelINS0_14default_configENS1_27scan_by_key_config_selectorIiiEEZZNS1_16scan_by_key_implILNS1_25lookback_scan_determinismE0ELb0ES3_PKiN6hipcub16HIPCUB_304000_NS21ConstantInputIteratorIilEEPiiNSB_3SumENSB_8EqualityEiEE10hipError_tPvRmT2_T3_T4_T5_mT6_T7_P12ihipStream_tbENKUlT_T0_E_clISt17integral_constantIbLb1EESX_EEDaSS_ST_EUlSS_E_NS1_11comp_targetILNS1_3genE2ELNS1_11target_archE906ELNS1_3gpuE6ELNS1_3repE0EEENS1_30default_config_static_selectorELNS0_4arch9wavefront6targetE1EEEvT1_,@function
_ZN7rocprim17ROCPRIM_400000_NS6detail17trampoline_kernelINS0_14default_configENS1_27scan_by_key_config_selectorIiiEEZZNS1_16scan_by_key_implILNS1_25lookback_scan_determinismE0ELb0ES3_PKiN6hipcub16HIPCUB_304000_NS21ConstantInputIteratorIilEEPiiNSB_3SumENSB_8EqualityEiEE10hipError_tPvRmT2_T3_T4_T5_mT6_T7_P12ihipStream_tbENKUlT_T0_E_clISt17integral_constantIbLb1EESX_EEDaSS_ST_EUlSS_E_NS1_11comp_targetILNS1_3genE2ELNS1_11target_archE906ELNS1_3gpuE6ELNS1_3repE0EEENS1_30default_config_static_selectorELNS0_4arch9wavefront6targetE1EEEvT1_: ; @_ZN7rocprim17ROCPRIM_400000_NS6detail17trampoline_kernelINS0_14default_configENS1_27scan_by_key_config_selectorIiiEEZZNS1_16scan_by_key_implILNS1_25lookback_scan_determinismE0ELb0ES3_PKiN6hipcub16HIPCUB_304000_NS21ConstantInputIteratorIilEEPiiNSB_3SumENSB_8EqualityEiEE10hipError_tPvRmT2_T3_T4_T5_mT6_T7_P12ihipStream_tbENKUlT_T0_E_clISt17integral_constantIbLb1EESX_EEDaSS_ST_EUlSS_E_NS1_11comp_targetILNS1_3genE2ELNS1_11target_archE906ELNS1_3gpuE6ELNS1_3repE0EEENS1_30default_config_static_selectorELNS0_4arch9wavefront6targetE1EEEvT1_
; %bb.0:
	.section	.rodata,"a",@progbits
	.p2align	6, 0x0
	.amdhsa_kernel _ZN7rocprim17ROCPRIM_400000_NS6detail17trampoline_kernelINS0_14default_configENS1_27scan_by_key_config_selectorIiiEEZZNS1_16scan_by_key_implILNS1_25lookback_scan_determinismE0ELb0ES3_PKiN6hipcub16HIPCUB_304000_NS21ConstantInputIteratorIilEEPiiNSB_3SumENSB_8EqualityEiEE10hipError_tPvRmT2_T3_T4_T5_mT6_T7_P12ihipStream_tbENKUlT_T0_E_clISt17integral_constantIbLb1EESX_EEDaSS_ST_EUlSS_E_NS1_11comp_targetILNS1_3genE2ELNS1_11target_archE906ELNS1_3gpuE6ELNS1_3repE0EEENS1_30default_config_static_selectorELNS0_4arch9wavefront6targetE1EEEvT1_
		.amdhsa_group_segment_fixed_size 0
		.amdhsa_private_segment_fixed_size 0
		.amdhsa_kernarg_size 120
		.amdhsa_user_sgpr_count 2
		.amdhsa_user_sgpr_dispatch_ptr 0
		.amdhsa_user_sgpr_queue_ptr 0
		.amdhsa_user_sgpr_kernarg_segment_ptr 1
		.amdhsa_user_sgpr_dispatch_id 0
		.amdhsa_user_sgpr_kernarg_preload_length 0
		.amdhsa_user_sgpr_kernarg_preload_offset 0
		.amdhsa_user_sgpr_private_segment_size 0
		.amdhsa_uses_dynamic_stack 0
		.amdhsa_enable_private_segment 0
		.amdhsa_system_sgpr_workgroup_id_x 1
		.amdhsa_system_sgpr_workgroup_id_y 0
		.amdhsa_system_sgpr_workgroup_id_z 0
		.amdhsa_system_sgpr_workgroup_info 0
		.amdhsa_system_vgpr_workitem_id 0
		.amdhsa_next_free_vgpr 1
		.amdhsa_next_free_sgpr 0
		.amdhsa_accum_offset 4
		.amdhsa_reserve_vcc 0
		.amdhsa_float_round_mode_32 0
		.amdhsa_float_round_mode_16_64 0
		.amdhsa_float_denorm_mode_32 3
		.amdhsa_float_denorm_mode_16_64 3
		.amdhsa_dx10_clamp 1
		.amdhsa_ieee_mode 1
		.amdhsa_fp16_overflow 0
		.amdhsa_tg_split 0
		.amdhsa_exception_fp_ieee_invalid_op 0
		.amdhsa_exception_fp_denorm_src 0
		.amdhsa_exception_fp_ieee_div_zero 0
		.amdhsa_exception_fp_ieee_overflow 0
		.amdhsa_exception_fp_ieee_underflow 0
		.amdhsa_exception_fp_ieee_inexact 0
		.amdhsa_exception_int_div_zero 0
	.end_amdhsa_kernel
	.section	.text._ZN7rocprim17ROCPRIM_400000_NS6detail17trampoline_kernelINS0_14default_configENS1_27scan_by_key_config_selectorIiiEEZZNS1_16scan_by_key_implILNS1_25lookback_scan_determinismE0ELb0ES3_PKiN6hipcub16HIPCUB_304000_NS21ConstantInputIteratorIilEEPiiNSB_3SumENSB_8EqualityEiEE10hipError_tPvRmT2_T3_T4_T5_mT6_T7_P12ihipStream_tbENKUlT_T0_E_clISt17integral_constantIbLb1EESX_EEDaSS_ST_EUlSS_E_NS1_11comp_targetILNS1_3genE2ELNS1_11target_archE906ELNS1_3gpuE6ELNS1_3repE0EEENS1_30default_config_static_selectorELNS0_4arch9wavefront6targetE1EEEvT1_,"axG",@progbits,_ZN7rocprim17ROCPRIM_400000_NS6detail17trampoline_kernelINS0_14default_configENS1_27scan_by_key_config_selectorIiiEEZZNS1_16scan_by_key_implILNS1_25lookback_scan_determinismE0ELb0ES3_PKiN6hipcub16HIPCUB_304000_NS21ConstantInputIteratorIilEEPiiNSB_3SumENSB_8EqualityEiEE10hipError_tPvRmT2_T3_T4_T5_mT6_T7_P12ihipStream_tbENKUlT_T0_E_clISt17integral_constantIbLb1EESX_EEDaSS_ST_EUlSS_E_NS1_11comp_targetILNS1_3genE2ELNS1_11target_archE906ELNS1_3gpuE6ELNS1_3repE0EEENS1_30default_config_static_selectorELNS0_4arch9wavefront6targetE1EEEvT1_,comdat
.Lfunc_end26:
	.size	_ZN7rocprim17ROCPRIM_400000_NS6detail17trampoline_kernelINS0_14default_configENS1_27scan_by_key_config_selectorIiiEEZZNS1_16scan_by_key_implILNS1_25lookback_scan_determinismE0ELb0ES3_PKiN6hipcub16HIPCUB_304000_NS21ConstantInputIteratorIilEEPiiNSB_3SumENSB_8EqualityEiEE10hipError_tPvRmT2_T3_T4_T5_mT6_T7_P12ihipStream_tbENKUlT_T0_E_clISt17integral_constantIbLb1EESX_EEDaSS_ST_EUlSS_E_NS1_11comp_targetILNS1_3genE2ELNS1_11target_archE906ELNS1_3gpuE6ELNS1_3repE0EEENS1_30default_config_static_selectorELNS0_4arch9wavefront6targetE1EEEvT1_, .Lfunc_end26-_ZN7rocprim17ROCPRIM_400000_NS6detail17trampoline_kernelINS0_14default_configENS1_27scan_by_key_config_selectorIiiEEZZNS1_16scan_by_key_implILNS1_25lookback_scan_determinismE0ELb0ES3_PKiN6hipcub16HIPCUB_304000_NS21ConstantInputIteratorIilEEPiiNSB_3SumENSB_8EqualityEiEE10hipError_tPvRmT2_T3_T4_T5_mT6_T7_P12ihipStream_tbENKUlT_T0_E_clISt17integral_constantIbLb1EESX_EEDaSS_ST_EUlSS_E_NS1_11comp_targetILNS1_3genE2ELNS1_11target_archE906ELNS1_3gpuE6ELNS1_3repE0EEENS1_30default_config_static_selectorELNS0_4arch9wavefront6targetE1EEEvT1_
                                        ; -- End function
	.set _ZN7rocprim17ROCPRIM_400000_NS6detail17trampoline_kernelINS0_14default_configENS1_27scan_by_key_config_selectorIiiEEZZNS1_16scan_by_key_implILNS1_25lookback_scan_determinismE0ELb0ES3_PKiN6hipcub16HIPCUB_304000_NS21ConstantInputIteratorIilEEPiiNSB_3SumENSB_8EqualityEiEE10hipError_tPvRmT2_T3_T4_T5_mT6_T7_P12ihipStream_tbENKUlT_T0_E_clISt17integral_constantIbLb1EESX_EEDaSS_ST_EUlSS_E_NS1_11comp_targetILNS1_3genE2ELNS1_11target_archE906ELNS1_3gpuE6ELNS1_3repE0EEENS1_30default_config_static_selectorELNS0_4arch9wavefront6targetE1EEEvT1_.num_vgpr, 0
	.set _ZN7rocprim17ROCPRIM_400000_NS6detail17trampoline_kernelINS0_14default_configENS1_27scan_by_key_config_selectorIiiEEZZNS1_16scan_by_key_implILNS1_25lookback_scan_determinismE0ELb0ES3_PKiN6hipcub16HIPCUB_304000_NS21ConstantInputIteratorIilEEPiiNSB_3SumENSB_8EqualityEiEE10hipError_tPvRmT2_T3_T4_T5_mT6_T7_P12ihipStream_tbENKUlT_T0_E_clISt17integral_constantIbLb1EESX_EEDaSS_ST_EUlSS_E_NS1_11comp_targetILNS1_3genE2ELNS1_11target_archE906ELNS1_3gpuE6ELNS1_3repE0EEENS1_30default_config_static_selectorELNS0_4arch9wavefront6targetE1EEEvT1_.num_agpr, 0
	.set _ZN7rocprim17ROCPRIM_400000_NS6detail17trampoline_kernelINS0_14default_configENS1_27scan_by_key_config_selectorIiiEEZZNS1_16scan_by_key_implILNS1_25lookback_scan_determinismE0ELb0ES3_PKiN6hipcub16HIPCUB_304000_NS21ConstantInputIteratorIilEEPiiNSB_3SumENSB_8EqualityEiEE10hipError_tPvRmT2_T3_T4_T5_mT6_T7_P12ihipStream_tbENKUlT_T0_E_clISt17integral_constantIbLb1EESX_EEDaSS_ST_EUlSS_E_NS1_11comp_targetILNS1_3genE2ELNS1_11target_archE906ELNS1_3gpuE6ELNS1_3repE0EEENS1_30default_config_static_selectorELNS0_4arch9wavefront6targetE1EEEvT1_.numbered_sgpr, 0
	.set _ZN7rocprim17ROCPRIM_400000_NS6detail17trampoline_kernelINS0_14default_configENS1_27scan_by_key_config_selectorIiiEEZZNS1_16scan_by_key_implILNS1_25lookback_scan_determinismE0ELb0ES3_PKiN6hipcub16HIPCUB_304000_NS21ConstantInputIteratorIilEEPiiNSB_3SumENSB_8EqualityEiEE10hipError_tPvRmT2_T3_T4_T5_mT6_T7_P12ihipStream_tbENKUlT_T0_E_clISt17integral_constantIbLb1EESX_EEDaSS_ST_EUlSS_E_NS1_11comp_targetILNS1_3genE2ELNS1_11target_archE906ELNS1_3gpuE6ELNS1_3repE0EEENS1_30default_config_static_selectorELNS0_4arch9wavefront6targetE1EEEvT1_.num_named_barrier, 0
	.set _ZN7rocprim17ROCPRIM_400000_NS6detail17trampoline_kernelINS0_14default_configENS1_27scan_by_key_config_selectorIiiEEZZNS1_16scan_by_key_implILNS1_25lookback_scan_determinismE0ELb0ES3_PKiN6hipcub16HIPCUB_304000_NS21ConstantInputIteratorIilEEPiiNSB_3SumENSB_8EqualityEiEE10hipError_tPvRmT2_T3_T4_T5_mT6_T7_P12ihipStream_tbENKUlT_T0_E_clISt17integral_constantIbLb1EESX_EEDaSS_ST_EUlSS_E_NS1_11comp_targetILNS1_3genE2ELNS1_11target_archE906ELNS1_3gpuE6ELNS1_3repE0EEENS1_30default_config_static_selectorELNS0_4arch9wavefront6targetE1EEEvT1_.private_seg_size, 0
	.set _ZN7rocprim17ROCPRIM_400000_NS6detail17trampoline_kernelINS0_14default_configENS1_27scan_by_key_config_selectorIiiEEZZNS1_16scan_by_key_implILNS1_25lookback_scan_determinismE0ELb0ES3_PKiN6hipcub16HIPCUB_304000_NS21ConstantInputIteratorIilEEPiiNSB_3SumENSB_8EqualityEiEE10hipError_tPvRmT2_T3_T4_T5_mT6_T7_P12ihipStream_tbENKUlT_T0_E_clISt17integral_constantIbLb1EESX_EEDaSS_ST_EUlSS_E_NS1_11comp_targetILNS1_3genE2ELNS1_11target_archE906ELNS1_3gpuE6ELNS1_3repE0EEENS1_30default_config_static_selectorELNS0_4arch9wavefront6targetE1EEEvT1_.uses_vcc, 0
	.set _ZN7rocprim17ROCPRIM_400000_NS6detail17trampoline_kernelINS0_14default_configENS1_27scan_by_key_config_selectorIiiEEZZNS1_16scan_by_key_implILNS1_25lookback_scan_determinismE0ELb0ES3_PKiN6hipcub16HIPCUB_304000_NS21ConstantInputIteratorIilEEPiiNSB_3SumENSB_8EqualityEiEE10hipError_tPvRmT2_T3_T4_T5_mT6_T7_P12ihipStream_tbENKUlT_T0_E_clISt17integral_constantIbLb1EESX_EEDaSS_ST_EUlSS_E_NS1_11comp_targetILNS1_3genE2ELNS1_11target_archE906ELNS1_3gpuE6ELNS1_3repE0EEENS1_30default_config_static_selectorELNS0_4arch9wavefront6targetE1EEEvT1_.uses_flat_scratch, 0
	.set _ZN7rocprim17ROCPRIM_400000_NS6detail17trampoline_kernelINS0_14default_configENS1_27scan_by_key_config_selectorIiiEEZZNS1_16scan_by_key_implILNS1_25lookback_scan_determinismE0ELb0ES3_PKiN6hipcub16HIPCUB_304000_NS21ConstantInputIteratorIilEEPiiNSB_3SumENSB_8EqualityEiEE10hipError_tPvRmT2_T3_T4_T5_mT6_T7_P12ihipStream_tbENKUlT_T0_E_clISt17integral_constantIbLb1EESX_EEDaSS_ST_EUlSS_E_NS1_11comp_targetILNS1_3genE2ELNS1_11target_archE906ELNS1_3gpuE6ELNS1_3repE0EEENS1_30default_config_static_selectorELNS0_4arch9wavefront6targetE1EEEvT1_.has_dyn_sized_stack, 0
	.set _ZN7rocprim17ROCPRIM_400000_NS6detail17trampoline_kernelINS0_14default_configENS1_27scan_by_key_config_selectorIiiEEZZNS1_16scan_by_key_implILNS1_25lookback_scan_determinismE0ELb0ES3_PKiN6hipcub16HIPCUB_304000_NS21ConstantInputIteratorIilEEPiiNSB_3SumENSB_8EqualityEiEE10hipError_tPvRmT2_T3_T4_T5_mT6_T7_P12ihipStream_tbENKUlT_T0_E_clISt17integral_constantIbLb1EESX_EEDaSS_ST_EUlSS_E_NS1_11comp_targetILNS1_3genE2ELNS1_11target_archE906ELNS1_3gpuE6ELNS1_3repE0EEENS1_30default_config_static_selectorELNS0_4arch9wavefront6targetE1EEEvT1_.has_recursion, 0
	.set _ZN7rocprim17ROCPRIM_400000_NS6detail17trampoline_kernelINS0_14default_configENS1_27scan_by_key_config_selectorIiiEEZZNS1_16scan_by_key_implILNS1_25lookback_scan_determinismE0ELb0ES3_PKiN6hipcub16HIPCUB_304000_NS21ConstantInputIteratorIilEEPiiNSB_3SumENSB_8EqualityEiEE10hipError_tPvRmT2_T3_T4_T5_mT6_T7_P12ihipStream_tbENKUlT_T0_E_clISt17integral_constantIbLb1EESX_EEDaSS_ST_EUlSS_E_NS1_11comp_targetILNS1_3genE2ELNS1_11target_archE906ELNS1_3gpuE6ELNS1_3repE0EEENS1_30default_config_static_selectorELNS0_4arch9wavefront6targetE1EEEvT1_.has_indirect_call, 0
	.section	.AMDGPU.csdata,"",@progbits
; Kernel info:
; codeLenInByte = 0
; TotalNumSgprs: 6
; NumVgprs: 0
; NumAgprs: 0
; TotalNumVgprs: 0
; ScratchSize: 0
; MemoryBound: 0
; FloatMode: 240
; IeeeMode: 1
; LDSByteSize: 0 bytes/workgroup (compile time only)
; SGPRBlocks: 0
; VGPRBlocks: 0
; NumSGPRsForWavesPerEU: 6
; NumVGPRsForWavesPerEU: 1
; AccumOffset: 4
; Occupancy: 8
; WaveLimiterHint : 0
; COMPUTE_PGM_RSRC2:SCRATCH_EN: 0
; COMPUTE_PGM_RSRC2:USER_SGPR: 2
; COMPUTE_PGM_RSRC2:TRAP_HANDLER: 0
; COMPUTE_PGM_RSRC2:TGID_X_EN: 1
; COMPUTE_PGM_RSRC2:TGID_Y_EN: 0
; COMPUTE_PGM_RSRC2:TGID_Z_EN: 0
; COMPUTE_PGM_RSRC2:TIDIG_COMP_CNT: 0
; COMPUTE_PGM_RSRC3_GFX90A:ACCUM_OFFSET: 0
; COMPUTE_PGM_RSRC3_GFX90A:TG_SPLIT: 0
	.section	.text._ZN7rocprim17ROCPRIM_400000_NS6detail17trampoline_kernelINS0_14default_configENS1_27scan_by_key_config_selectorIiiEEZZNS1_16scan_by_key_implILNS1_25lookback_scan_determinismE0ELb0ES3_PKiN6hipcub16HIPCUB_304000_NS21ConstantInputIteratorIilEEPiiNSB_3SumENSB_8EqualityEiEE10hipError_tPvRmT2_T3_T4_T5_mT6_T7_P12ihipStream_tbENKUlT_T0_E_clISt17integral_constantIbLb1EESX_EEDaSS_ST_EUlSS_E_NS1_11comp_targetILNS1_3genE10ELNS1_11target_archE1200ELNS1_3gpuE4ELNS1_3repE0EEENS1_30default_config_static_selectorELNS0_4arch9wavefront6targetE1EEEvT1_,"axG",@progbits,_ZN7rocprim17ROCPRIM_400000_NS6detail17trampoline_kernelINS0_14default_configENS1_27scan_by_key_config_selectorIiiEEZZNS1_16scan_by_key_implILNS1_25lookback_scan_determinismE0ELb0ES3_PKiN6hipcub16HIPCUB_304000_NS21ConstantInputIteratorIilEEPiiNSB_3SumENSB_8EqualityEiEE10hipError_tPvRmT2_T3_T4_T5_mT6_T7_P12ihipStream_tbENKUlT_T0_E_clISt17integral_constantIbLb1EESX_EEDaSS_ST_EUlSS_E_NS1_11comp_targetILNS1_3genE10ELNS1_11target_archE1200ELNS1_3gpuE4ELNS1_3repE0EEENS1_30default_config_static_selectorELNS0_4arch9wavefront6targetE1EEEvT1_,comdat
	.protected	_ZN7rocprim17ROCPRIM_400000_NS6detail17trampoline_kernelINS0_14default_configENS1_27scan_by_key_config_selectorIiiEEZZNS1_16scan_by_key_implILNS1_25lookback_scan_determinismE0ELb0ES3_PKiN6hipcub16HIPCUB_304000_NS21ConstantInputIteratorIilEEPiiNSB_3SumENSB_8EqualityEiEE10hipError_tPvRmT2_T3_T4_T5_mT6_T7_P12ihipStream_tbENKUlT_T0_E_clISt17integral_constantIbLb1EESX_EEDaSS_ST_EUlSS_E_NS1_11comp_targetILNS1_3genE10ELNS1_11target_archE1200ELNS1_3gpuE4ELNS1_3repE0EEENS1_30default_config_static_selectorELNS0_4arch9wavefront6targetE1EEEvT1_ ; -- Begin function _ZN7rocprim17ROCPRIM_400000_NS6detail17trampoline_kernelINS0_14default_configENS1_27scan_by_key_config_selectorIiiEEZZNS1_16scan_by_key_implILNS1_25lookback_scan_determinismE0ELb0ES3_PKiN6hipcub16HIPCUB_304000_NS21ConstantInputIteratorIilEEPiiNSB_3SumENSB_8EqualityEiEE10hipError_tPvRmT2_T3_T4_T5_mT6_T7_P12ihipStream_tbENKUlT_T0_E_clISt17integral_constantIbLb1EESX_EEDaSS_ST_EUlSS_E_NS1_11comp_targetILNS1_3genE10ELNS1_11target_archE1200ELNS1_3gpuE4ELNS1_3repE0EEENS1_30default_config_static_selectorELNS0_4arch9wavefront6targetE1EEEvT1_
	.globl	_ZN7rocprim17ROCPRIM_400000_NS6detail17trampoline_kernelINS0_14default_configENS1_27scan_by_key_config_selectorIiiEEZZNS1_16scan_by_key_implILNS1_25lookback_scan_determinismE0ELb0ES3_PKiN6hipcub16HIPCUB_304000_NS21ConstantInputIteratorIilEEPiiNSB_3SumENSB_8EqualityEiEE10hipError_tPvRmT2_T3_T4_T5_mT6_T7_P12ihipStream_tbENKUlT_T0_E_clISt17integral_constantIbLb1EESX_EEDaSS_ST_EUlSS_E_NS1_11comp_targetILNS1_3genE10ELNS1_11target_archE1200ELNS1_3gpuE4ELNS1_3repE0EEENS1_30default_config_static_selectorELNS0_4arch9wavefront6targetE1EEEvT1_
	.p2align	8
	.type	_ZN7rocprim17ROCPRIM_400000_NS6detail17trampoline_kernelINS0_14default_configENS1_27scan_by_key_config_selectorIiiEEZZNS1_16scan_by_key_implILNS1_25lookback_scan_determinismE0ELb0ES3_PKiN6hipcub16HIPCUB_304000_NS21ConstantInputIteratorIilEEPiiNSB_3SumENSB_8EqualityEiEE10hipError_tPvRmT2_T3_T4_T5_mT6_T7_P12ihipStream_tbENKUlT_T0_E_clISt17integral_constantIbLb1EESX_EEDaSS_ST_EUlSS_E_NS1_11comp_targetILNS1_3genE10ELNS1_11target_archE1200ELNS1_3gpuE4ELNS1_3repE0EEENS1_30default_config_static_selectorELNS0_4arch9wavefront6targetE1EEEvT1_,@function
_ZN7rocprim17ROCPRIM_400000_NS6detail17trampoline_kernelINS0_14default_configENS1_27scan_by_key_config_selectorIiiEEZZNS1_16scan_by_key_implILNS1_25lookback_scan_determinismE0ELb0ES3_PKiN6hipcub16HIPCUB_304000_NS21ConstantInputIteratorIilEEPiiNSB_3SumENSB_8EqualityEiEE10hipError_tPvRmT2_T3_T4_T5_mT6_T7_P12ihipStream_tbENKUlT_T0_E_clISt17integral_constantIbLb1EESX_EEDaSS_ST_EUlSS_E_NS1_11comp_targetILNS1_3genE10ELNS1_11target_archE1200ELNS1_3gpuE4ELNS1_3repE0EEENS1_30default_config_static_selectorELNS0_4arch9wavefront6targetE1EEEvT1_: ; @_ZN7rocprim17ROCPRIM_400000_NS6detail17trampoline_kernelINS0_14default_configENS1_27scan_by_key_config_selectorIiiEEZZNS1_16scan_by_key_implILNS1_25lookback_scan_determinismE0ELb0ES3_PKiN6hipcub16HIPCUB_304000_NS21ConstantInputIteratorIilEEPiiNSB_3SumENSB_8EqualityEiEE10hipError_tPvRmT2_T3_T4_T5_mT6_T7_P12ihipStream_tbENKUlT_T0_E_clISt17integral_constantIbLb1EESX_EEDaSS_ST_EUlSS_E_NS1_11comp_targetILNS1_3genE10ELNS1_11target_archE1200ELNS1_3gpuE4ELNS1_3repE0EEENS1_30default_config_static_selectorELNS0_4arch9wavefront6targetE1EEEvT1_
; %bb.0:
	.section	.rodata,"a",@progbits
	.p2align	6, 0x0
	.amdhsa_kernel _ZN7rocprim17ROCPRIM_400000_NS6detail17trampoline_kernelINS0_14default_configENS1_27scan_by_key_config_selectorIiiEEZZNS1_16scan_by_key_implILNS1_25lookback_scan_determinismE0ELb0ES3_PKiN6hipcub16HIPCUB_304000_NS21ConstantInputIteratorIilEEPiiNSB_3SumENSB_8EqualityEiEE10hipError_tPvRmT2_T3_T4_T5_mT6_T7_P12ihipStream_tbENKUlT_T0_E_clISt17integral_constantIbLb1EESX_EEDaSS_ST_EUlSS_E_NS1_11comp_targetILNS1_3genE10ELNS1_11target_archE1200ELNS1_3gpuE4ELNS1_3repE0EEENS1_30default_config_static_selectorELNS0_4arch9wavefront6targetE1EEEvT1_
		.amdhsa_group_segment_fixed_size 0
		.amdhsa_private_segment_fixed_size 0
		.amdhsa_kernarg_size 120
		.amdhsa_user_sgpr_count 2
		.amdhsa_user_sgpr_dispatch_ptr 0
		.amdhsa_user_sgpr_queue_ptr 0
		.amdhsa_user_sgpr_kernarg_segment_ptr 1
		.amdhsa_user_sgpr_dispatch_id 0
		.amdhsa_user_sgpr_kernarg_preload_length 0
		.amdhsa_user_sgpr_kernarg_preload_offset 0
		.amdhsa_user_sgpr_private_segment_size 0
		.amdhsa_uses_dynamic_stack 0
		.amdhsa_enable_private_segment 0
		.amdhsa_system_sgpr_workgroup_id_x 1
		.amdhsa_system_sgpr_workgroup_id_y 0
		.amdhsa_system_sgpr_workgroup_id_z 0
		.amdhsa_system_sgpr_workgroup_info 0
		.amdhsa_system_vgpr_workitem_id 0
		.amdhsa_next_free_vgpr 1
		.amdhsa_next_free_sgpr 0
		.amdhsa_accum_offset 4
		.amdhsa_reserve_vcc 0
		.amdhsa_float_round_mode_32 0
		.amdhsa_float_round_mode_16_64 0
		.amdhsa_float_denorm_mode_32 3
		.amdhsa_float_denorm_mode_16_64 3
		.amdhsa_dx10_clamp 1
		.amdhsa_ieee_mode 1
		.amdhsa_fp16_overflow 0
		.amdhsa_tg_split 0
		.amdhsa_exception_fp_ieee_invalid_op 0
		.amdhsa_exception_fp_denorm_src 0
		.amdhsa_exception_fp_ieee_div_zero 0
		.amdhsa_exception_fp_ieee_overflow 0
		.amdhsa_exception_fp_ieee_underflow 0
		.amdhsa_exception_fp_ieee_inexact 0
		.amdhsa_exception_int_div_zero 0
	.end_amdhsa_kernel
	.section	.text._ZN7rocprim17ROCPRIM_400000_NS6detail17trampoline_kernelINS0_14default_configENS1_27scan_by_key_config_selectorIiiEEZZNS1_16scan_by_key_implILNS1_25lookback_scan_determinismE0ELb0ES3_PKiN6hipcub16HIPCUB_304000_NS21ConstantInputIteratorIilEEPiiNSB_3SumENSB_8EqualityEiEE10hipError_tPvRmT2_T3_T4_T5_mT6_T7_P12ihipStream_tbENKUlT_T0_E_clISt17integral_constantIbLb1EESX_EEDaSS_ST_EUlSS_E_NS1_11comp_targetILNS1_3genE10ELNS1_11target_archE1200ELNS1_3gpuE4ELNS1_3repE0EEENS1_30default_config_static_selectorELNS0_4arch9wavefront6targetE1EEEvT1_,"axG",@progbits,_ZN7rocprim17ROCPRIM_400000_NS6detail17trampoline_kernelINS0_14default_configENS1_27scan_by_key_config_selectorIiiEEZZNS1_16scan_by_key_implILNS1_25lookback_scan_determinismE0ELb0ES3_PKiN6hipcub16HIPCUB_304000_NS21ConstantInputIteratorIilEEPiiNSB_3SumENSB_8EqualityEiEE10hipError_tPvRmT2_T3_T4_T5_mT6_T7_P12ihipStream_tbENKUlT_T0_E_clISt17integral_constantIbLb1EESX_EEDaSS_ST_EUlSS_E_NS1_11comp_targetILNS1_3genE10ELNS1_11target_archE1200ELNS1_3gpuE4ELNS1_3repE0EEENS1_30default_config_static_selectorELNS0_4arch9wavefront6targetE1EEEvT1_,comdat
.Lfunc_end27:
	.size	_ZN7rocprim17ROCPRIM_400000_NS6detail17trampoline_kernelINS0_14default_configENS1_27scan_by_key_config_selectorIiiEEZZNS1_16scan_by_key_implILNS1_25lookback_scan_determinismE0ELb0ES3_PKiN6hipcub16HIPCUB_304000_NS21ConstantInputIteratorIilEEPiiNSB_3SumENSB_8EqualityEiEE10hipError_tPvRmT2_T3_T4_T5_mT6_T7_P12ihipStream_tbENKUlT_T0_E_clISt17integral_constantIbLb1EESX_EEDaSS_ST_EUlSS_E_NS1_11comp_targetILNS1_3genE10ELNS1_11target_archE1200ELNS1_3gpuE4ELNS1_3repE0EEENS1_30default_config_static_selectorELNS0_4arch9wavefront6targetE1EEEvT1_, .Lfunc_end27-_ZN7rocprim17ROCPRIM_400000_NS6detail17trampoline_kernelINS0_14default_configENS1_27scan_by_key_config_selectorIiiEEZZNS1_16scan_by_key_implILNS1_25lookback_scan_determinismE0ELb0ES3_PKiN6hipcub16HIPCUB_304000_NS21ConstantInputIteratorIilEEPiiNSB_3SumENSB_8EqualityEiEE10hipError_tPvRmT2_T3_T4_T5_mT6_T7_P12ihipStream_tbENKUlT_T0_E_clISt17integral_constantIbLb1EESX_EEDaSS_ST_EUlSS_E_NS1_11comp_targetILNS1_3genE10ELNS1_11target_archE1200ELNS1_3gpuE4ELNS1_3repE0EEENS1_30default_config_static_selectorELNS0_4arch9wavefront6targetE1EEEvT1_
                                        ; -- End function
	.set _ZN7rocprim17ROCPRIM_400000_NS6detail17trampoline_kernelINS0_14default_configENS1_27scan_by_key_config_selectorIiiEEZZNS1_16scan_by_key_implILNS1_25lookback_scan_determinismE0ELb0ES3_PKiN6hipcub16HIPCUB_304000_NS21ConstantInputIteratorIilEEPiiNSB_3SumENSB_8EqualityEiEE10hipError_tPvRmT2_T3_T4_T5_mT6_T7_P12ihipStream_tbENKUlT_T0_E_clISt17integral_constantIbLb1EESX_EEDaSS_ST_EUlSS_E_NS1_11comp_targetILNS1_3genE10ELNS1_11target_archE1200ELNS1_3gpuE4ELNS1_3repE0EEENS1_30default_config_static_selectorELNS0_4arch9wavefront6targetE1EEEvT1_.num_vgpr, 0
	.set _ZN7rocprim17ROCPRIM_400000_NS6detail17trampoline_kernelINS0_14default_configENS1_27scan_by_key_config_selectorIiiEEZZNS1_16scan_by_key_implILNS1_25lookback_scan_determinismE0ELb0ES3_PKiN6hipcub16HIPCUB_304000_NS21ConstantInputIteratorIilEEPiiNSB_3SumENSB_8EqualityEiEE10hipError_tPvRmT2_T3_T4_T5_mT6_T7_P12ihipStream_tbENKUlT_T0_E_clISt17integral_constantIbLb1EESX_EEDaSS_ST_EUlSS_E_NS1_11comp_targetILNS1_3genE10ELNS1_11target_archE1200ELNS1_3gpuE4ELNS1_3repE0EEENS1_30default_config_static_selectorELNS0_4arch9wavefront6targetE1EEEvT1_.num_agpr, 0
	.set _ZN7rocprim17ROCPRIM_400000_NS6detail17trampoline_kernelINS0_14default_configENS1_27scan_by_key_config_selectorIiiEEZZNS1_16scan_by_key_implILNS1_25lookback_scan_determinismE0ELb0ES3_PKiN6hipcub16HIPCUB_304000_NS21ConstantInputIteratorIilEEPiiNSB_3SumENSB_8EqualityEiEE10hipError_tPvRmT2_T3_T4_T5_mT6_T7_P12ihipStream_tbENKUlT_T0_E_clISt17integral_constantIbLb1EESX_EEDaSS_ST_EUlSS_E_NS1_11comp_targetILNS1_3genE10ELNS1_11target_archE1200ELNS1_3gpuE4ELNS1_3repE0EEENS1_30default_config_static_selectorELNS0_4arch9wavefront6targetE1EEEvT1_.numbered_sgpr, 0
	.set _ZN7rocprim17ROCPRIM_400000_NS6detail17trampoline_kernelINS0_14default_configENS1_27scan_by_key_config_selectorIiiEEZZNS1_16scan_by_key_implILNS1_25lookback_scan_determinismE0ELb0ES3_PKiN6hipcub16HIPCUB_304000_NS21ConstantInputIteratorIilEEPiiNSB_3SumENSB_8EqualityEiEE10hipError_tPvRmT2_T3_T4_T5_mT6_T7_P12ihipStream_tbENKUlT_T0_E_clISt17integral_constantIbLb1EESX_EEDaSS_ST_EUlSS_E_NS1_11comp_targetILNS1_3genE10ELNS1_11target_archE1200ELNS1_3gpuE4ELNS1_3repE0EEENS1_30default_config_static_selectorELNS0_4arch9wavefront6targetE1EEEvT1_.num_named_barrier, 0
	.set _ZN7rocprim17ROCPRIM_400000_NS6detail17trampoline_kernelINS0_14default_configENS1_27scan_by_key_config_selectorIiiEEZZNS1_16scan_by_key_implILNS1_25lookback_scan_determinismE0ELb0ES3_PKiN6hipcub16HIPCUB_304000_NS21ConstantInputIteratorIilEEPiiNSB_3SumENSB_8EqualityEiEE10hipError_tPvRmT2_T3_T4_T5_mT6_T7_P12ihipStream_tbENKUlT_T0_E_clISt17integral_constantIbLb1EESX_EEDaSS_ST_EUlSS_E_NS1_11comp_targetILNS1_3genE10ELNS1_11target_archE1200ELNS1_3gpuE4ELNS1_3repE0EEENS1_30default_config_static_selectorELNS0_4arch9wavefront6targetE1EEEvT1_.private_seg_size, 0
	.set _ZN7rocprim17ROCPRIM_400000_NS6detail17trampoline_kernelINS0_14default_configENS1_27scan_by_key_config_selectorIiiEEZZNS1_16scan_by_key_implILNS1_25lookback_scan_determinismE0ELb0ES3_PKiN6hipcub16HIPCUB_304000_NS21ConstantInputIteratorIilEEPiiNSB_3SumENSB_8EqualityEiEE10hipError_tPvRmT2_T3_T4_T5_mT6_T7_P12ihipStream_tbENKUlT_T0_E_clISt17integral_constantIbLb1EESX_EEDaSS_ST_EUlSS_E_NS1_11comp_targetILNS1_3genE10ELNS1_11target_archE1200ELNS1_3gpuE4ELNS1_3repE0EEENS1_30default_config_static_selectorELNS0_4arch9wavefront6targetE1EEEvT1_.uses_vcc, 0
	.set _ZN7rocprim17ROCPRIM_400000_NS6detail17trampoline_kernelINS0_14default_configENS1_27scan_by_key_config_selectorIiiEEZZNS1_16scan_by_key_implILNS1_25lookback_scan_determinismE0ELb0ES3_PKiN6hipcub16HIPCUB_304000_NS21ConstantInputIteratorIilEEPiiNSB_3SumENSB_8EqualityEiEE10hipError_tPvRmT2_T3_T4_T5_mT6_T7_P12ihipStream_tbENKUlT_T0_E_clISt17integral_constantIbLb1EESX_EEDaSS_ST_EUlSS_E_NS1_11comp_targetILNS1_3genE10ELNS1_11target_archE1200ELNS1_3gpuE4ELNS1_3repE0EEENS1_30default_config_static_selectorELNS0_4arch9wavefront6targetE1EEEvT1_.uses_flat_scratch, 0
	.set _ZN7rocprim17ROCPRIM_400000_NS6detail17trampoline_kernelINS0_14default_configENS1_27scan_by_key_config_selectorIiiEEZZNS1_16scan_by_key_implILNS1_25lookback_scan_determinismE0ELb0ES3_PKiN6hipcub16HIPCUB_304000_NS21ConstantInputIteratorIilEEPiiNSB_3SumENSB_8EqualityEiEE10hipError_tPvRmT2_T3_T4_T5_mT6_T7_P12ihipStream_tbENKUlT_T0_E_clISt17integral_constantIbLb1EESX_EEDaSS_ST_EUlSS_E_NS1_11comp_targetILNS1_3genE10ELNS1_11target_archE1200ELNS1_3gpuE4ELNS1_3repE0EEENS1_30default_config_static_selectorELNS0_4arch9wavefront6targetE1EEEvT1_.has_dyn_sized_stack, 0
	.set _ZN7rocprim17ROCPRIM_400000_NS6detail17trampoline_kernelINS0_14default_configENS1_27scan_by_key_config_selectorIiiEEZZNS1_16scan_by_key_implILNS1_25lookback_scan_determinismE0ELb0ES3_PKiN6hipcub16HIPCUB_304000_NS21ConstantInputIteratorIilEEPiiNSB_3SumENSB_8EqualityEiEE10hipError_tPvRmT2_T3_T4_T5_mT6_T7_P12ihipStream_tbENKUlT_T0_E_clISt17integral_constantIbLb1EESX_EEDaSS_ST_EUlSS_E_NS1_11comp_targetILNS1_3genE10ELNS1_11target_archE1200ELNS1_3gpuE4ELNS1_3repE0EEENS1_30default_config_static_selectorELNS0_4arch9wavefront6targetE1EEEvT1_.has_recursion, 0
	.set _ZN7rocprim17ROCPRIM_400000_NS6detail17trampoline_kernelINS0_14default_configENS1_27scan_by_key_config_selectorIiiEEZZNS1_16scan_by_key_implILNS1_25lookback_scan_determinismE0ELb0ES3_PKiN6hipcub16HIPCUB_304000_NS21ConstantInputIteratorIilEEPiiNSB_3SumENSB_8EqualityEiEE10hipError_tPvRmT2_T3_T4_T5_mT6_T7_P12ihipStream_tbENKUlT_T0_E_clISt17integral_constantIbLb1EESX_EEDaSS_ST_EUlSS_E_NS1_11comp_targetILNS1_3genE10ELNS1_11target_archE1200ELNS1_3gpuE4ELNS1_3repE0EEENS1_30default_config_static_selectorELNS0_4arch9wavefront6targetE1EEEvT1_.has_indirect_call, 0
	.section	.AMDGPU.csdata,"",@progbits
; Kernel info:
; codeLenInByte = 0
; TotalNumSgprs: 6
; NumVgprs: 0
; NumAgprs: 0
; TotalNumVgprs: 0
; ScratchSize: 0
; MemoryBound: 0
; FloatMode: 240
; IeeeMode: 1
; LDSByteSize: 0 bytes/workgroup (compile time only)
; SGPRBlocks: 0
; VGPRBlocks: 0
; NumSGPRsForWavesPerEU: 6
; NumVGPRsForWavesPerEU: 1
; AccumOffset: 4
; Occupancy: 8
; WaveLimiterHint : 0
; COMPUTE_PGM_RSRC2:SCRATCH_EN: 0
; COMPUTE_PGM_RSRC2:USER_SGPR: 2
; COMPUTE_PGM_RSRC2:TRAP_HANDLER: 0
; COMPUTE_PGM_RSRC2:TGID_X_EN: 1
; COMPUTE_PGM_RSRC2:TGID_Y_EN: 0
; COMPUTE_PGM_RSRC2:TGID_Z_EN: 0
; COMPUTE_PGM_RSRC2:TIDIG_COMP_CNT: 0
; COMPUTE_PGM_RSRC3_GFX90A:ACCUM_OFFSET: 0
; COMPUTE_PGM_RSRC3_GFX90A:TG_SPLIT: 0
	.section	.text._ZN7rocprim17ROCPRIM_400000_NS6detail17trampoline_kernelINS0_14default_configENS1_27scan_by_key_config_selectorIiiEEZZNS1_16scan_by_key_implILNS1_25lookback_scan_determinismE0ELb0ES3_PKiN6hipcub16HIPCUB_304000_NS21ConstantInputIteratorIilEEPiiNSB_3SumENSB_8EqualityEiEE10hipError_tPvRmT2_T3_T4_T5_mT6_T7_P12ihipStream_tbENKUlT_T0_E_clISt17integral_constantIbLb1EESX_EEDaSS_ST_EUlSS_E_NS1_11comp_targetILNS1_3genE9ELNS1_11target_archE1100ELNS1_3gpuE3ELNS1_3repE0EEENS1_30default_config_static_selectorELNS0_4arch9wavefront6targetE1EEEvT1_,"axG",@progbits,_ZN7rocprim17ROCPRIM_400000_NS6detail17trampoline_kernelINS0_14default_configENS1_27scan_by_key_config_selectorIiiEEZZNS1_16scan_by_key_implILNS1_25lookback_scan_determinismE0ELb0ES3_PKiN6hipcub16HIPCUB_304000_NS21ConstantInputIteratorIilEEPiiNSB_3SumENSB_8EqualityEiEE10hipError_tPvRmT2_T3_T4_T5_mT6_T7_P12ihipStream_tbENKUlT_T0_E_clISt17integral_constantIbLb1EESX_EEDaSS_ST_EUlSS_E_NS1_11comp_targetILNS1_3genE9ELNS1_11target_archE1100ELNS1_3gpuE3ELNS1_3repE0EEENS1_30default_config_static_selectorELNS0_4arch9wavefront6targetE1EEEvT1_,comdat
	.protected	_ZN7rocprim17ROCPRIM_400000_NS6detail17trampoline_kernelINS0_14default_configENS1_27scan_by_key_config_selectorIiiEEZZNS1_16scan_by_key_implILNS1_25lookback_scan_determinismE0ELb0ES3_PKiN6hipcub16HIPCUB_304000_NS21ConstantInputIteratorIilEEPiiNSB_3SumENSB_8EqualityEiEE10hipError_tPvRmT2_T3_T4_T5_mT6_T7_P12ihipStream_tbENKUlT_T0_E_clISt17integral_constantIbLb1EESX_EEDaSS_ST_EUlSS_E_NS1_11comp_targetILNS1_3genE9ELNS1_11target_archE1100ELNS1_3gpuE3ELNS1_3repE0EEENS1_30default_config_static_selectorELNS0_4arch9wavefront6targetE1EEEvT1_ ; -- Begin function _ZN7rocprim17ROCPRIM_400000_NS6detail17trampoline_kernelINS0_14default_configENS1_27scan_by_key_config_selectorIiiEEZZNS1_16scan_by_key_implILNS1_25lookback_scan_determinismE0ELb0ES3_PKiN6hipcub16HIPCUB_304000_NS21ConstantInputIteratorIilEEPiiNSB_3SumENSB_8EqualityEiEE10hipError_tPvRmT2_T3_T4_T5_mT6_T7_P12ihipStream_tbENKUlT_T0_E_clISt17integral_constantIbLb1EESX_EEDaSS_ST_EUlSS_E_NS1_11comp_targetILNS1_3genE9ELNS1_11target_archE1100ELNS1_3gpuE3ELNS1_3repE0EEENS1_30default_config_static_selectorELNS0_4arch9wavefront6targetE1EEEvT1_
	.globl	_ZN7rocprim17ROCPRIM_400000_NS6detail17trampoline_kernelINS0_14default_configENS1_27scan_by_key_config_selectorIiiEEZZNS1_16scan_by_key_implILNS1_25lookback_scan_determinismE0ELb0ES3_PKiN6hipcub16HIPCUB_304000_NS21ConstantInputIteratorIilEEPiiNSB_3SumENSB_8EqualityEiEE10hipError_tPvRmT2_T3_T4_T5_mT6_T7_P12ihipStream_tbENKUlT_T0_E_clISt17integral_constantIbLb1EESX_EEDaSS_ST_EUlSS_E_NS1_11comp_targetILNS1_3genE9ELNS1_11target_archE1100ELNS1_3gpuE3ELNS1_3repE0EEENS1_30default_config_static_selectorELNS0_4arch9wavefront6targetE1EEEvT1_
	.p2align	8
	.type	_ZN7rocprim17ROCPRIM_400000_NS6detail17trampoline_kernelINS0_14default_configENS1_27scan_by_key_config_selectorIiiEEZZNS1_16scan_by_key_implILNS1_25lookback_scan_determinismE0ELb0ES3_PKiN6hipcub16HIPCUB_304000_NS21ConstantInputIteratorIilEEPiiNSB_3SumENSB_8EqualityEiEE10hipError_tPvRmT2_T3_T4_T5_mT6_T7_P12ihipStream_tbENKUlT_T0_E_clISt17integral_constantIbLb1EESX_EEDaSS_ST_EUlSS_E_NS1_11comp_targetILNS1_3genE9ELNS1_11target_archE1100ELNS1_3gpuE3ELNS1_3repE0EEENS1_30default_config_static_selectorELNS0_4arch9wavefront6targetE1EEEvT1_,@function
_ZN7rocprim17ROCPRIM_400000_NS6detail17trampoline_kernelINS0_14default_configENS1_27scan_by_key_config_selectorIiiEEZZNS1_16scan_by_key_implILNS1_25lookback_scan_determinismE0ELb0ES3_PKiN6hipcub16HIPCUB_304000_NS21ConstantInputIteratorIilEEPiiNSB_3SumENSB_8EqualityEiEE10hipError_tPvRmT2_T3_T4_T5_mT6_T7_P12ihipStream_tbENKUlT_T0_E_clISt17integral_constantIbLb1EESX_EEDaSS_ST_EUlSS_E_NS1_11comp_targetILNS1_3genE9ELNS1_11target_archE1100ELNS1_3gpuE3ELNS1_3repE0EEENS1_30default_config_static_selectorELNS0_4arch9wavefront6targetE1EEEvT1_: ; @_ZN7rocprim17ROCPRIM_400000_NS6detail17trampoline_kernelINS0_14default_configENS1_27scan_by_key_config_selectorIiiEEZZNS1_16scan_by_key_implILNS1_25lookback_scan_determinismE0ELb0ES3_PKiN6hipcub16HIPCUB_304000_NS21ConstantInputIteratorIilEEPiiNSB_3SumENSB_8EqualityEiEE10hipError_tPvRmT2_T3_T4_T5_mT6_T7_P12ihipStream_tbENKUlT_T0_E_clISt17integral_constantIbLb1EESX_EEDaSS_ST_EUlSS_E_NS1_11comp_targetILNS1_3genE9ELNS1_11target_archE1100ELNS1_3gpuE3ELNS1_3repE0EEENS1_30default_config_static_selectorELNS0_4arch9wavefront6targetE1EEEvT1_
; %bb.0:
	.section	.rodata,"a",@progbits
	.p2align	6, 0x0
	.amdhsa_kernel _ZN7rocprim17ROCPRIM_400000_NS6detail17trampoline_kernelINS0_14default_configENS1_27scan_by_key_config_selectorIiiEEZZNS1_16scan_by_key_implILNS1_25lookback_scan_determinismE0ELb0ES3_PKiN6hipcub16HIPCUB_304000_NS21ConstantInputIteratorIilEEPiiNSB_3SumENSB_8EqualityEiEE10hipError_tPvRmT2_T3_T4_T5_mT6_T7_P12ihipStream_tbENKUlT_T0_E_clISt17integral_constantIbLb1EESX_EEDaSS_ST_EUlSS_E_NS1_11comp_targetILNS1_3genE9ELNS1_11target_archE1100ELNS1_3gpuE3ELNS1_3repE0EEENS1_30default_config_static_selectorELNS0_4arch9wavefront6targetE1EEEvT1_
		.amdhsa_group_segment_fixed_size 0
		.amdhsa_private_segment_fixed_size 0
		.amdhsa_kernarg_size 120
		.amdhsa_user_sgpr_count 2
		.amdhsa_user_sgpr_dispatch_ptr 0
		.amdhsa_user_sgpr_queue_ptr 0
		.amdhsa_user_sgpr_kernarg_segment_ptr 1
		.amdhsa_user_sgpr_dispatch_id 0
		.amdhsa_user_sgpr_kernarg_preload_length 0
		.amdhsa_user_sgpr_kernarg_preload_offset 0
		.amdhsa_user_sgpr_private_segment_size 0
		.amdhsa_uses_dynamic_stack 0
		.amdhsa_enable_private_segment 0
		.amdhsa_system_sgpr_workgroup_id_x 1
		.amdhsa_system_sgpr_workgroup_id_y 0
		.amdhsa_system_sgpr_workgroup_id_z 0
		.amdhsa_system_sgpr_workgroup_info 0
		.amdhsa_system_vgpr_workitem_id 0
		.amdhsa_next_free_vgpr 1
		.amdhsa_next_free_sgpr 0
		.amdhsa_accum_offset 4
		.amdhsa_reserve_vcc 0
		.amdhsa_float_round_mode_32 0
		.amdhsa_float_round_mode_16_64 0
		.amdhsa_float_denorm_mode_32 3
		.amdhsa_float_denorm_mode_16_64 3
		.amdhsa_dx10_clamp 1
		.amdhsa_ieee_mode 1
		.amdhsa_fp16_overflow 0
		.amdhsa_tg_split 0
		.amdhsa_exception_fp_ieee_invalid_op 0
		.amdhsa_exception_fp_denorm_src 0
		.amdhsa_exception_fp_ieee_div_zero 0
		.amdhsa_exception_fp_ieee_overflow 0
		.amdhsa_exception_fp_ieee_underflow 0
		.amdhsa_exception_fp_ieee_inexact 0
		.amdhsa_exception_int_div_zero 0
	.end_amdhsa_kernel
	.section	.text._ZN7rocprim17ROCPRIM_400000_NS6detail17trampoline_kernelINS0_14default_configENS1_27scan_by_key_config_selectorIiiEEZZNS1_16scan_by_key_implILNS1_25lookback_scan_determinismE0ELb0ES3_PKiN6hipcub16HIPCUB_304000_NS21ConstantInputIteratorIilEEPiiNSB_3SumENSB_8EqualityEiEE10hipError_tPvRmT2_T3_T4_T5_mT6_T7_P12ihipStream_tbENKUlT_T0_E_clISt17integral_constantIbLb1EESX_EEDaSS_ST_EUlSS_E_NS1_11comp_targetILNS1_3genE9ELNS1_11target_archE1100ELNS1_3gpuE3ELNS1_3repE0EEENS1_30default_config_static_selectorELNS0_4arch9wavefront6targetE1EEEvT1_,"axG",@progbits,_ZN7rocprim17ROCPRIM_400000_NS6detail17trampoline_kernelINS0_14default_configENS1_27scan_by_key_config_selectorIiiEEZZNS1_16scan_by_key_implILNS1_25lookback_scan_determinismE0ELb0ES3_PKiN6hipcub16HIPCUB_304000_NS21ConstantInputIteratorIilEEPiiNSB_3SumENSB_8EqualityEiEE10hipError_tPvRmT2_T3_T4_T5_mT6_T7_P12ihipStream_tbENKUlT_T0_E_clISt17integral_constantIbLb1EESX_EEDaSS_ST_EUlSS_E_NS1_11comp_targetILNS1_3genE9ELNS1_11target_archE1100ELNS1_3gpuE3ELNS1_3repE0EEENS1_30default_config_static_selectorELNS0_4arch9wavefront6targetE1EEEvT1_,comdat
.Lfunc_end28:
	.size	_ZN7rocprim17ROCPRIM_400000_NS6detail17trampoline_kernelINS0_14default_configENS1_27scan_by_key_config_selectorIiiEEZZNS1_16scan_by_key_implILNS1_25lookback_scan_determinismE0ELb0ES3_PKiN6hipcub16HIPCUB_304000_NS21ConstantInputIteratorIilEEPiiNSB_3SumENSB_8EqualityEiEE10hipError_tPvRmT2_T3_T4_T5_mT6_T7_P12ihipStream_tbENKUlT_T0_E_clISt17integral_constantIbLb1EESX_EEDaSS_ST_EUlSS_E_NS1_11comp_targetILNS1_3genE9ELNS1_11target_archE1100ELNS1_3gpuE3ELNS1_3repE0EEENS1_30default_config_static_selectorELNS0_4arch9wavefront6targetE1EEEvT1_, .Lfunc_end28-_ZN7rocprim17ROCPRIM_400000_NS6detail17trampoline_kernelINS0_14default_configENS1_27scan_by_key_config_selectorIiiEEZZNS1_16scan_by_key_implILNS1_25lookback_scan_determinismE0ELb0ES3_PKiN6hipcub16HIPCUB_304000_NS21ConstantInputIteratorIilEEPiiNSB_3SumENSB_8EqualityEiEE10hipError_tPvRmT2_T3_T4_T5_mT6_T7_P12ihipStream_tbENKUlT_T0_E_clISt17integral_constantIbLb1EESX_EEDaSS_ST_EUlSS_E_NS1_11comp_targetILNS1_3genE9ELNS1_11target_archE1100ELNS1_3gpuE3ELNS1_3repE0EEENS1_30default_config_static_selectorELNS0_4arch9wavefront6targetE1EEEvT1_
                                        ; -- End function
	.set _ZN7rocprim17ROCPRIM_400000_NS6detail17trampoline_kernelINS0_14default_configENS1_27scan_by_key_config_selectorIiiEEZZNS1_16scan_by_key_implILNS1_25lookback_scan_determinismE0ELb0ES3_PKiN6hipcub16HIPCUB_304000_NS21ConstantInputIteratorIilEEPiiNSB_3SumENSB_8EqualityEiEE10hipError_tPvRmT2_T3_T4_T5_mT6_T7_P12ihipStream_tbENKUlT_T0_E_clISt17integral_constantIbLb1EESX_EEDaSS_ST_EUlSS_E_NS1_11comp_targetILNS1_3genE9ELNS1_11target_archE1100ELNS1_3gpuE3ELNS1_3repE0EEENS1_30default_config_static_selectorELNS0_4arch9wavefront6targetE1EEEvT1_.num_vgpr, 0
	.set _ZN7rocprim17ROCPRIM_400000_NS6detail17trampoline_kernelINS0_14default_configENS1_27scan_by_key_config_selectorIiiEEZZNS1_16scan_by_key_implILNS1_25lookback_scan_determinismE0ELb0ES3_PKiN6hipcub16HIPCUB_304000_NS21ConstantInputIteratorIilEEPiiNSB_3SumENSB_8EqualityEiEE10hipError_tPvRmT2_T3_T4_T5_mT6_T7_P12ihipStream_tbENKUlT_T0_E_clISt17integral_constantIbLb1EESX_EEDaSS_ST_EUlSS_E_NS1_11comp_targetILNS1_3genE9ELNS1_11target_archE1100ELNS1_3gpuE3ELNS1_3repE0EEENS1_30default_config_static_selectorELNS0_4arch9wavefront6targetE1EEEvT1_.num_agpr, 0
	.set _ZN7rocprim17ROCPRIM_400000_NS6detail17trampoline_kernelINS0_14default_configENS1_27scan_by_key_config_selectorIiiEEZZNS1_16scan_by_key_implILNS1_25lookback_scan_determinismE0ELb0ES3_PKiN6hipcub16HIPCUB_304000_NS21ConstantInputIteratorIilEEPiiNSB_3SumENSB_8EqualityEiEE10hipError_tPvRmT2_T3_T4_T5_mT6_T7_P12ihipStream_tbENKUlT_T0_E_clISt17integral_constantIbLb1EESX_EEDaSS_ST_EUlSS_E_NS1_11comp_targetILNS1_3genE9ELNS1_11target_archE1100ELNS1_3gpuE3ELNS1_3repE0EEENS1_30default_config_static_selectorELNS0_4arch9wavefront6targetE1EEEvT1_.numbered_sgpr, 0
	.set _ZN7rocprim17ROCPRIM_400000_NS6detail17trampoline_kernelINS0_14default_configENS1_27scan_by_key_config_selectorIiiEEZZNS1_16scan_by_key_implILNS1_25lookback_scan_determinismE0ELb0ES3_PKiN6hipcub16HIPCUB_304000_NS21ConstantInputIteratorIilEEPiiNSB_3SumENSB_8EqualityEiEE10hipError_tPvRmT2_T3_T4_T5_mT6_T7_P12ihipStream_tbENKUlT_T0_E_clISt17integral_constantIbLb1EESX_EEDaSS_ST_EUlSS_E_NS1_11comp_targetILNS1_3genE9ELNS1_11target_archE1100ELNS1_3gpuE3ELNS1_3repE0EEENS1_30default_config_static_selectorELNS0_4arch9wavefront6targetE1EEEvT1_.num_named_barrier, 0
	.set _ZN7rocprim17ROCPRIM_400000_NS6detail17trampoline_kernelINS0_14default_configENS1_27scan_by_key_config_selectorIiiEEZZNS1_16scan_by_key_implILNS1_25lookback_scan_determinismE0ELb0ES3_PKiN6hipcub16HIPCUB_304000_NS21ConstantInputIteratorIilEEPiiNSB_3SumENSB_8EqualityEiEE10hipError_tPvRmT2_T3_T4_T5_mT6_T7_P12ihipStream_tbENKUlT_T0_E_clISt17integral_constantIbLb1EESX_EEDaSS_ST_EUlSS_E_NS1_11comp_targetILNS1_3genE9ELNS1_11target_archE1100ELNS1_3gpuE3ELNS1_3repE0EEENS1_30default_config_static_selectorELNS0_4arch9wavefront6targetE1EEEvT1_.private_seg_size, 0
	.set _ZN7rocprim17ROCPRIM_400000_NS6detail17trampoline_kernelINS0_14default_configENS1_27scan_by_key_config_selectorIiiEEZZNS1_16scan_by_key_implILNS1_25lookback_scan_determinismE0ELb0ES3_PKiN6hipcub16HIPCUB_304000_NS21ConstantInputIteratorIilEEPiiNSB_3SumENSB_8EqualityEiEE10hipError_tPvRmT2_T3_T4_T5_mT6_T7_P12ihipStream_tbENKUlT_T0_E_clISt17integral_constantIbLb1EESX_EEDaSS_ST_EUlSS_E_NS1_11comp_targetILNS1_3genE9ELNS1_11target_archE1100ELNS1_3gpuE3ELNS1_3repE0EEENS1_30default_config_static_selectorELNS0_4arch9wavefront6targetE1EEEvT1_.uses_vcc, 0
	.set _ZN7rocprim17ROCPRIM_400000_NS6detail17trampoline_kernelINS0_14default_configENS1_27scan_by_key_config_selectorIiiEEZZNS1_16scan_by_key_implILNS1_25lookback_scan_determinismE0ELb0ES3_PKiN6hipcub16HIPCUB_304000_NS21ConstantInputIteratorIilEEPiiNSB_3SumENSB_8EqualityEiEE10hipError_tPvRmT2_T3_T4_T5_mT6_T7_P12ihipStream_tbENKUlT_T0_E_clISt17integral_constantIbLb1EESX_EEDaSS_ST_EUlSS_E_NS1_11comp_targetILNS1_3genE9ELNS1_11target_archE1100ELNS1_3gpuE3ELNS1_3repE0EEENS1_30default_config_static_selectorELNS0_4arch9wavefront6targetE1EEEvT1_.uses_flat_scratch, 0
	.set _ZN7rocprim17ROCPRIM_400000_NS6detail17trampoline_kernelINS0_14default_configENS1_27scan_by_key_config_selectorIiiEEZZNS1_16scan_by_key_implILNS1_25lookback_scan_determinismE0ELb0ES3_PKiN6hipcub16HIPCUB_304000_NS21ConstantInputIteratorIilEEPiiNSB_3SumENSB_8EqualityEiEE10hipError_tPvRmT2_T3_T4_T5_mT6_T7_P12ihipStream_tbENKUlT_T0_E_clISt17integral_constantIbLb1EESX_EEDaSS_ST_EUlSS_E_NS1_11comp_targetILNS1_3genE9ELNS1_11target_archE1100ELNS1_3gpuE3ELNS1_3repE0EEENS1_30default_config_static_selectorELNS0_4arch9wavefront6targetE1EEEvT1_.has_dyn_sized_stack, 0
	.set _ZN7rocprim17ROCPRIM_400000_NS6detail17trampoline_kernelINS0_14default_configENS1_27scan_by_key_config_selectorIiiEEZZNS1_16scan_by_key_implILNS1_25lookback_scan_determinismE0ELb0ES3_PKiN6hipcub16HIPCUB_304000_NS21ConstantInputIteratorIilEEPiiNSB_3SumENSB_8EqualityEiEE10hipError_tPvRmT2_T3_T4_T5_mT6_T7_P12ihipStream_tbENKUlT_T0_E_clISt17integral_constantIbLb1EESX_EEDaSS_ST_EUlSS_E_NS1_11comp_targetILNS1_3genE9ELNS1_11target_archE1100ELNS1_3gpuE3ELNS1_3repE0EEENS1_30default_config_static_selectorELNS0_4arch9wavefront6targetE1EEEvT1_.has_recursion, 0
	.set _ZN7rocprim17ROCPRIM_400000_NS6detail17trampoline_kernelINS0_14default_configENS1_27scan_by_key_config_selectorIiiEEZZNS1_16scan_by_key_implILNS1_25lookback_scan_determinismE0ELb0ES3_PKiN6hipcub16HIPCUB_304000_NS21ConstantInputIteratorIilEEPiiNSB_3SumENSB_8EqualityEiEE10hipError_tPvRmT2_T3_T4_T5_mT6_T7_P12ihipStream_tbENKUlT_T0_E_clISt17integral_constantIbLb1EESX_EEDaSS_ST_EUlSS_E_NS1_11comp_targetILNS1_3genE9ELNS1_11target_archE1100ELNS1_3gpuE3ELNS1_3repE0EEENS1_30default_config_static_selectorELNS0_4arch9wavefront6targetE1EEEvT1_.has_indirect_call, 0
	.section	.AMDGPU.csdata,"",@progbits
; Kernel info:
; codeLenInByte = 0
; TotalNumSgprs: 6
; NumVgprs: 0
; NumAgprs: 0
; TotalNumVgprs: 0
; ScratchSize: 0
; MemoryBound: 0
; FloatMode: 240
; IeeeMode: 1
; LDSByteSize: 0 bytes/workgroup (compile time only)
; SGPRBlocks: 0
; VGPRBlocks: 0
; NumSGPRsForWavesPerEU: 6
; NumVGPRsForWavesPerEU: 1
; AccumOffset: 4
; Occupancy: 8
; WaveLimiterHint : 0
; COMPUTE_PGM_RSRC2:SCRATCH_EN: 0
; COMPUTE_PGM_RSRC2:USER_SGPR: 2
; COMPUTE_PGM_RSRC2:TRAP_HANDLER: 0
; COMPUTE_PGM_RSRC2:TGID_X_EN: 1
; COMPUTE_PGM_RSRC2:TGID_Y_EN: 0
; COMPUTE_PGM_RSRC2:TGID_Z_EN: 0
; COMPUTE_PGM_RSRC2:TIDIG_COMP_CNT: 0
; COMPUTE_PGM_RSRC3_GFX90A:ACCUM_OFFSET: 0
; COMPUTE_PGM_RSRC3_GFX90A:TG_SPLIT: 0
	.section	.text._ZN7rocprim17ROCPRIM_400000_NS6detail17trampoline_kernelINS0_14default_configENS1_27scan_by_key_config_selectorIiiEEZZNS1_16scan_by_key_implILNS1_25lookback_scan_determinismE0ELb0ES3_PKiN6hipcub16HIPCUB_304000_NS21ConstantInputIteratorIilEEPiiNSB_3SumENSB_8EqualityEiEE10hipError_tPvRmT2_T3_T4_T5_mT6_T7_P12ihipStream_tbENKUlT_T0_E_clISt17integral_constantIbLb1EESX_EEDaSS_ST_EUlSS_E_NS1_11comp_targetILNS1_3genE8ELNS1_11target_archE1030ELNS1_3gpuE2ELNS1_3repE0EEENS1_30default_config_static_selectorELNS0_4arch9wavefront6targetE1EEEvT1_,"axG",@progbits,_ZN7rocprim17ROCPRIM_400000_NS6detail17trampoline_kernelINS0_14default_configENS1_27scan_by_key_config_selectorIiiEEZZNS1_16scan_by_key_implILNS1_25lookback_scan_determinismE0ELb0ES3_PKiN6hipcub16HIPCUB_304000_NS21ConstantInputIteratorIilEEPiiNSB_3SumENSB_8EqualityEiEE10hipError_tPvRmT2_T3_T4_T5_mT6_T7_P12ihipStream_tbENKUlT_T0_E_clISt17integral_constantIbLb1EESX_EEDaSS_ST_EUlSS_E_NS1_11comp_targetILNS1_3genE8ELNS1_11target_archE1030ELNS1_3gpuE2ELNS1_3repE0EEENS1_30default_config_static_selectorELNS0_4arch9wavefront6targetE1EEEvT1_,comdat
	.protected	_ZN7rocprim17ROCPRIM_400000_NS6detail17trampoline_kernelINS0_14default_configENS1_27scan_by_key_config_selectorIiiEEZZNS1_16scan_by_key_implILNS1_25lookback_scan_determinismE0ELb0ES3_PKiN6hipcub16HIPCUB_304000_NS21ConstantInputIteratorIilEEPiiNSB_3SumENSB_8EqualityEiEE10hipError_tPvRmT2_T3_T4_T5_mT6_T7_P12ihipStream_tbENKUlT_T0_E_clISt17integral_constantIbLb1EESX_EEDaSS_ST_EUlSS_E_NS1_11comp_targetILNS1_3genE8ELNS1_11target_archE1030ELNS1_3gpuE2ELNS1_3repE0EEENS1_30default_config_static_selectorELNS0_4arch9wavefront6targetE1EEEvT1_ ; -- Begin function _ZN7rocprim17ROCPRIM_400000_NS6detail17trampoline_kernelINS0_14default_configENS1_27scan_by_key_config_selectorIiiEEZZNS1_16scan_by_key_implILNS1_25lookback_scan_determinismE0ELb0ES3_PKiN6hipcub16HIPCUB_304000_NS21ConstantInputIteratorIilEEPiiNSB_3SumENSB_8EqualityEiEE10hipError_tPvRmT2_T3_T4_T5_mT6_T7_P12ihipStream_tbENKUlT_T0_E_clISt17integral_constantIbLb1EESX_EEDaSS_ST_EUlSS_E_NS1_11comp_targetILNS1_3genE8ELNS1_11target_archE1030ELNS1_3gpuE2ELNS1_3repE0EEENS1_30default_config_static_selectorELNS0_4arch9wavefront6targetE1EEEvT1_
	.globl	_ZN7rocprim17ROCPRIM_400000_NS6detail17trampoline_kernelINS0_14default_configENS1_27scan_by_key_config_selectorIiiEEZZNS1_16scan_by_key_implILNS1_25lookback_scan_determinismE0ELb0ES3_PKiN6hipcub16HIPCUB_304000_NS21ConstantInputIteratorIilEEPiiNSB_3SumENSB_8EqualityEiEE10hipError_tPvRmT2_T3_T4_T5_mT6_T7_P12ihipStream_tbENKUlT_T0_E_clISt17integral_constantIbLb1EESX_EEDaSS_ST_EUlSS_E_NS1_11comp_targetILNS1_3genE8ELNS1_11target_archE1030ELNS1_3gpuE2ELNS1_3repE0EEENS1_30default_config_static_selectorELNS0_4arch9wavefront6targetE1EEEvT1_
	.p2align	8
	.type	_ZN7rocprim17ROCPRIM_400000_NS6detail17trampoline_kernelINS0_14default_configENS1_27scan_by_key_config_selectorIiiEEZZNS1_16scan_by_key_implILNS1_25lookback_scan_determinismE0ELb0ES3_PKiN6hipcub16HIPCUB_304000_NS21ConstantInputIteratorIilEEPiiNSB_3SumENSB_8EqualityEiEE10hipError_tPvRmT2_T3_T4_T5_mT6_T7_P12ihipStream_tbENKUlT_T0_E_clISt17integral_constantIbLb1EESX_EEDaSS_ST_EUlSS_E_NS1_11comp_targetILNS1_3genE8ELNS1_11target_archE1030ELNS1_3gpuE2ELNS1_3repE0EEENS1_30default_config_static_selectorELNS0_4arch9wavefront6targetE1EEEvT1_,@function
_ZN7rocprim17ROCPRIM_400000_NS6detail17trampoline_kernelINS0_14default_configENS1_27scan_by_key_config_selectorIiiEEZZNS1_16scan_by_key_implILNS1_25lookback_scan_determinismE0ELb0ES3_PKiN6hipcub16HIPCUB_304000_NS21ConstantInputIteratorIilEEPiiNSB_3SumENSB_8EqualityEiEE10hipError_tPvRmT2_T3_T4_T5_mT6_T7_P12ihipStream_tbENKUlT_T0_E_clISt17integral_constantIbLb1EESX_EEDaSS_ST_EUlSS_E_NS1_11comp_targetILNS1_3genE8ELNS1_11target_archE1030ELNS1_3gpuE2ELNS1_3repE0EEENS1_30default_config_static_selectorELNS0_4arch9wavefront6targetE1EEEvT1_: ; @_ZN7rocprim17ROCPRIM_400000_NS6detail17trampoline_kernelINS0_14default_configENS1_27scan_by_key_config_selectorIiiEEZZNS1_16scan_by_key_implILNS1_25lookback_scan_determinismE0ELb0ES3_PKiN6hipcub16HIPCUB_304000_NS21ConstantInputIteratorIilEEPiiNSB_3SumENSB_8EqualityEiEE10hipError_tPvRmT2_T3_T4_T5_mT6_T7_P12ihipStream_tbENKUlT_T0_E_clISt17integral_constantIbLb1EESX_EEDaSS_ST_EUlSS_E_NS1_11comp_targetILNS1_3genE8ELNS1_11target_archE1030ELNS1_3gpuE2ELNS1_3repE0EEENS1_30default_config_static_selectorELNS0_4arch9wavefront6targetE1EEEvT1_
; %bb.0:
	.section	.rodata,"a",@progbits
	.p2align	6, 0x0
	.amdhsa_kernel _ZN7rocprim17ROCPRIM_400000_NS6detail17trampoline_kernelINS0_14default_configENS1_27scan_by_key_config_selectorIiiEEZZNS1_16scan_by_key_implILNS1_25lookback_scan_determinismE0ELb0ES3_PKiN6hipcub16HIPCUB_304000_NS21ConstantInputIteratorIilEEPiiNSB_3SumENSB_8EqualityEiEE10hipError_tPvRmT2_T3_T4_T5_mT6_T7_P12ihipStream_tbENKUlT_T0_E_clISt17integral_constantIbLb1EESX_EEDaSS_ST_EUlSS_E_NS1_11comp_targetILNS1_3genE8ELNS1_11target_archE1030ELNS1_3gpuE2ELNS1_3repE0EEENS1_30default_config_static_selectorELNS0_4arch9wavefront6targetE1EEEvT1_
		.amdhsa_group_segment_fixed_size 0
		.amdhsa_private_segment_fixed_size 0
		.amdhsa_kernarg_size 120
		.amdhsa_user_sgpr_count 2
		.amdhsa_user_sgpr_dispatch_ptr 0
		.amdhsa_user_sgpr_queue_ptr 0
		.amdhsa_user_sgpr_kernarg_segment_ptr 1
		.amdhsa_user_sgpr_dispatch_id 0
		.amdhsa_user_sgpr_kernarg_preload_length 0
		.amdhsa_user_sgpr_kernarg_preload_offset 0
		.amdhsa_user_sgpr_private_segment_size 0
		.amdhsa_uses_dynamic_stack 0
		.amdhsa_enable_private_segment 0
		.amdhsa_system_sgpr_workgroup_id_x 1
		.amdhsa_system_sgpr_workgroup_id_y 0
		.amdhsa_system_sgpr_workgroup_id_z 0
		.amdhsa_system_sgpr_workgroup_info 0
		.amdhsa_system_vgpr_workitem_id 0
		.amdhsa_next_free_vgpr 1
		.amdhsa_next_free_sgpr 0
		.amdhsa_accum_offset 4
		.amdhsa_reserve_vcc 0
		.amdhsa_float_round_mode_32 0
		.amdhsa_float_round_mode_16_64 0
		.amdhsa_float_denorm_mode_32 3
		.amdhsa_float_denorm_mode_16_64 3
		.amdhsa_dx10_clamp 1
		.amdhsa_ieee_mode 1
		.amdhsa_fp16_overflow 0
		.amdhsa_tg_split 0
		.amdhsa_exception_fp_ieee_invalid_op 0
		.amdhsa_exception_fp_denorm_src 0
		.amdhsa_exception_fp_ieee_div_zero 0
		.amdhsa_exception_fp_ieee_overflow 0
		.amdhsa_exception_fp_ieee_underflow 0
		.amdhsa_exception_fp_ieee_inexact 0
		.amdhsa_exception_int_div_zero 0
	.end_amdhsa_kernel
	.section	.text._ZN7rocprim17ROCPRIM_400000_NS6detail17trampoline_kernelINS0_14default_configENS1_27scan_by_key_config_selectorIiiEEZZNS1_16scan_by_key_implILNS1_25lookback_scan_determinismE0ELb0ES3_PKiN6hipcub16HIPCUB_304000_NS21ConstantInputIteratorIilEEPiiNSB_3SumENSB_8EqualityEiEE10hipError_tPvRmT2_T3_T4_T5_mT6_T7_P12ihipStream_tbENKUlT_T0_E_clISt17integral_constantIbLb1EESX_EEDaSS_ST_EUlSS_E_NS1_11comp_targetILNS1_3genE8ELNS1_11target_archE1030ELNS1_3gpuE2ELNS1_3repE0EEENS1_30default_config_static_selectorELNS0_4arch9wavefront6targetE1EEEvT1_,"axG",@progbits,_ZN7rocprim17ROCPRIM_400000_NS6detail17trampoline_kernelINS0_14default_configENS1_27scan_by_key_config_selectorIiiEEZZNS1_16scan_by_key_implILNS1_25lookback_scan_determinismE0ELb0ES3_PKiN6hipcub16HIPCUB_304000_NS21ConstantInputIteratorIilEEPiiNSB_3SumENSB_8EqualityEiEE10hipError_tPvRmT2_T3_T4_T5_mT6_T7_P12ihipStream_tbENKUlT_T0_E_clISt17integral_constantIbLb1EESX_EEDaSS_ST_EUlSS_E_NS1_11comp_targetILNS1_3genE8ELNS1_11target_archE1030ELNS1_3gpuE2ELNS1_3repE0EEENS1_30default_config_static_selectorELNS0_4arch9wavefront6targetE1EEEvT1_,comdat
.Lfunc_end29:
	.size	_ZN7rocprim17ROCPRIM_400000_NS6detail17trampoline_kernelINS0_14default_configENS1_27scan_by_key_config_selectorIiiEEZZNS1_16scan_by_key_implILNS1_25lookback_scan_determinismE0ELb0ES3_PKiN6hipcub16HIPCUB_304000_NS21ConstantInputIteratorIilEEPiiNSB_3SumENSB_8EqualityEiEE10hipError_tPvRmT2_T3_T4_T5_mT6_T7_P12ihipStream_tbENKUlT_T0_E_clISt17integral_constantIbLb1EESX_EEDaSS_ST_EUlSS_E_NS1_11comp_targetILNS1_3genE8ELNS1_11target_archE1030ELNS1_3gpuE2ELNS1_3repE0EEENS1_30default_config_static_selectorELNS0_4arch9wavefront6targetE1EEEvT1_, .Lfunc_end29-_ZN7rocprim17ROCPRIM_400000_NS6detail17trampoline_kernelINS0_14default_configENS1_27scan_by_key_config_selectorIiiEEZZNS1_16scan_by_key_implILNS1_25lookback_scan_determinismE0ELb0ES3_PKiN6hipcub16HIPCUB_304000_NS21ConstantInputIteratorIilEEPiiNSB_3SumENSB_8EqualityEiEE10hipError_tPvRmT2_T3_T4_T5_mT6_T7_P12ihipStream_tbENKUlT_T0_E_clISt17integral_constantIbLb1EESX_EEDaSS_ST_EUlSS_E_NS1_11comp_targetILNS1_3genE8ELNS1_11target_archE1030ELNS1_3gpuE2ELNS1_3repE0EEENS1_30default_config_static_selectorELNS0_4arch9wavefront6targetE1EEEvT1_
                                        ; -- End function
	.set _ZN7rocprim17ROCPRIM_400000_NS6detail17trampoline_kernelINS0_14default_configENS1_27scan_by_key_config_selectorIiiEEZZNS1_16scan_by_key_implILNS1_25lookback_scan_determinismE0ELb0ES3_PKiN6hipcub16HIPCUB_304000_NS21ConstantInputIteratorIilEEPiiNSB_3SumENSB_8EqualityEiEE10hipError_tPvRmT2_T3_T4_T5_mT6_T7_P12ihipStream_tbENKUlT_T0_E_clISt17integral_constantIbLb1EESX_EEDaSS_ST_EUlSS_E_NS1_11comp_targetILNS1_3genE8ELNS1_11target_archE1030ELNS1_3gpuE2ELNS1_3repE0EEENS1_30default_config_static_selectorELNS0_4arch9wavefront6targetE1EEEvT1_.num_vgpr, 0
	.set _ZN7rocprim17ROCPRIM_400000_NS6detail17trampoline_kernelINS0_14default_configENS1_27scan_by_key_config_selectorIiiEEZZNS1_16scan_by_key_implILNS1_25lookback_scan_determinismE0ELb0ES3_PKiN6hipcub16HIPCUB_304000_NS21ConstantInputIteratorIilEEPiiNSB_3SumENSB_8EqualityEiEE10hipError_tPvRmT2_T3_T4_T5_mT6_T7_P12ihipStream_tbENKUlT_T0_E_clISt17integral_constantIbLb1EESX_EEDaSS_ST_EUlSS_E_NS1_11comp_targetILNS1_3genE8ELNS1_11target_archE1030ELNS1_3gpuE2ELNS1_3repE0EEENS1_30default_config_static_selectorELNS0_4arch9wavefront6targetE1EEEvT1_.num_agpr, 0
	.set _ZN7rocprim17ROCPRIM_400000_NS6detail17trampoline_kernelINS0_14default_configENS1_27scan_by_key_config_selectorIiiEEZZNS1_16scan_by_key_implILNS1_25lookback_scan_determinismE0ELb0ES3_PKiN6hipcub16HIPCUB_304000_NS21ConstantInputIteratorIilEEPiiNSB_3SumENSB_8EqualityEiEE10hipError_tPvRmT2_T3_T4_T5_mT6_T7_P12ihipStream_tbENKUlT_T0_E_clISt17integral_constantIbLb1EESX_EEDaSS_ST_EUlSS_E_NS1_11comp_targetILNS1_3genE8ELNS1_11target_archE1030ELNS1_3gpuE2ELNS1_3repE0EEENS1_30default_config_static_selectorELNS0_4arch9wavefront6targetE1EEEvT1_.numbered_sgpr, 0
	.set _ZN7rocprim17ROCPRIM_400000_NS6detail17trampoline_kernelINS0_14default_configENS1_27scan_by_key_config_selectorIiiEEZZNS1_16scan_by_key_implILNS1_25lookback_scan_determinismE0ELb0ES3_PKiN6hipcub16HIPCUB_304000_NS21ConstantInputIteratorIilEEPiiNSB_3SumENSB_8EqualityEiEE10hipError_tPvRmT2_T3_T4_T5_mT6_T7_P12ihipStream_tbENKUlT_T0_E_clISt17integral_constantIbLb1EESX_EEDaSS_ST_EUlSS_E_NS1_11comp_targetILNS1_3genE8ELNS1_11target_archE1030ELNS1_3gpuE2ELNS1_3repE0EEENS1_30default_config_static_selectorELNS0_4arch9wavefront6targetE1EEEvT1_.num_named_barrier, 0
	.set _ZN7rocprim17ROCPRIM_400000_NS6detail17trampoline_kernelINS0_14default_configENS1_27scan_by_key_config_selectorIiiEEZZNS1_16scan_by_key_implILNS1_25lookback_scan_determinismE0ELb0ES3_PKiN6hipcub16HIPCUB_304000_NS21ConstantInputIteratorIilEEPiiNSB_3SumENSB_8EqualityEiEE10hipError_tPvRmT2_T3_T4_T5_mT6_T7_P12ihipStream_tbENKUlT_T0_E_clISt17integral_constantIbLb1EESX_EEDaSS_ST_EUlSS_E_NS1_11comp_targetILNS1_3genE8ELNS1_11target_archE1030ELNS1_3gpuE2ELNS1_3repE0EEENS1_30default_config_static_selectorELNS0_4arch9wavefront6targetE1EEEvT1_.private_seg_size, 0
	.set _ZN7rocprim17ROCPRIM_400000_NS6detail17trampoline_kernelINS0_14default_configENS1_27scan_by_key_config_selectorIiiEEZZNS1_16scan_by_key_implILNS1_25lookback_scan_determinismE0ELb0ES3_PKiN6hipcub16HIPCUB_304000_NS21ConstantInputIteratorIilEEPiiNSB_3SumENSB_8EqualityEiEE10hipError_tPvRmT2_T3_T4_T5_mT6_T7_P12ihipStream_tbENKUlT_T0_E_clISt17integral_constantIbLb1EESX_EEDaSS_ST_EUlSS_E_NS1_11comp_targetILNS1_3genE8ELNS1_11target_archE1030ELNS1_3gpuE2ELNS1_3repE0EEENS1_30default_config_static_selectorELNS0_4arch9wavefront6targetE1EEEvT1_.uses_vcc, 0
	.set _ZN7rocprim17ROCPRIM_400000_NS6detail17trampoline_kernelINS0_14default_configENS1_27scan_by_key_config_selectorIiiEEZZNS1_16scan_by_key_implILNS1_25lookback_scan_determinismE0ELb0ES3_PKiN6hipcub16HIPCUB_304000_NS21ConstantInputIteratorIilEEPiiNSB_3SumENSB_8EqualityEiEE10hipError_tPvRmT2_T3_T4_T5_mT6_T7_P12ihipStream_tbENKUlT_T0_E_clISt17integral_constantIbLb1EESX_EEDaSS_ST_EUlSS_E_NS1_11comp_targetILNS1_3genE8ELNS1_11target_archE1030ELNS1_3gpuE2ELNS1_3repE0EEENS1_30default_config_static_selectorELNS0_4arch9wavefront6targetE1EEEvT1_.uses_flat_scratch, 0
	.set _ZN7rocprim17ROCPRIM_400000_NS6detail17trampoline_kernelINS0_14default_configENS1_27scan_by_key_config_selectorIiiEEZZNS1_16scan_by_key_implILNS1_25lookback_scan_determinismE0ELb0ES3_PKiN6hipcub16HIPCUB_304000_NS21ConstantInputIteratorIilEEPiiNSB_3SumENSB_8EqualityEiEE10hipError_tPvRmT2_T3_T4_T5_mT6_T7_P12ihipStream_tbENKUlT_T0_E_clISt17integral_constantIbLb1EESX_EEDaSS_ST_EUlSS_E_NS1_11comp_targetILNS1_3genE8ELNS1_11target_archE1030ELNS1_3gpuE2ELNS1_3repE0EEENS1_30default_config_static_selectorELNS0_4arch9wavefront6targetE1EEEvT1_.has_dyn_sized_stack, 0
	.set _ZN7rocprim17ROCPRIM_400000_NS6detail17trampoline_kernelINS0_14default_configENS1_27scan_by_key_config_selectorIiiEEZZNS1_16scan_by_key_implILNS1_25lookback_scan_determinismE0ELb0ES3_PKiN6hipcub16HIPCUB_304000_NS21ConstantInputIteratorIilEEPiiNSB_3SumENSB_8EqualityEiEE10hipError_tPvRmT2_T3_T4_T5_mT6_T7_P12ihipStream_tbENKUlT_T0_E_clISt17integral_constantIbLb1EESX_EEDaSS_ST_EUlSS_E_NS1_11comp_targetILNS1_3genE8ELNS1_11target_archE1030ELNS1_3gpuE2ELNS1_3repE0EEENS1_30default_config_static_selectorELNS0_4arch9wavefront6targetE1EEEvT1_.has_recursion, 0
	.set _ZN7rocprim17ROCPRIM_400000_NS6detail17trampoline_kernelINS0_14default_configENS1_27scan_by_key_config_selectorIiiEEZZNS1_16scan_by_key_implILNS1_25lookback_scan_determinismE0ELb0ES3_PKiN6hipcub16HIPCUB_304000_NS21ConstantInputIteratorIilEEPiiNSB_3SumENSB_8EqualityEiEE10hipError_tPvRmT2_T3_T4_T5_mT6_T7_P12ihipStream_tbENKUlT_T0_E_clISt17integral_constantIbLb1EESX_EEDaSS_ST_EUlSS_E_NS1_11comp_targetILNS1_3genE8ELNS1_11target_archE1030ELNS1_3gpuE2ELNS1_3repE0EEENS1_30default_config_static_selectorELNS0_4arch9wavefront6targetE1EEEvT1_.has_indirect_call, 0
	.section	.AMDGPU.csdata,"",@progbits
; Kernel info:
; codeLenInByte = 0
; TotalNumSgprs: 6
; NumVgprs: 0
; NumAgprs: 0
; TotalNumVgprs: 0
; ScratchSize: 0
; MemoryBound: 0
; FloatMode: 240
; IeeeMode: 1
; LDSByteSize: 0 bytes/workgroup (compile time only)
; SGPRBlocks: 0
; VGPRBlocks: 0
; NumSGPRsForWavesPerEU: 6
; NumVGPRsForWavesPerEU: 1
; AccumOffset: 4
; Occupancy: 8
; WaveLimiterHint : 0
; COMPUTE_PGM_RSRC2:SCRATCH_EN: 0
; COMPUTE_PGM_RSRC2:USER_SGPR: 2
; COMPUTE_PGM_RSRC2:TRAP_HANDLER: 0
; COMPUTE_PGM_RSRC2:TGID_X_EN: 1
; COMPUTE_PGM_RSRC2:TGID_Y_EN: 0
; COMPUTE_PGM_RSRC2:TGID_Z_EN: 0
; COMPUTE_PGM_RSRC2:TIDIG_COMP_CNT: 0
; COMPUTE_PGM_RSRC3_GFX90A:ACCUM_OFFSET: 0
; COMPUTE_PGM_RSRC3_GFX90A:TG_SPLIT: 0
	.section	.text._ZN7rocprim17ROCPRIM_400000_NS6detail30init_device_scan_by_key_kernelINS1_19lookback_scan_stateINS0_5tupleIJibEEELb1ELb1EEEPKijNS1_16block_id_wrapperIjLb0EEEEEvT_jjPNSB_10value_typeET0_PNSt15iterator_traitsISE_E10value_typeEmT1_T2_,"axG",@progbits,_ZN7rocprim17ROCPRIM_400000_NS6detail30init_device_scan_by_key_kernelINS1_19lookback_scan_stateINS0_5tupleIJibEEELb1ELb1EEEPKijNS1_16block_id_wrapperIjLb0EEEEEvT_jjPNSB_10value_typeET0_PNSt15iterator_traitsISE_E10value_typeEmT1_T2_,comdat
	.protected	_ZN7rocprim17ROCPRIM_400000_NS6detail30init_device_scan_by_key_kernelINS1_19lookback_scan_stateINS0_5tupleIJibEEELb1ELb1EEEPKijNS1_16block_id_wrapperIjLb0EEEEEvT_jjPNSB_10value_typeET0_PNSt15iterator_traitsISE_E10value_typeEmT1_T2_ ; -- Begin function _ZN7rocprim17ROCPRIM_400000_NS6detail30init_device_scan_by_key_kernelINS1_19lookback_scan_stateINS0_5tupleIJibEEELb1ELb1EEEPKijNS1_16block_id_wrapperIjLb0EEEEEvT_jjPNSB_10value_typeET0_PNSt15iterator_traitsISE_E10value_typeEmT1_T2_
	.globl	_ZN7rocprim17ROCPRIM_400000_NS6detail30init_device_scan_by_key_kernelINS1_19lookback_scan_stateINS0_5tupleIJibEEELb1ELb1EEEPKijNS1_16block_id_wrapperIjLb0EEEEEvT_jjPNSB_10value_typeET0_PNSt15iterator_traitsISE_E10value_typeEmT1_T2_
	.p2align	8
	.type	_ZN7rocprim17ROCPRIM_400000_NS6detail30init_device_scan_by_key_kernelINS1_19lookback_scan_stateINS0_5tupleIJibEEELb1ELb1EEEPKijNS1_16block_id_wrapperIjLb0EEEEEvT_jjPNSB_10value_typeET0_PNSt15iterator_traitsISE_E10value_typeEmT1_T2_,@function
_ZN7rocprim17ROCPRIM_400000_NS6detail30init_device_scan_by_key_kernelINS1_19lookback_scan_stateINS0_5tupleIJibEEELb1ELb1EEEPKijNS1_16block_id_wrapperIjLb0EEEEEvT_jjPNSB_10value_typeET0_PNSt15iterator_traitsISE_E10value_typeEmT1_T2_: ; @_ZN7rocprim17ROCPRIM_400000_NS6detail30init_device_scan_by_key_kernelINS1_19lookback_scan_stateINS0_5tupleIJibEEELb1ELb1EEEPKijNS1_16block_id_wrapperIjLb0EEEEEvT_jjPNSB_10value_typeET0_PNSt15iterator_traitsISE_E10value_typeEmT1_T2_
; %bb.0:
	s_load_dword s3, s[0:1], 0x44
	s_load_dwordx8 s[4:11], s[0:1], 0x0
	s_load_dword s18, s[0:1], 0x38
	s_waitcnt lgkmcnt(0)
	s_and_b32 s19, s3, 0xffff
	s_mul_i32 s2, s2, s19
	s_cmp_eq_u64 s[8:9], 0
	v_add_u32_e32 v4, s2, v0
	s_cbranch_scc1 .LBB30_10
; %bb.1:
	s_cmp_lt_u32 s7, s6
	s_cselect_b32 s2, s7, 0
	s_mov_b32 s13, 0
	v_cmp_eq_u32_e32 vcc, s2, v4
	s_and_saveexec_b64 s[2:3], vcc
	s_cbranch_execz .LBB30_9
; %bb.2:
	s_add_i32 s12, s7, 64
	s_lshl_b64 s[12:13], s[12:13], 4
	s_add_u32 s16, s4, s12
	s_addc_u32 s17, s5, s13
	v_mov_b64_e32 v[0:1], s[16:17]
	;;#ASMSTART
	global_load_dwordx4 v[0:3], v[0:1] off sc1	
s_waitcnt vmcnt(0)
	;;#ASMEND
	v_mov_b32_e32 v7, 0
	v_and_b32_e32 v6, 0xff, v2
	s_mov_b64 s[14:15], 0
	v_cmp_eq_u64_e32 vcc, 0, v[6:7]
	s_and_saveexec_b64 s[12:13], vcc
	s_cbranch_execz .LBB30_8
; %bb.3:
	s_mov_b32 s7, 1
	v_mov_b64_e32 v[8:9], s[16:17]
.LBB30_4:                               ; =>This Loop Header: Depth=1
                                        ;     Child Loop BB30_5 Depth 2
	s_mov_b32 s16, s7
.LBB30_5:                               ;   Parent Loop BB30_4 Depth=1
                                        ; =>  This Inner Loop Header: Depth=2
	s_add_i32 s16, s16, -1
	s_cmp_eq_u32 s16, 0
	s_sleep 1
	s_cbranch_scc0 .LBB30_5
; %bb.6:                                ;   in Loop: Header=BB30_4 Depth=1
	s_cmp_lt_u32 s7, 32
	s_cselect_b64 s[16:17], -1, 0
	s_cmp_lg_u64 s[16:17], 0
	;;#ASMSTART
	global_load_dwordx4 v[0:3], v[8:9] off sc1	
s_waitcnt vmcnt(0)
	;;#ASMEND
	s_addc_u32 s7, s7, 0
	v_and_b32_e32 v6, 0xff, v2
	v_cmp_ne_u64_e32 vcc, 0, v[6:7]
	s_or_b64 s[14:15], vcc, s[14:15]
	s_andn2_b64 exec, exec, s[14:15]
	s_cbranch_execnz .LBB30_4
; %bb.7:
	s_or_b64 exec, exec, s[14:15]
.LBB30_8:
	s_or_b64 exec, exec, s[12:13]
	v_mov_b32_e32 v2, 0
	global_store_dword v2, v0, s[8:9]
	global_store_byte v2, v1, s[8:9] offset:4
.LBB30_9:
	s_or_b64 exec, exec, s[2:3]
.LBB30_10:
	v_cmp_gt_u32_e32 vcc, s6, v4
	s_and_saveexec_b64 s[2:3], vcc
	s_cbranch_execz .LBB30_12
; %bb.11:
	v_add_u32_e32 v0, 64, v4
	v_mov_b32_e32 v1, 0
	v_lshl_add_u64 v[6:7], v[0:1], 4, s[4:5]
	v_mov_b32_e32 v0, v1
	v_mov_b32_e32 v2, v1
	;; [unrolled: 1-line block ×3, first 2 shown]
	global_store_dwordx4 v[6:7], v[0:3], off
.LBB30_12:
	s_or_b64 exec, exec, s[2:3]
	v_cmp_gt_u32_e32 vcc, 64, v4
	v_mov_b32_e32 v5, 0
	s_and_saveexec_b64 s[2:3], vcc
	s_cbranch_execz .LBB30_14
; %bb.13:
	v_lshl_add_u64 v[6:7], v[4:5], 4, s[4:5]
	v_mov_b32_e32 v2, 0xff
	v_mov_b32_e32 v0, v5
	;; [unrolled: 1-line block ×4, first 2 shown]
	global_store_dwordx4 v[6:7], v[0:3], off
.LBB30_14:
	s_or_b64 exec, exec, s[2:3]
	s_load_dwordx2 s[2:3], s[0:1], 0x28
	s_waitcnt lgkmcnt(0)
	v_cmp_gt_u64_e32 vcc, s[2:3], v[4:5]
	s_and_saveexec_b64 s[4:5], vcc
	s_cbranch_execz .LBB30_17
; %bb.15:
	s_load_dword s12, s[0:1], 0x30
	s_load_dwordx2 s[6:7], s[0:1], 0x20
	s_mov_b32 s5, 0
	s_mov_b32 s1, s5
	s_mul_i32 s0, s18, s19
	s_waitcnt lgkmcnt(0)
	s_add_i32 s4, s12, -1
	s_lshl_b64 s[4:5], s[4:5], 2
	s_add_u32 s4, s10, s4
	v_mad_u64_u32 v[0:1], s[8:9], s12, v4, 0
	s_addc_u32 s5, s11, s5
	v_lshl_add_u64 v[0:1], v[0:1], 2, s[4:5]
	s_mul_hi_u32 s5, s12, s0
	s_mul_i32 s4, s12, s0
	s_lshl_b64 s[4:5], s[4:5], 2
	v_lshl_add_u64 v[2:3], v[4:5], 2, s[6:7]
	s_lshl_b64 s[6:7], s[0:1], 2
	s_mov_b64 s[8:9], 0
.LBB30_16:                              ; =>This Inner Loop Header: Depth=1
	global_load_dword v6, v[0:1], off
	v_lshl_add_u64 v[4:5], v[4:5], 0, s[0:1]
	v_cmp_le_u64_e32 vcc, s[2:3], v[4:5]
	v_lshl_add_u64 v[0:1], v[0:1], 0, s[4:5]
	s_or_b64 s[8:9], vcc, s[8:9]
	s_waitcnt vmcnt(0)
	global_store_dword v[2:3], v6, off
	v_lshl_add_u64 v[2:3], v[2:3], 0, s[6:7]
	s_andn2_b64 exec, exec, s[8:9]
	s_cbranch_execnz .LBB30_16
.LBB30_17:
	s_endpgm
	.section	.rodata,"a",@progbits
	.p2align	6, 0x0
	.amdhsa_kernel _ZN7rocprim17ROCPRIM_400000_NS6detail30init_device_scan_by_key_kernelINS1_19lookback_scan_stateINS0_5tupleIJibEEELb1ELb1EEEPKijNS1_16block_id_wrapperIjLb0EEEEEvT_jjPNSB_10value_typeET0_PNSt15iterator_traitsISE_E10value_typeEmT1_T2_
		.amdhsa_group_segment_fixed_size 0
		.amdhsa_private_segment_fixed_size 0
		.amdhsa_kernarg_size 312
		.amdhsa_user_sgpr_count 2
		.amdhsa_user_sgpr_dispatch_ptr 0
		.amdhsa_user_sgpr_queue_ptr 0
		.amdhsa_user_sgpr_kernarg_segment_ptr 1
		.amdhsa_user_sgpr_dispatch_id 0
		.amdhsa_user_sgpr_kernarg_preload_length 0
		.amdhsa_user_sgpr_kernarg_preload_offset 0
		.amdhsa_user_sgpr_private_segment_size 0
		.amdhsa_uses_dynamic_stack 0
		.amdhsa_enable_private_segment 0
		.amdhsa_system_sgpr_workgroup_id_x 1
		.amdhsa_system_sgpr_workgroup_id_y 0
		.amdhsa_system_sgpr_workgroup_id_z 0
		.amdhsa_system_sgpr_workgroup_info 0
		.amdhsa_system_vgpr_workitem_id 0
		.amdhsa_next_free_vgpr 10
		.amdhsa_next_free_sgpr 20
		.amdhsa_accum_offset 12
		.amdhsa_reserve_vcc 1
		.amdhsa_float_round_mode_32 0
		.amdhsa_float_round_mode_16_64 0
		.amdhsa_float_denorm_mode_32 3
		.amdhsa_float_denorm_mode_16_64 3
		.amdhsa_dx10_clamp 1
		.amdhsa_ieee_mode 1
		.amdhsa_fp16_overflow 0
		.amdhsa_tg_split 0
		.amdhsa_exception_fp_ieee_invalid_op 0
		.amdhsa_exception_fp_denorm_src 0
		.amdhsa_exception_fp_ieee_div_zero 0
		.amdhsa_exception_fp_ieee_overflow 0
		.amdhsa_exception_fp_ieee_underflow 0
		.amdhsa_exception_fp_ieee_inexact 0
		.amdhsa_exception_int_div_zero 0
	.end_amdhsa_kernel
	.section	.text._ZN7rocprim17ROCPRIM_400000_NS6detail30init_device_scan_by_key_kernelINS1_19lookback_scan_stateINS0_5tupleIJibEEELb1ELb1EEEPKijNS1_16block_id_wrapperIjLb0EEEEEvT_jjPNSB_10value_typeET0_PNSt15iterator_traitsISE_E10value_typeEmT1_T2_,"axG",@progbits,_ZN7rocprim17ROCPRIM_400000_NS6detail30init_device_scan_by_key_kernelINS1_19lookback_scan_stateINS0_5tupleIJibEEELb1ELb1EEEPKijNS1_16block_id_wrapperIjLb0EEEEEvT_jjPNSB_10value_typeET0_PNSt15iterator_traitsISE_E10value_typeEmT1_T2_,comdat
.Lfunc_end30:
	.size	_ZN7rocprim17ROCPRIM_400000_NS6detail30init_device_scan_by_key_kernelINS1_19lookback_scan_stateINS0_5tupleIJibEEELb1ELb1EEEPKijNS1_16block_id_wrapperIjLb0EEEEEvT_jjPNSB_10value_typeET0_PNSt15iterator_traitsISE_E10value_typeEmT1_T2_, .Lfunc_end30-_ZN7rocprim17ROCPRIM_400000_NS6detail30init_device_scan_by_key_kernelINS1_19lookback_scan_stateINS0_5tupleIJibEEELb1ELb1EEEPKijNS1_16block_id_wrapperIjLb0EEEEEvT_jjPNSB_10value_typeET0_PNSt15iterator_traitsISE_E10value_typeEmT1_T2_
                                        ; -- End function
	.set _ZN7rocprim17ROCPRIM_400000_NS6detail30init_device_scan_by_key_kernelINS1_19lookback_scan_stateINS0_5tupleIJibEEELb1ELb1EEEPKijNS1_16block_id_wrapperIjLb0EEEEEvT_jjPNSB_10value_typeET0_PNSt15iterator_traitsISE_E10value_typeEmT1_T2_.num_vgpr, 10
	.set _ZN7rocprim17ROCPRIM_400000_NS6detail30init_device_scan_by_key_kernelINS1_19lookback_scan_stateINS0_5tupleIJibEEELb1ELb1EEEPKijNS1_16block_id_wrapperIjLb0EEEEEvT_jjPNSB_10value_typeET0_PNSt15iterator_traitsISE_E10value_typeEmT1_T2_.num_agpr, 0
	.set _ZN7rocprim17ROCPRIM_400000_NS6detail30init_device_scan_by_key_kernelINS1_19lookback_scan_stateINS0_5tupleIJibEEELb1ELb1EEEPKijNS1_16block_id_wrapperIjLb0EEEEEvT_jjPNSB_10value_typeET0_PNSt15iterator_traitsISE_E10value_typeEmT1_T2_.numbered_sgpr, 20
	.set _ZN7rocprim17ROCPRIM_400000_NS6detail30init_device_scan_by_key_kernelINS1_19lookback_scan_stateINS0_5tupleIJibEEELb1ELb1EEEPKijNS1_16block_id_wrapperIjLb0EEEEEvT_jjPNSB_10value_typeET0_PNSt15iterator_traitsISE_E10value_typeEmT1_T2_.num_named_barrier, 0
	.set _ZN7rocprim17ROCPRIM_400000_NS6detail30init_device_scan_by_key_kernelINS1_19lookback_scan_stateINS0_5tupleIJibEEELb1ELb1EEEPKijNS1_16block_id_wrapperIjLb0EEEEEvT_jjPNSB_10value_typeET0_PNSt15iterator_traitsISE_E10value_typeEmT1_T2_.private_seg_size, 0
	.set _ZN7rocprim17ROCPRIM_400000_NS6detail30init_device_scan_by_key_kernelINS1_19lookback_scan_stateINS0_5tupleIJibEEELb1ELb1EEEPKijNS1_16block_id_wrapperIjLb0EEEEEvT_jjPNSB_10value_typeET0_PNSt15iterator_traitsISE_E10value_typeEmT1_T2_.uses_vcc, 1
	.set _ZN7rocprim17ROCPRIM_400000_NS6detail30init_device_scan_by_key_kernelINS1_19lookback_scan_stateINS0_5tupleIJibEEELb1ELb1EEEPKijNS1_16block_id_wrapperIjLb0EEEEEvT_jjPNSB_10value_typeET0_PNSt15iterator_traitsISE_E10value_typeEmT1_T2_.uses_flat_scratch, 0
	.set _ZN7rocprim17ROCPRIM_400000_NS6detail30init_device_scan_by_key_kernelINS1_19lookback_scan_stateINS0_5tupleIJibEEELb1ELb1EEEPKijNS1_16block_id_wrapperIjLb0EEEEEvT_jjPNSB_10value_typeET0_PNSt15iterator_traitsISE_E10value_typeEmT1_T2_.has_dyn_sized_stack, 0
	.set _ZN7rocprim17ROCPRIM_400000_NS6detail30init_device_scan_by_key_kernelINS1_19lookback_scan_stateINS0_5tupleIJibEEELb1ELb1EEEPKijNS1_16block_id_wrapperIjLb0EEEEEvT_jjPNSB_10value_typeET0_PNSt15iterator_traitsISE_E10value_typeEmT1_T2_.has_recursion, 0
	.set _ZN7rocprim17ROCPRIM_400000_NS6detail30init_device_scan_by_key_kernelINS1_19lookback_scan_stateINS0_5tupleIJibEEELb1ELb1EEEPKijNS1_16block_id_wrapperIjLb0EEEEEvT_jjPNSB_10value_typeET0_PNSt15iterator_traitsISE_E10value_typeEmT1_T2_.has_indirect_call, 0
	.section	.AMDGPU.csdata,"",@progbits
; Kernel info:
; codeLenInByte = 576
; TotalNumSgprs: 26
; NumVgprs: 10
; NumAgprs: 0
; TotalNumVgprs: 10
; ScratchSize: 0
; MemoryBound: 0
; FloatMode: 240
; IeeeMode: 1
; LDSByteSize: 0 bytes/workgroup (compile time only)
; SGPRBlocks: 3
; VGPRBlocks: 1
; NumSGPRsForWavesPerEU: 26
; NumVGPRsForWavesPerEU: 10
; AccumOffset: 12
; Occupancy: 8
; WaveLimiterHint : 0
; COMPUTE_PGM_RSRC2:SCRATCH_EN: 0
; COMPUTE_PGM_RSRC2:USER_SGPR: 2
; COMPUTE_PGM_RSRC2:TRAP_HANDLER: 0
; COMPUTE_PGM_RSRC2:TGID_X_EN: 1
; COMPUTE_PGM_RSRC2:TGID_Y_EN: 0
; COMPUTE_PGM_RSRC2:TGID_Z_EN: 0
; COMPUTE_PGM_RSRC2:TIDIG_COMP_CNT: 0
; COMPUTE_PGM_RSRC3_GFX90A:ACCUM_OFFSET: 2
; COMPUTE_PGM_RSRC3_GFX90A:TG_SPLIT: 0
	.section	.text._ZN7rocprim17ROCPRIM_400000_NS6detail30init_device_scan_by_key_kernelINS1_19lookback_scan_stateINS0_5tupleIJibEEELb1ELb1EEENS1_16block_id_wrapperIjLb0EEEEEvT_jjPNS9_10value_typeET0_,"axG",@progbits,_ZN7rocprim17ROCPRIM_400000_NS6detail30init_device_scan_by_key_kernelINS1_19lookback_scan_stateINS0_5tupleIJibEEELb1ELb1EEENS1_16block_id_wrapperIjLb0EEEEEvT_jjPNS9_10value_typeET0_,comdat
	.protected	_ZN7rocprim17ROCPRIM_400000_NS6detail30init_device_scan_by_key_kernelINS1_19lookback_scan_stateINS0_5tupleIJibEEELb1ELb1EEENS1_16block_id_wrapperIjLb0EEEEEvT_jjPNS9_10value_typeET0_ ; -- Begin function _ZN7rocprim17ROCPRIM_400000_NS6detail30init_device_scan_by_key_kernelINS1_19lookback_scan_stateINS0_5tupleIJibEEELb1ELb1EEENS1_16block_id_wrapperIjLb0EEEEEvT_jjPNS9_10value_typeET0_
	.globl	_ZN7rocprim17ROCPRIM_400000_NS6detail30init_device_scan_by_key_kernelINS1_19lookback_scan_stateINS0_5tupleIJibEEELb1ELb1EEENS1_16block_id_wrapperIjLb0EEEEEvT_jjPNS9_10value_typeET0_
	.p2align	8
	.type	_ZN7rocprim17ROCPRIM_400000_NS6detail30init_device_scan_by_key_kernelINS1_19lookback_scan_stateINS0_5tupleIJibEEELb1ELb1EEENS1_16block_id_wrapperIjLb0EEEEEvT_jjPNS9_10value_typeET0_,@function
_ZN7rocprim17ROCPRIM_400000_NS6detail30init_device_scan_by_key_kernelINS1_19lookback_scan_stateINS0_5tupleIJibEEELb1ELb1EEENS1_16block_id_wrapperIjLb0EEEEEvT_jjPNS9_10value_typeET0_: ; @_ZN7rocprim17ROCPRIM_400000_NS6detail30init_device_scan_by_key_kernelINS1_19lookback_scan_stateINS0_5tupleIJibEEELb1ELb1EEENS1_16block_id_wrapperIjLb0EEEEEvT_jjPNS9_10value_typeET0_
; %bb.0:
	s_load_dword s3, s[0:1], 0x2c
	s_load_dwordx2 s[8:9], s[0:1], 0x10
	s_load_dwordx4 s[4:7], s[0:1], 0x0
	s_waitcnt lgkmcnt(0)
	s_and_b32 s0, s3, 0xffff
	s_mul_i32 s2, s2, s0
	s_cmp_eq_u64 s[8:9], 0
	v_add_u32_e32 v0, s2, v0
	s_cbranch_scc1 .LBB31_10
; %bb.1:
	s_cmp_lt_u32 s7, s6
	s_cselect_b32 s0, s7, 0
	s_mov_b32 s3, 0
	v_cmp_eq_u32_e32 vcc, s0, v0
	s_and_saveexec_b64 s[0:1], vcc
	s_cbranch_execz .LBB31_9
; %bb.2:
	s_add_i32 s2, s7, 64
	s_lshl_b64 s[2:3], s[2:3], 4
	s_add_u32 s12, s4, s2
	s_addc_u32 s13, s5, s3
	v_mov_b64_e32 v[2:3], s[12:13]
	;;#ASMSTART
	global_load_dwordx4 v[2:5], v[2:3] off sc1	
s_waitcnt vmcnt(0)
	;;#ASMEND
	v_mov_b32_e32 v7, 0
	v_and_b32_e32 v6, 0xff, v4
	s_mov_b64 s[10:11], 0
	v_cmp_eq_u64_e32 vcc, 0, v[6:7]
	s_and_saveexec_b64 s[2:3], vcc
	s_cbranch_execz .LBB31_8
; %bb.3:
	s_mov_b32 s7, 1
	v_mov_b64_e32 v[8:9], s[12:13]
.LBB31_4:                               ; =>This Loop Header: Depth=1
                                        ;     Child Loop BB31_5 Depth 2
	s_mov_b32 s12, s7
.LBB31_5:                               ;   Parent Loop BB31_4 Depth=1
                                        ; =>  This Inner Loop Header: Depth=2
	s_add_i32 s12, s12, -1
	s_cmp_eq_u32 s12, 0
	s_sleep 1
	s_cbranch_scc0 .LBB31_5
; %bb.6:                                ;   in Loop: Header=BB31_4 Depth=1
	s_cmp_lt_u32 s7, 32
	s_cselect_b64 s[12:13], -1, 0
	s_cmp_lg_u64 s[12:13], 0
	;;#ASMSTART
	global_load_dwordx4 v[2:5], v[8:9] off sc1	
s_waitcnt vmcnt(0)
	;;#ASMEND
	s_addc_u32 s7, s7, 0
	v_and_b32_e32 v6, 0xff, v4
	v_cmp_ne_u64_e32 vcc, 0, v[6:7]
	s_or_b64 s[10:11], vcc, s[10:11]
	s_andn2_b64 exec, exec, s[10:11]
	s_cbranch_execnz .LBB31_4
; %bb.7:
	s_or_b64 exec, exec, s[10:11]
.LBB31_8:
	s_or_b64 exec, exec, s[2:3]
	v_mov_b32_e32 v1, 0
	global_store_dword v1, v2, s[8:9]
	global_store_byte v1, v3, s[8:9] offset:4
.LBB31_9:
	s_or_b64 exec, exec, s[0:1]
.LBB31_10:
	v_cmp_gt_u32_e32 vcc, s6, v0
	s_and_saveexec_b64 s[0:1], vcc
	s_cbranch_execnz .LBB31_13
; %bb.11:
	s_or_b64 exec, exec, s[0:1]
	v_cmp_gt_u32_e32 vcc, 64, v0
	s_and_saveexec_b64 s[0:1], vcc
	s_cbranch_execnz .LBB31_14
.LBB31_12:
	s_endpgm
.LBB31_13:
	v_add_u32_e32 v2, 64, v0
	v_mov_b32_e32 v3, 0
	v_lshl_add_u64 v[6:7], v[2:3], 4, s[4:5]
	v_mov_b32_e32 v2, v3
	v_mov_b32_e32 v4, v3
	;; [unrolled: 1-line block ×3, first 2 shown]
	global_store_dwordx4 v[6:7], v[2:5], off
	s_or_b64 exec, exec, s[0:1]
	v_cmp_gt_u32_e32 vcc, 64, v0
	s_and_saveexec_b64 s[0:1], vcc
	s_cbranch_execz .LBB31_12
.LBB31_14:
	v_mov_b32_e32 v1, 0
	v_lshl_add_u64 v[4:5], v[0:1], 4, s[4:5]
	v_mov_b32_e32 v2, 0xff
	v_mov_b32_e32 v0, v1
	;; [unrolled: 1-line block ×3, first 2 shown]
	global_store_dwordx4 v[4:5], v[0:3], off
	s_endpgm
	.section	.rodata,"a",@progbits
	.p2align	6, 0x0
	.amdhsa_kernel _ZN7rocprim17ROCPRIM_400000_NS6detail30init_device_scan_by_key_kernelINS1_19lookback_scan_stateINS0_5tupleIJibEEELb1ELb1EEENS1_16block_id_wrapperIjLb0EEEEEvT_jjPNS9_10value_typeET0_
		.amdhsa_group_segment_fixed_size 0
		.amdhsa_private_segment_fixed_size 0
		.amdhsa_kernarg_size 288
		.amdhsa_user_sgpr_count 2
		.amdhsa_user_sgpr_dispatch_ptr 0
		.amdhsa_user_sgpr_queue_ptr 0
		.amdhsa_user_sgpr_kernarg_segment_ptr 1
		.amdhsa_user_sgpr_dispatch_id 0
		.amdhsa_user_sgpr_kernarg_preload_length 0
		.amdhsa_user_sgpr_kernarg_preload_offset 0
		.amdhsa_user_sgpr_private_segment_size 0
		.amdhsa_uses_dynamic_stack 0
		.amdhsa_enable_private_segment 0
		.amdhsa_system_sgpr_workgroup_id_x 1
		.amdhsa_system_sgpr_workgroup_id_y 0
		.amdhsa_system_sgpr_workgroup_id_z 0
		.amdhsa_system_sgpr_workgroup_info 0
		.amdhsa_system_vgpr_workitem_id 0
		.amdhsa_next_free_vgpr 10
		.amdhsa_next_free_sgpr 14
		.amdhsa_accum_offset 12
		.amdhsa_reserve_vcc 1
		.amdhsa_float_round_mode_32 0
		.amdhsa_float_round_mode_16_64 0
		.amdhsa_float_denorm_mode_32 3
		.amdhsa_float_denorm_mode_16_64 3
		.amdhsa_dx10_clamp 1
		.amdhsa_ieee_mode 1
		.amdhsa_fp16_overflow 0
		.amdhsa_tg_split 0
		.amdhsa_exception_fp_ieee_invalid_op 0
		.amdhsa_exception_fp_denorm_src 0
		.amdhsa_exception_fp_ieee_div_zero 0
		.amdhsa_exception_fp_ieee_overflow 0
		.amdhsa_exception_fp_ieee_underflow 0
		.amdhsa_exception_fp_ieee_inexact 0
		.amdhsa_exception_int_div_zero 0
	.end_amdhsa_kernel
	.section	.text._ZN7rocprim17ROCPRIM_400000_NS6detail30init_device_scan_by_key_kernelINS1_19lookback_scan_stateINS0_5tupleIJibEEELb1ELb1EEENS1_16block_id_wrapperIjLb0EEEEEvT_jjPNS9_10value_typeET0_,"axG",@progbits,_ZN7rocprim17ROCPRIM_400000_NS6detail30init_device_scan_by_key_kernelINS1_19lookback_scan_stateINS0_5tupleIJibEEELb1ELb1EEENS1_16block_id_wrapperIjLb0EEEEEvT_jjPNS9_10value_typeET0_,comdat
.Lfunc_end31:
	.size	_ZN7rocprim17ROCPRIM_400000_NS6detail30init_device_scan_by_key_kernelINS1_19lookback_scan_stateINS0_5tupleIJibEEELb1ELb1EEENS1_16block_id_wrapperIjLb0EEEEEvT_jjPNS9_10value_typeET0_, .Lfunc_end31-_ZN7rocprim17ROCPRIM_400000_NS6detail30init_device_scan_by_key_kernelINS1_19lookback_scan_stateINS0_5tupleIJibEEELb1ELb1EEENS1_16block_id_wrapperIjLb0EEEEEvT_jjPNS9_10value_typeET0_
                                        ; -- End function
	.set _ZN7rocprim17ROCPRIM_400000_NS6detail30init_device_scan_by_key_kernelINS1_19lookback_scan_stateINS0_5tupleIJibEEELb1ELb1EEENS1_16block_id_wrapperIjLb0EEEEEvT_jjPNS9_10value_typeET0_.num_vgpr, 10
	.set _ZN7rocprim17ROCPRIM_400000_NS6detail30init_device_scan_by_key_kernelINS1_19lookback_scan_stateINS0_5tupleIJibEEELb1ELb1EEENS1_16block_id_wrapperIjLb0EEEEEvT_jjPNS9_10value_typeET0_.num_agpr, 0
	.set _ZN7rocprim17ROCPRIM_400000_NS6detail30init_device_scan_by_key_kernelINS1_19lookback_scan_stateINS0_5tupleIJibEEELb1ELb1EEENS1_16block_id_wrapperIjLb0EEEEEvT_jjPNS9_10value_typeET0_.numbered_sgpr, 14
	.set _ZN7rocprim17ROCPRIM_400000_NS6detail30init_device_scan_by_key_kernelINS1_19lookback_scan_stateINS0_5tupleIJibEEELb1ELb1EEENS1_16block_id_wrapperIjLb0EEEEEvT_jjPNS9_10value_typeET0_.num_named_barrier, 0
	.set _ZN7rocprim17ROCPRIM_400000_NS6detail30init_device_scan_by_key_kernelINS1_19lookback_scan_stateINS0_5tupleIJibEEELb1ELb1EEENS1_16block_id_wrapperIjLb0EEEEEvT_jjPNS9_10value_typeET0_.private_seg_size, 0
	.set _ZN7rocprim17ROCPRIM_400000_NS6detail30init_device_scan_by_key_kernelINS1_19lookback_scan_stateINS0_5tupleIJibEEELb1ELb1EEENS1_16block_id_wrapperIjLb0EEEEEvT_jjPNS9_10value_typeET0_.uses_vcc, 1
	.set _ZN7rocprim17ROCPRIM_400000_NS6detail30init_device_scan_by_key_kernelINS1_19lookback_scan_stateINS0_5tupleIJibEEELb1ELb1EEENS1_16block_id_wrapperIjLb0EEEEEvT_jjPNS9_10value_typeET0_.uses_flat_scratch, 0
	.set _ZN7rocprim17ROCPRIM_400000_NS6detail30init_device_scan_by_key_kernelINS1_19lookback_scan_stateINS0_5tupleIJibEEELb1ELb1EEENS1_16block_id_wrapperIjLb0EEEEEvT_jjPNS9_10value_typeET0_.has_dyn_sized_stack, 0
	.set _ZN7rocprim17ROCPRIM_400000_NS6detail30init_device_scan_by_key_kernelINS1_19lookback_scan_stateINS0_5tupleIJibEEELb1ELb1EEENS1_16block_id_wrapperIjLb0EEEEEvT_jjPNS9_10value_typeET0_.has_recursion, 0
	.set _ZN7rocprim17ROCPRIM_400000_NS6detail30init_device_scan_by_key_kernelINS1_19lookback_scan_stateINS0_5tupleIJibEEELb1ELb1EEENS1_16block_id_wrapperIjLb0EEEEEvT_jjPNS9_10value_typeET0_.has_indirect_call, 0
	.section	.AMDGPU.csdata,"",@progbits
; Kernel info:
; codeLenInByte = 412
; TotalNumSgprs: 20
; NumVgprs: 10
; NumAgprs: 0
; TotalNumVgprs: 10
; ScratchSize: 0
; MemoryBound: 0
; FloatMode: 240
; IeeeMode: 1
; LDSByteSize: 0 bytes/workgroup (compile time only)
; SGPRBlocks: 2
; VGPRBlocks: 1
; NumSGPRsForWavesPerEU: 20
; NumVGPRsForWavesPerEU: 10
; AccumOffset: 12
; Occupancy: 8
; WaveLimiterHint : 0
; COMPUTE_PGM_RSRC2:SCRATCH_EN: 0
; COMPUTE_PGM_RSRC2:USER_SGPR: 2
; COMPUTE_PGM_RSRC2:TRAP_HANDLER: 0
; COMPUTE_PGM_RSRC2:TGID_X_EN: 1
; COMPUTE_PGM_RSRC2:TGID_Y_EN: 0
; COMPUTE_PGM_RSRC2:TGID_Z_EN: 0
; COMPUTE_PGM_RSRC2:TIDIG_COMP_CNT: 0
; COMPUTE_PGM_RSRC3_GFX90A:ACCUM_OFFSET: 2
; COMPUTE_PGM_RSRC3_GFX90A:TG_SPLIT: 0
	.section	.text._ZN7rocprim17ROCPRIM_400000_NS6detail17trampoline_kernelINS0_14default_configENS1_27scan_by_key_config_selectorIiiEEZZNS1_16scan_by_key_implILNS1_25lookback_scan_determinismE0ELb0ES3_PKiN6hipcub16HIPCUB_304000_NS21ConstantInputIteratorIilEEPiiNSB_3SumENSB_8EqualityEiEE10hipError_tPvRmT2_T3_T4_T5_mT6_T7_P12ihipStream_tbENKUlT_T0_E_clISt17integral_constantIbLb1EESW_IbLb0EEEEDaSS_ST_EUlSS_E_NS1_11comp_targetILNS1_3genE0ELNS1_11target_archE4294967295ELNS1_3gpuE0ELNS1_3repE0EEENS1_30default_config_static_selectorELNS0_4arch9wavefront6targetE1EEEvT1_,"axG",@progbits,_ZN7rocprim17ROCPRIM_400000_NS6detail17trampoline_kernelINS0_14default_configENS1_27scan_by_key_config_selectorIiiEEZZNS1_16scan_by_key_implILNS1_25lookback_scan_determinismE0ELb0ES3_PKiN6hipcub16HIPCUB_304000_NS21ConstantInputIteratorIilEEPiiNSB_3SumENSB_8EqualityEiEE10hipError_tPvRmT2_T3_T4_T5_mT6_T7_P12ihipStream_tbENKUlT_T0_E_clISt17integral_constantIbLb1EESW_IbLb0EEEEDaSS_ST_EUlSS_E_NS1_11comp_targetILNS1_3genE0ELNS1_11target_archE4294967295ELNS1_3gpuE0ELNS1_3repE0EEENS1_30default_config_static_selectorELNS0_4arch9wavefront6targetE1EEEvT1_,comdat
	.protected	_ZN7rocprim17ROCPRIM_400000_NS6detail17trampoline_kernelINS0_14default_configENS1_27scan_by_key_config_selectorIiiEEZZNS1_16scan_by_key_implILNS1_25lookback_scan_determinismE0ELb0ES3_PKiN6hipcub16HIPCUB_304000_NS21ConstantInputIteratorIilEEPiiNSB_3SumENSB_8EqualityEiEE10hipError_tPvRmT2_T3_T4_T5_mT6_T7_P12ihipStream_tbENKUlT_T0_E_clISt17integral_constantIbLb1EESW_IbLb0EEEEDaSS_ST_EUlSS_E_NS1_11comp_targetILNS1_3genE0ELNS1_11target_archE4294967295ELNS1_3gpuE0ELNS1_3repE0EEENS1_30default_config_static_selectorELNS0_4arch9wavefront6targetE1EEEvT1_ ; -- Begin function _ZN7rocprim17ROCPRIM_400000_NS6detail17trampoline_kernelINS0_14default_configENS1_27scan_by_key_config_selectorIiiEEZZNS1_16scan_by_key_implILNS1_25lookback_scan_determinismE0ELb0ES3_PKiN6hipcub16HIPCUB_304000_NS21ConstantInputIteratorIilEEPiiNSB_3SumENSB_8EqualityEiEE10hipError_tPvRmT2_T3_T4_T5_mT6_T7_P12ihipStream_tbENKUlT_T0_E_clISt17integral_constantIbLb1EESW_IbLb0EEEEDaSS_ST_EUlSS_E_NS1_11comp_targetILNS1_3genE0ELNS1_11target_archE4294967295ELNS1_3gpuE0ELNS1_3repE0EEENS1_30default_config_static_selectorELNS0_4arch9wavefront6targetE1EEEvT1_
	.globl	_ZN7rocprim17ROCPRIM_400000_NS6detail17trampoline_kernelINS0_14default_configENS1_27scan_by_key_config_selectorIiiEEZZNS1_16scan_by_key_implILNS1_25lookback_scan_determinismE0ELb0ES3_PKiN6hipcub16HIPCUB_304000_NS21ConstantInputIteratorIilEEPiiNSB_3SumENSB_8EqualityEiEE10hipError_tPvRmT2_T3_T4_T5_mT6_T7_P12ihipStream_tbENKUlT_T0_E_clISt17integral_constantIbLb1EESW_IbLb0EEEEDaSS_ST_EUlSS_E_NS1_11comp_targetILNS1_3genE0ELNS1_11target_archE4294967295ELNS1_3gpuE0ELNS1_3repE0EEENS1_30default_config_static_selectorELNS0_4arch9wavefront6targetE1EEEvT1_
	.p2align	8
	.type	_ZN7rocprim17ROCPRIM_400000_NS6detail17trampoline_kernelINS0_14default_configENS1_27scan_by_key_config_selectorIiiEEZZNS1_16scan_by_key_implILNS1_25lookback_scan_determinismE0ELb0ES3_PKiN6hipcub16HIPCUB_304000_NS21ConstantInputIteratorIilEEPiiNSB_3SumENSB_8EqualityEiEE10hipError_tPvRmT2_T3_T4_T5_mT6_T7_P12ihipStream_tbENKUlT_T0_E_clISt17integral_constantIbLb1EESW_IbLb0EEEEDaSS_ST_EUlSS_E_NS1_11comp_targetILNS1_3genE0ELNS1_11target_archE4294967295ELNS1_3gpuE0ELNS1_3repE0EEENS1_30default_config_static_selectorELNS0_4arch9wavefront6targetE1EEEvT1_,@function
_ZN7rocprim17ROCPRIM_400000_NS6detail17trampoline_kernelINS0_14default_configENS1_27scan_by_key_config_selectorIiiEEZZNS1_16scan_by_key_implILNS1_25lookback_scan_determinismE0ELb0ES3_PKiN6hipcub16HIPCUB_304000_NS21ConstantInputIteratorIilEEPiiNSB_3SumENSB_8EqualityEiEE10hipError_tPvRmT2_T3_T4_T5_mT6_T7_P12ihipStream_tbENKUlT_T0_E_clISt17integral_constantIbLb1EESW_IbLb0EEEEDaSS_ST_EUlSS_E_NS1_11comp_targetILNS1_3genE0ELNS1_11target_archE4294967295ELNS1_3gpuE0ELNS1_3repE0EEENS1_30default_config_static_selectorELNS0_4arch9wavefront6targetE1EEEvT1_: ; @_ZN7rocprim17ROCPRIM_400000_NS6detail17trampoline_kernelINS0_14default_configENS1_27scan_by_key_config_selectorIiiEEZZNS1_16scan_by_key_implILNS1_25lookback_scan_determinismE0ELb0ES3_PKiN6hipcub16HIPCUB_304000_NS21ConstantInputIteratorIilEEPiiNSB_3SumENSB_8EqualityEiEE10hipError_tPvRmT2_T3_T4_T5_mT6_T7_P12ihipStream_tbENKUlT_T0_E_clISt17integral_constantIbLb1EESW_IbLb0EEEEDaSS_ST_EUlSS_E_NS1_11comp_targetILNS1_3genE0ELNS1_11target_archE4294967295ELNS1_3gpuE0ELNS1_3repE0EEENS1_30default_config_static_selectorELNS0_4arch9wavefront6targetE1EEEvT1_
; %bb.0:
	s_endpgm
	.section	.rodata,"a",@progbits
	.p2align	6, 0x0
	.amdhsa_kernel _ZN7rocprim17ROCPRIM_400000_NS6detail17trampoline_kernelINS0_14default_configENS1_27scan_by_key_config_selectorIiiEEZZNS1_16scan_by_key_implILNS1_25lookback_scan_determinismE0ELb0ES3_PKiN6hipcub16HIPCUB_304000_NS21ConstantInputIteratorIilEEPiiNSB_3SumENSB_8EqualityEiEE10hipError_tPvRmT2_T3_T4_T5_mT6_T7_P12ihipStream_tbENKUlT_T0_E_clISt17integral_constantIbLb1EESW_IbLb0EEEEDaSS_ST_EUlSS_E_NS1_11comp_targetILNS1_3genE0ELNS1_11target_archE4294967295ELNS1_3gpuE0ELNS1_3repE0EEENS1_30default_config_static_selectorELNS0_4arch9wavefront6targetE1EEEvT1_
		.amdhsa_group_segment_fixed_size 0
		.amdhsa_private_segment_fixed_size 0
		.amdhsa_kernarg_size 120
		.amdhsa_user_sgpr_count 2
		.amdhsa_user_sgpr_dispatch_ptr 0
		.amdhsa_user_sgpr_queue_ptr 0
		.amdhsa_user_sgpr_kernarg_segment_ptr 1
		.amdhsa_user_sgpr_dispatch_id 0
		.amdhsa_user_sgpr_kernarg_preload_length 0
		.amdhsa_user_sgpr_kernarg_preload_offset 0
		.amdhsa_user_sgpr_private_segment_size 0
		.amdhsa_uses_dynamic_stack 0
		.amdhsa_enable_private_segment 0
		.amdhsa_system_sgpr_workgroup_id_x 1
		.amdhsa_system_sgpr_workgroup_id_y 0
		.amdhsa_system_sgpr_workgroup_id_z 0
		.amdhsa_system_sgpr_workgroup_info 0
		.amdhsa_system_vgpr_workitem_id 0
		.amdhsa_next_free_vgpr 1
		.amdhsa_next_free_sgpr 0
		.amdhsa_accum_offset 4
		.amdhsa_reserve_vcc 0
		.amdhsa_float_round_mode_32 0
		.amdhsa_float_round_mode_16_64 0
		.amdhsa_float_denorm_mode_32 3
		.amdhsa_float_denorm_mode_16_64 3
		.amdhsa_dx10_clamp 1
		.amdhsa_ieee_mode 1
		.amdhsa_fp16_overflow 0
		.amdhsa_tg_split 0
		.amdhsa_exception_fp_ieee_invalid_op 0
		.amdhsa_exception_fp_denorm_src 0
		.amdhsa_exception_fp_ieee_div_zero 0
		.amdhsa_exception_fp_ieee_overflow 0
		.amdhsa_exception_fp_ieee_underflow 0
		.amdhsa_exception_fp_ieee_inexact 0
		.amdhsa_exception_int_div_zero 0
	.end_amdhsa_kernel
	.section	.text._ZN7rocprim17ROCPRIM_400000_NS6detail17trampoline_kernelINS0_14default_configENS1_27scan_by_key_config_selectorIiiEEZZNS1_16scan_by_key_implILNS1_25lookback_scan_determinismE0ELb0ES3_PKiN6hipcub16HIPCUB_304000_NS21ConstantInputIteratorIilEEPiiNSB_3SumENSB_8EqualityEiEE10hipError_tPvRmT2_T3_T4_T5_mT6_T7_P12ihipStream_tbENKUlT_T0_E_clISt17integral_constantIbLb1EESW_IbLb0EEEEDaSS_ST_EUlSS_E_NS1_11comp_targetILNS1_3genE0ELNS1_11target_archE4294967295ELNS1_3gpuE0ELNS1_3repE0EEENS1_30default_config_static_selectorELNS0_4arch9wavefront6targetE1EEEvT1_,"axG",@progbits,_ZN7rocprim17ROCPRIM_400000_NS6detail17trampoline_kernelINS0_14default_configENS1_27scan_by_key_config_selectorIiiEEZZNS1_16scan_by_key_implILNS1_25lookback_scan_determinismE0ELb0ES3_PKiN6hipcub16HIPCUB_304000_NS21ConstantInputIteratorIilEEPiiNSB_3SumENSB_8EqualityEiEE10hipError_tPvRmT2_T3_T4_T5_mT6_T7_P12ihipStream_tbENKUlT_T0_E_clISt17integral_constantIbLb1EESW_IbLb0EEEEDaSS_ST_EUlSS_E_NS1_11comp_targetILNS1_3genE0ELNS1_11target_archE4294967295ELNS1_3gpuE0ELNS1_3repE0EEENS1_30default_config_static_selectorELNS0_4arch9wavefront6targetE1EEEvT1_,comdat
.Lfunc_end32:
	.size	_ZN7rocprim17ROCPRIM_400000_NS6detail17trampoline_kernelINS0_14default_configENS1_27scan_by_key_config_selectorIiiEEZZNS1_16scan_by_key_implILNS1_25lookback_scan_determinismE0ELb0ES3_PKiN6hipcub16HIPCUB_304000_NS21ConstantInputIteratorIilEEPiiNSB_3SumENSB_8EqualityEiEE10hipError_tPvRmT2_T3_T4_T5_mT6_T7_P12ihipStream_tbENKUlT_T0_E_clISt17integral_constantIbLb1EESW_IbLb0EEEEDaSS_ST_EUlSS_E_NS1_11comp_targetILNS1_3genE0ELNS1_11target_archE4294967295ELNS1_3gpuE0ELNS1_3repE0EEENS1_30default_config_static_selectorELNS0_4arch9wavefront6targetE1EEEvT1_, .Lfunc_end32-_ZN7rocprim17ROCPRIM_400000_NS6detail17trampoline_kernelINS0_14default_configENS1_27scan_by_key_config_selectorIiiEEZZNS1_16scan_by_key_implILNS1_25lookback_scan_determinismE0ELb0ES3_PKiN6hipcub16HIPCUB_304000_NS21ConstantInputIteratorIilEEPiiNSB_3SumENSB_8EqualityEiEE10hipError_tPvRmT2_T3_T4_T5_mT6_T7_P12ihipStream_tbENKUlT_T0_E_clISt17integral_constantIbLb1EESW_IbLb0EEEEDaSS_ST_EUlSS_E_NS1_11comp_targetILNS1_3genE0ELNS1_11target_archE4294967295ELNS1_3gpuE0ELNS1_3repE0EEENS1_30default_config_static_selectorELNS0_4arch9wavefront6targetE1EEEvT1_
                                        ; -- End function
	.set _ZN7rocprim17ROCPRIM_400000_NS6detail17trampoline_kernelINS0_14default_configENS1_27scan_by_key_config_selectorIiiEEZZNS1_16scan_by_key_implILNS1_25lookback_scan_determinismE0ELb0ES3_PKiN6hipcub16HIPCUB_304000_NS21ConstantInputIteratorIilEEPiiNSB_3SumENSB_8EqualityEiEE10hipError_tPvRmT2_T3_T4_T5_mT6_T7_P12ihipStream_tbENKUlT_T0_E_clISt17integral_constantIbLb1EESW_IbLb0EEEEDaSS_ST_EUlSS_E_NS1_11comp_targetILNS1_3genE0ELNS1_11target_archE4294967295ELNS1_3gpuE0ELNS1_3repE0EEENS1_30default_config_static_selectorELNS0_4arch9wavefront6targetE1EEEvT1_.num_vgpr, 0
	.set _ZN7rocprim17ROCPRIM_400000_NS6detail17trampoline_kernelINS0_14default_configENS1_27scan_by_key_config_selectorIiiEEZZNS1_16scan_by_key_implILNS1_25lookback_scan_determinismE0ELb0ES3_PKiN6hipcub16HIPCUB_304000_NS21ConstantInputIteratorIilEEPiiNSB_3SumENSB_8EqualityEiEE10hipError_tPvRmT2_T3_T4_T5_mT6_T7_P12ihipStream_tbENKUlT_T0_E_clISt17integral_constantIbLb1EESW_IbLb0EEEEDaSS_ST_EUlSS_E_NS1_11comp_targetILNS1_3genE0ELNS1_11target_archE4294967295ELNS1_3gpuE0ELNS1_3repE0EEENS1_30default_config_static_selectorELNS0_4arch9wavefront6targetE1EEEvT1_.num_agpr, 0
	.set _ZN7rocprim17ROCPRIM_400000_NS6detail17trampoline_kernelINS0_14default_configENS1_27scan_by_key_config_selectorIiiEEZZNS1_16scan_by_key_implILNS1_25lookback_scan_determinismE0ELb0ES3_PKiN6hipcub16HIPCUB_304000_NS21ConstantInputIteratorIilEEPiiNSB_3SumENSB_8EqualityEiEE10hipError_tPvRmT2_T3_T4_T5_mT6_T7_P12ihipStream_tbENKUlT_T0_E_clISt17integral_constantIbLb1EESW_IbLb0EEEEDaSS_ST_EUlSS_E_NS1_11comp_targetILNS1_3genE0ELNS1_11target_archE4294967295ELNS1_3gpuE0ELNS1_3repE0EEENS1_30default_config_static_selectorELNS0_4arch9wavefront6targetE1EEEvT1_.numbered_sgpr, 0
	.set _ZN7rocprim17ROCPRIM_400000_NS6detail17trampoline_kernelINS0_14default_configENS1_27scan_by_key_config_selectorIiiEEZZNS1_16scan_by_key_implILNS1_25lookback_scan_determinismE0ELb0ES3_PKiN6hipcub16HIPCUB_304000_NS21ConstantInputIteratorIilEEPiiNSB_3SumENSB_8EqualityEiEE10hipError_tPvRmT2_T3_T4_T5_mT6_T7_P12ihipStream_tbENKUlT_T0_E_clISt17integral_constantIbLb1EESW_IbLb0EEEEDaSS_ST_EUlSS_E_NS1_11comp_targetILNS1_3genE0ELNS1_11target_archE4294967295ELNS1_3gpuE0ELNS1_3repE0EEENS1_30default_config_static_selectorELNS0_4arch9wavefront6targetE1EEEvT1_.num_named_barrier, 0
	.set _ZN7rocprim17ROCPRIM_400000_NS6detail17trampoline_kernelINS0_14default_configENS1_27scan_by_key_config_selectorIiiEEZZNS1_16scan_by_key_implILNS1_25lookback_scan_determinismE0ELb0ES3_PKiN6hipcub16HIPCUB_304000_NS21ConstantInputIteratorIilEEPiiNSB_3SumENSB_8EqualityEiEE10hipError_tPvRmT2_T3_T4_T5_mT6_T7_P12ihipStream_tbENKUlT_T0_E_clISt17integral_constantIbLb1EESW_IbLb0EEEEDaSS_ST_EUlSS_E_NS1_11comp_targetILNS1_3genE0ELNS1_11target_archE4294967295ELNS1_3gpuE0ELNS1_3repE0EEENS1_30default_config_static_selectorELNS0_4arch9wavefront6targetE1EEEvT1_.private_seg_size, 0
	.set _ZN7rocprim17ROCPRIM_400000_NS6detail17trampoline_kernelINS0_14default_configENS1_27scan_by_key_config_selectorIiiEEZZNS1_16scan_by_key_implILNS1_25lookback_scan_determinismE0ELb0ES3_PKiN6hipcub16HIPCUB_304000_NS21ConstantInputIteratorIilEEPiiNSB_3SumENSB_8EqualityEiEE10hipError_tPvRmT2_T3_T4_T5_mT6_T7_P12ihipStream_tbENKUlT_T0_E_clISt17integral_constantIbLb1EESW_IbLb0EEEEDaSS_ST_EUlSS_E_NS1_11comp_targetILNS1_3genE0ELNS1_11target_archE4294967295ELNS1_3gpuE0ELNS1_3repE0EEENS1_30default_config_static_selectorELNS0_4arch9wavefront6targetE1EEEvT1_.uses_vcc, 0
	.set _ZN7rocprim17ROCPRIM_400000_NS6detail17trampoline_kernelINS0_14default_configENS1_27scan_by_key_config_selectorIiiEEZZNS1_16scan_by_key_implILNS1_25lookback_scan_determinismE0ELb0ES3_PKiN6hipcub16HIPCUB_304000_NS21ConstantInputIteratorIilEEPiiNSB_3SumENSB_8EqualityEiEE10hipError_tPvRmT2_T3_T4_T5_mT6_T7_P12ihipStream_tbENKUlT_T0_E_clISt17integral_constantIbLb1EESW_IbLb0EEEEDaSS_ST_EUlSS_E_NS1_11comp_targetILNS1_3genE0ELNS1_11target_archE4294967295ELNS1_3gpuE0ELNS1_3repE0EEENS1_30default_config_static_selectorELNS0_4arch9wavefront6targetE1EEEvT1_.uses_flat_scratch, 0
	.set _ZN7rocprim17ROCPRIM_400000_NS6detail17trampoline_kernelINS0_14default_configENS1_27scan_by_key_config_selectorIiiEEZZNS1_16scan_by_key_implILNS1_25lookback_scan_determinismE0ELb0ES3_PKiN6hipcub16HIPCUB_304000_NS21ConstantInputIteratorIilEEPiiNSB_3SumENSB_8EqualityEiEE10hipError_tPvRmT2_T3_T4_T5_mT6_T7_P12ihipStream_tbENKUlT_T0_E_clISt17integral_constantIbLb1EESW_IbLb0EEEEDaSS_ST_EUlSS_E_NS1_11comp_targetILNS1_3genE0ELNS1_11target_archE4294967295ELNS1_3gpuE0ELNS1_3repE0EEENS1_30default_config_static_selectorELNS0_4arch9wavefront6targetE1EEEvT1_.has_dyn_sized_stack, 0
	.set _ZN7rocprim17ROCPRIM_400000_NS6detail17trampoline_kernelINS0_14default_configENS1_27scan_by_key_config_selectorIiiEEZZNS1_16scan_by_key_implILNS1_25lookback_scan_determinismE0ELb0ES3_PKiN6hipcub16HIPCUB_304000_NS21ConstantInputIteratorIilEEPiiNSB_3SumENSB_8EqualityEiEE10hipError_tPvRmT2_T3_T4_T5_mT6_T7_P12ihipStream_tbENKUlT_T0_E_clISt17integral_constantIbLb1EESW_IbLb0EEEEDaSS_ST_EUlSS_E_NS1_11comp_targetILNS1_3genE0ELNS1_11target_archE4294967295ELNS1_3gpuE0ELNS1_3repE0EEENS1_30default_config_static_selectorELNS0_4arch9wavefront6targetE1EEEvT1_.has_recursion, 0
	.set _ZN7rocprim17ROCPRIM_400000_NS6detail17trampoline_kernelINS0_14default_configENS1_27scan_by_key_config_selectorIiiEEZZNS1_16scan_by_key_implILNS1_25lookback_scan_determinismE0ELb0ES3_PKiN6hipcub16HIPCUB_304000_NS21ConstantInputIteratorIilEEPiiNSB_3SumENSB_8EqualityEiEE10hipError_tPvRmT2_T3_T4_T5_mT6_T7_P12ihipStream_tbENKUlT_T0_E_clISt17integral_constantIbLb1EESW_IbLb0EEEEDaSS_ST_EUlSS_E_NS1_11comp_targetILNS1_3genE0ELNS1_11target_archE4294967295ELNS1_3gpuE0ELNS1_3repE0EEENS1_30default_config_static_selectorELNS0_4arch9wavefront6targetE1EEEvT1_.has_indirect_call, 0
	.section	.AMDGPU.csdata,"",@progbits
; Kernel info:
; codeLenInByte = 4
; TotalNumSgprs: 6
; NumVgprs: 0
; NumAgprs: 0
; TotalNumVgprs: 0
; ScratchSize: 0
; MemoryBound: 0
; FloatMode: 240
; IeeeMode: 1
; LDSByteSize: 0 bytes/workgroup (compile time only)
; SGPRBlocks: 0
; VGPRBlocks: 0
; NumSGPRsForWavesPerEU: 6
; NumVGPRsForWavesPerEU: 1
; AccumOffset: 4
; Occupancy: 8
; WaveLimiterHint : 0
; COMPUTE_PGM_RSRC2:SCRATCH_EN: 0
; COMPUTE_PGM_RSRC2:USER_SGPR: 2
; COMPUTE_PGM_RSRC2:TRAP_HANDLER: 0
; COMPUTE_PGM_RSRC2:TGID_X_EN: 1
; COMPUTE_PGM_RSRC2:TGID_Y_EN: 0
; COMPUTE_PGM_RSRC2:TGID_Z_EN: 0
; COMPUTE_PGM_RSRC2:TIDIG_COMP_CNT: 0
; COMPUTE_PGM_RSRC3_GFX90A:ACCUM_OFFSET: 0
; COMPUTE_PGM_RSRC3_GFX90A:TG_SPLIT: 0
	.section	.text._ZN7rocprim17ROCPRIM_400000_NS6detail17trampoline_kernelINS0_14default_configENS1_27scan_by_key_config_selectorIiiEEZZNS1_16scan_by_key_implILNS1_25lookback_scan_determinismE0ELb0ES3_PKiN6hipcub16HIPCUB_304000_NS21ConstantInputIteratorIilEEPiiNSB_3SumENSB_8EqualityEiEE10hipError_tPvRmT2_T3_T4_T5_mT6_T7_P12ihipStream_tbENKUlT_T0_E_clISt17integral_constantIbLb1EESW_IbLb0EEEEDaSS_ST_EUlSS_E_NS1_11comp_targetILNS1_3genE10ELNS1_11target_archE1201ELNS1_3gpuE5ELNS1_3repE0EEENS1_30default_config_static_selectorELNS0_4arch9wavefront6targetE1EEEvT1_,"axG",@progbits,_ZN7rocprim17ROCPRIM_400000_NS6detail17trampoline_kernelINS0_14default_configENS1_27scan_by_key_config_selectorIiiEEZZNS1_16scan_by_key_implILNS1_25lookback_scan_determinismE0ELb0ES3_PKiN6hipcub16HIPCUB_304000_NS21ConstantInputIteratorIilEEPiiNSB_3SumENSB_8EqualityEiEE10hipError_tPvRmT2_T3_T4_T5_mT6_T7_P12ihipStream_tbENKUlT_T0_E_clISt17integral_constantIbLb1EESW_IbLb0EEEEDaSS_ST_EUlSS_E_NS1_11comp_targetILNS1_3genE10ELNS1_11target_archE1201ELNS1_3gpuE5ELNS1_3repE0EEENS1_30default_config_static_selectorELNS0_4arch9wavefront6targetE1EEEvT1_,comdat
	.protected	_ZN7rocprim17ROCPRIM_400000_NS6detail17trampoline_kernelINS0_14default_configENS1_27scan_by_key_config_selectorIiiEEZZNS1_16scan_by_key_implILNS1_25lookback_scan_determinismE0ELb0ES3_PKiN6hipcub16HIPCUB_304000_NS21ConstantInputIteratorIilEEPiiNSB_3SumENSB_8EqualityEiEE10hipError_tPvRmT2_T3_T4_T5_mT6_T7_P12ihipStream_tbENKUlT_T0_E_clISt17integral_constantIbLb1EESW_IbLb0EEEEDaSS_ST_EUlSS_E_NS1_11comp_targetILNS1_3genE10ELNS1_11target_archE1201ELNS1_3gpuE5ELNS1_3repE0EEENS1_30default_config_static_selectorELNS0_4arch9wavefront6targetE1EEEvT1_ ; -- Begin function _ZN7rocprim17ROCPRIM_400000_NS6detail17trampoline_kernelINS0_14default_configENS1_27scan_by_key_config_selectorIiiEEZZNS1_16scan_by_key_implILNS1_25lookback_scan_determinismE0ELb0ES3_PKiN6hipcub16HIPCUB_304000_NS21ConstantInputIteratorIilEEPiiNSB_3SumENSB_8EqualityEiEE10hipError_tPvRmT2_T3_T4_T5_mT6_T7_P12ihipStream_tbENKUlT_T0_E_clISt17integral_constantIbLb1EESW_IbLb0EEEEDaSS_ST_EUlSS_E_NS1_11comp_targetILNS1_3genE10ELNS1_11target_archE1201ELNS1_3gpuE5ELNS1_3repE0EEENS1_30default_config_static_selectorELNS0_4arch9wavefront6targetE1EEEvT1_
	.globl	_ZN7rocprim17ROCPRIM_400000_NS6detail17trampoline_kernelINS0_14default_configENS1_27scan_by_key_config_selectorIiiEEZZNS1_16scan_by_key_implILNS1_25lookback_scan_determinismE0ELb0ES3_PKiN6hipcub16HIPCUB_304000_NS21ConstantInputIteratorIilEEPiiNSB_3SumENSB_8EqualityEiEE10hipError_tPvRmT2_T3_T4_T5_mT6_T7_P12ihipStream_tbENKUlT_T0_E_clISt17integral_constantIbLb1EESW_IbLb0EEEEDaSS_ST_EUlSS_E_NS1_11comp_targetILNS1_3genE10ELNS1_11target_archE1201ELNS1_3gpuE5ELNS1_3repE0EEENS1_30default_config_static_selectorELNS0_4arch9wavefront6targetE1EEEvT1_
	.p2align	8
	.type	_ZN7rocprim17ROCPRIM_400000_NS6detail17trampoline_kernelINS0_14default_configENS1_27scan_by_key_config_selectorIiiEEZZNS1_16scan_by_key_implILNS1_25lookback_scan_determinismE0ELb0ES3_PKiN6hipcub16HIPCUB_304000_NS21ConstantInputIteratorIilEEPiiNSB_3SumENSB_8EqualityEiEE10hipError_tPvRmT2_T3_T4_T5_mT6_T7_P12ihipStream_tbENKUlT_T0_E_clISt17integral_constantIbLb1EESW_IbLb0EEEEDaSS_ST_EUlSS_E_NS1_11comp_targetILNS1_3genE10ELNS1_11target_archE1201ELNS1_3gpuE5ELNS1_3repE0EEENS1_30default_config_static_selectorELNS0_4arch9wavefront6targetE1EEEvT1_,@function
_ZN7rocprim17ROCPRIM_400000_NS6detail17trampoline_kernelINS0_14default_configENS1_27scan_by_key_config_selectorIiiEEZZNS1_16scan_by_key_implILNS1_25lookback_scan_determinismE0ELb0ES3_PKiN6hipcub16HIPCUB_304000_NS21ConstantInputIteratorIilEEPiiNSB_3SumENSB_8EqualityEiEE10hipError_tPvRmT2_T3_T4_T5_mT6_T7_P12ihipStream_tbENKUlT_T0_E_clISt17integral_constantIbLb1EESW_IbLb0EEEEDaSS_ST_EUlSS_E_NS1_11comp_targetILNS1_3genE10ELNS1_11target_archE1201ELNS1_3gpuE5ELNS1_3repE0EEENS1_30default_config_static_selectorELNS0_4arch9wavefront6targetE1EEEvT1_: ; @_ZN7rocprim17ROCPRIM_400000_NS6detail17trampoline_kernelINS0_14default_configENS1_27scan_by_key_config_selectorIiiEEZZNS1_16scan_by_key_implILNS1_25lookback_scan_determinismE0ELb0ES3_PKiN6hipcub16HIPCUB_304000_NS21ConstantInputIteratorIilEEPiiNSB_3SumENSB_8EqualityEiEE10hipError_tPvRmT2_T3_T4_T5_mT6_T7_P12ihipStream_tbENKUlT_T0_E_clISt17integral_constantIbLb1EESW_IbLb0EEEEDaSS_ST_EUlSS_E_NS1_11comp_targetILNS1_3genE10ELNS1_11target_archE1201ELNS1_3gpuE5ELNS1_3repE0EEENS1_30default_config_static_selectorELNS0_4arch9wavefront6targetE1EEEvT1_
; %bb.0:
	.section	.rodata,"a",@progbits
	.p2align	6, 0x0
	.amdhsa_kernel _ZN7rocprim17ROCPRIM_400000_NS6detail17trampoline_kernelINS0_14default_configENS1_27scan_by_key_config_selectorIiiEEZZNS1_16scan_by_key_implILNS1_25lookback_scan_determinismE0ELb0ES3_PKiN6hipcub16HIPCUB_304000_NS21ConstantInputIteratorIilEEPiiNSB_3SumENSB_8EqualityEiEE10hipError_tPvRmT2_T3_T4_T5_mT6_T7_P12ihipStream_tbENKUlT_T0_E_clISt17integral_constantIbLb1EESW_IbLb0EEEEDaSS_ST_EUlSS_E_NS1_11comp_targetILNS1_3genE10ELNS1_11target_archE1201ELNS1_3gpuE5ELNS1_3repE0EEENS1_30default_config_static_selectorELNS0_4arch9wavefront6targetE1EEEvT1_
		.amdhsa_group_segment_fixed_size 0
		.amdhsa_private_segment_fixed_size 0
		.amdhsa_kernarg_size 120
		.amdhsa_user_sgpr_count 2
		.amdhsa_user_sgpr_dispatch_ptr 0
		.amdhsa_user_sgpr_queue_ptr 0
		.amdhsa_user_sgpr_kernarg_segment_ptr 1
		.amdhsa_user_sgpr_dispatch_id 0
		.amdhsa_user_sgpr_kernarg_preload_length 0
		.amdhsa_user_sgpr_kernarg_preload_offset 0
		.amdhsa_user_sgpr_private_segment_size 0
		.amdhsa_uses_dynamic_stack 0
		.amdhsa_enable_private_segment 0
		.amdhsa_system_sgpr_workgroup_id_x 1
		.amdhsa_system_sgpr_workgroup_id_y 0
		.amdhsa_system_sgpr_workgroup_id_z 0
		.amdhsa_system_sgpr_workgroup_info 0
		.amdhsa_system_vgpr_workitem_id 0
		.amdhsa_next_free_vgpr 1
		.amdhsa_next_free_sgpr 0
		.amdhsa_accum_offset 4
		.amdhsa_reserve_vcc 0
		.amdhsa_float_round_mode_32 0
		.amdhsa_float_round_mode_16_64 0
		.amdhsa_float_denorm_mode_32 3
		.amdhsa_float_denorm_mode_16_64 3
		.amdhsa_dx10_clamp 1
		.amdhsa_ieee_mode 1
		.amdhsa_fp16_overflow 0
		.amdhsa_tg_split 0
		.amdhsa_exception_fp_ieee_invalid_op 0
		.amdhsa_exception_fp_denorm_src 0
		.amdhsa_exception_fp_ieee_div_zero 0
		.amdhsa_exception_fp_ieee_overflow 0
		.amdhsa_exception_fp_ieee_underflow 0
		.amdhsa_exception_fp_ieee_inexact 0
		.amdhsa_exception_int_div_zero 0
	.end_amdhsa_kernel
	.section	.text._ZN7rocprim17ROCPRIM_400000_NS6detail17trampoline_kernelINS0_14default_configENS1_27scan_by_key_config_selectorIiiEEZZNS1_16scan_by_key_implILNS1_25lookback_scan_determinismE0ELb0ES3_PKiN6hipcub16HIPCUB_304000_NS21ConstantInputIteratorIilEEPiiNSB_3SumENSB_8EqualityEiEE10hipError_tPvRmT2_T3_T4_T5_mT6_T7_P12ihipStream_tbENKUlT_T0_E_clISt17integral_constantIbLb1EESW_IbLb0EEEEDaSS_ST_EUlSS_E_NS1_11comp_targetILNS1_3genE10ELNS1_11target_archE1201ELNS1_3gpuE5ELNS1_3repE0EEENS1_30default_config_static_selectorELNS0_4arch9wavefront6targetE1EEEvT1_,"axG",@progbits,_ZN7rocprim17ROCPRIM_400000_NS6detail17trampoline_kernelINS0_14default_configENS1_27scan_by_key_config_selectorIiiEEZZNS1_16scan_by_key_implILNS1_25lookback_scan_determinismE0ELb0ES3_PKiN6hipcub16HIPCUB_304000_NS21ConstantInputIteratorIilEEPiiNSB_3SumENSB_8EqualityEiEE10hipError_tPvRmT2_T3_T4_T5_mT6_T7_P12ihipStream_tbENKUlT_T0_E_clISt17integral_constantIbLb1EESW_IbLb0EEEEDaSS_ST_EUlSS_E_NS1_11comp_targetILNS1_3genE10ELNS1_11target_archE1201ELNS1_3gpuE5ELNS1_3repE0EEENS1_30default_config_static_selectorELNS0_4arch9wavefront6targetE1EEEvT1_,comdat
.Lfunc_end33:
	.size	_ZN7rocprim17ROCPRIM_400000_NS6detail17trampoline_kernelINS0_14default_configENS1_27scan_by_key_config_selectorIiiEEZZNS1_16scan_by_key_implILNS1_25lookback_scan_determinismE0ELb0ES3_PKiN6hipcub16HIPCUB_304000_NS21ConstantInputIteratorIilEEPiiNSB_3SumENSB_8EqualityEiEE10hipError_tPvRmT2_T3_T4_T5_mT6_T7_P12ihipStream_tbENKUlT_T0_E_clISt17integral_constantIbLb1EESW_IbLb0EEEEDaSS_ST_EUlSS_E_NS1_11comp_targetILNS1_3genE10ELNS1_11target_archE1201ELNS1_3gpuE5ELNS1_3repE0EEENS1_30default_config_static_selectorELNS0_4arch9wavefront6targetE1EEEvT1_, .Lfunc_end33-_ZN7rocprim17ROCPRIM_400000_NS6detail17trampoline_kernelINS0_14default_configENS1_27scan_by_key_config_selectorIiiEEZZNS1_16scan_by_key_implILNS1_25lookback_scan_determinismE0ELb0ES3_PKiN6hipcub16HIPCUB_304000_NS21ConstantInputIteratorIilEEPiiNSB_3SumENSB_8EqualityEiEE10hipError_tPvRmT2_T3_T4_T5_mT6_T7_P12ihipStream_tbENKUlT_T0_E_clISt17integral_constantIbLb1EESW_IbLb0EEEEDaSS_ST_EUlSS_E_NS1_11comp_targetILNS1_3genE10ELNS1_11target_archE1201ELNS1_3gpuE5ELNS1_3repE0EEENS1_30default_config_static_selectorELNS0_4arch9wavefront6targetE1EEEvT1_
                                        ; -- End function
	.set _ZN7rocprim17ROCPRIM_400000_NS6detail17trampoline_kernelINS0_14default_configENS1_27scan_by_key_config_selectorIiiEEZZNS1_16scan_by_key_implILNS1_25lookback_scan_determinismE0ELb0ES3_PKiN6hipcub16HIPCUB_304000_NS21ConstantInputIteratorIilEEPiiNSB_3SumENSB_8EqualityEiEE10hipError_tPvRmT2_T3_T4_T5_mT6_T7_P12ihipStream_tbENKUlT_T0_E_clISt17integral_constantIbLb1EESW_IbLb0EEEEDaSS_ST_EUlSS_E_NS1_11comp_targetILNS1_3genE10ELNS1_11target_archE1201ELNS1_3gpuE5ELNS1_3repE0EEENS1_30default_config_static_selectorELNS0_4arch9wavefront6targetE1EEEvT1_.num_vgpr, 0
	.set _ZN7rocprim17ROCPRIM_400000_NS6detail17trampoline_kernelINS0_14default_configENS1_27scan_by_key_config_selectorIiiEEZZNS1_16scan_by_key_implILNS1_25lookback_scan_determinismE0ELb0ES3_PKiN6hipcub16HIPCUB_304000_NS21ConstantInputIteratorIilEEPiiNSB_3SumENSB_8EqualityEiEE10hipError_tPvRmT2_T3_T4_T5_mT6_T7_P12ihipStream_tbENKUlT_T0_E_clISt17integral_constantIbLb1EESW_IbLb0EEEEDaSS_ST_EUlSS_E_NS1_11comp_targetILNS1_3genE10ELNS1_11target_archE1201ELNS1_3gpuE5ELNS1_3repE0EEENS1_30default_config_static_selectorELNS0_4arch9wavefront6targetE1EEEvT1_.num_agpr, 0
	.set _ZN7rocprim17ROCPRIM_400000_NS6detail17trampoline_kernelINS0_14default_configENS1_27scan_by_key_config_selectorIiiEEZZNS1_16scan_by_key_implILNS1_25lookback_scan_determinismE0ELb0ES3_PKiN6hipcub16HIPCUB_304000_NS21ConstantInputIteratorIilEEPiiNSB_3SumENSB_8EqualityEiEE10hipError_tPvRmT2_T3_T4_T5_mT6_T7_P12ihipStream_tbENKUlT_T0_E_clISt17integral_constantIbLb1EESW_IbLb0EEEEDaSS_ST_EUlSS_E_NS1_11comp_targetILNS1_3genE10ELNS1_11target_archE1201ELNS1_3gpuE5ELNS1_3repE0EEENS1_30default_config_static_selectorELNS0_4arch9wavefront6targetE1EEEvT1_.numbered_sgpr, 0
	.set _ZN7rocprim17ROCPRIM_400000_NS6detail17trampoline_kernelINS0_14default_configENS1_27scan_by_key_config_selectorIiiEEZZNS1_16scan_by_key_implILNS1_25lookback_scan_determinismE0ELb0ES3_PKiN6hipcub16HIPCUB_304000_NS21ConstantInputIteratorIilEEPiiNSB_3SumENSB_8EqualityEiEE10hipError_tPvRmT2_T3_T4_T5_mT6_T7_P12ihipStream_tbENKUlT_T0_E_clISt17integral_constantIbLb1EESW_IbLb0EEEEDaSS_ST_EUlSS_E_NS1_11comp_targetILNS1_3genE10ELNS1_11target_archE1201ELNS1_3gpuE5ELNS1_3repE0EEENS1_30default_config_static_selectorELNS0_4arch9wavefront6targetE1EEEvT1_.num_named_barrier, 0
	.set _ZN7rocprim17ROCPRIM_400000_NS6detail17trampoline_kernelINS0_14default_configENS1_27scan_by_key_config_selectorIiiEEZZNS1_16scan_by_key_implILNS1_25lookback_scan_determinismE0ELb0ES3_PKiN6hipcub16HIPCUB_304000_NS21ConstantInputIteratorIilEEPiiNSB_3SumENSB_8EqualityEiEE10hipError_tPvRmT2_T3_T4_T5_mT6_T7_P12ihipStream_tbENKUlT_T0_E_clISt17integral_constantIbLb1EESW_IbLb0EEEEDaSS_ST_EUlSS_E_NS1_11comp_targetILNS1_3genE10ELNS1_11target_archE1201ELNS1_3gpuE5ELNS1_3repE0EEENS1_30default_config_static_selectorELNS0_4arch9wavefront6targetE1EEEvT1_.private_seg_size, 0
	.set _ZN7rocprim17ROCPRIM_400000_NS6detail17trampoline_kernelINS0_14default_configENS1_27scan_by_key_config_selectorIiiEEZZNS1_16scan_by_key_implILNS1_25lookback_scan_determinismE0ELb0ES3_PKiN6hipcub16HIPCUB_304000_NS21ConstantInputIteratorIilEEPiiNSB_3SumENSB_8EqualityEiEE10hipError_tPvRmT2_T3_T4_T5_mT6_T7_P12ihipStream_tbENKUlT_T0_E_clISt17integral_constantIbLb1EESW_IbLb0EEEEDaSS_ST_EUlSS_E_NS1_11comp_targetILNS1_3genE10ELNS1_11target_archE1201ELNS1_3gpuE5ELNS1_3repE0EEENS1_30default_config_static_selectorELNS0_4arch9wavefront6targetE1EEEvT1_.uses_vcc, 0
	.set _ZN7rocprim17ROCPRIM_400000_NS6detail17trampoline_kernelINS0_14default_configENS1_27scan_by_key_config_selectorIiiEEZZNS1_16scan_by_key_implILNS1_25lookback_scan_determinismE0ELb0ES3_PKiN6hipcub16HIPCUB_304000_NS21ConstantInputIteratorIilEEPiiNSB_3SumENSB_8EqualityEiEE10hipError_tPvRmT2_T3_T4_T5_mT6_T7_P12ihipStream_tbENKUlT_T0_E_clISt17integral_constantIbLb1EESW_IbLb0EEEEDaSS_ST_EUlSS_E_NS1_11comp_targetILNS1_3genE10ELNS1_11target_archE1201ELNS1_3gpuE5ELNS1_3repE0EEENS1_30default_config_static_selectorELNS0_4arch9wavefront6targetE1EEEvT1_.uses_flat_scratch, 0
	.set _ZN7rocprim17ROCPRIM_400000_NS6detail17trampoline_kernelINS0_14default_configENS1_27scan_by_key_config_selectorIiiEEZZNS1_16scan_by_key_implILNS1_25lookback_scan_determinismE0ELb0ES3_PKiN6hipcub16HIPCUB_304000_NS21ConstantInputIteratorIilEEPiiNSB_3SumENSB_8EqualityEiEE10hipError_tPvRmT2_T3_T4_T5_mT6_T7_P12ihipStream_tbENKUlT_T0_E_clISt17integral_constantIbLb1EESW_IbLb0EEEEDaSS_ST_EUlSS_E_NS1_11comp_targetILNS1_3genE10ELNS1_11target_archE1201ELNS1_3gpuE5ELNS1_3repE0EEENS1_30default_config_static_selectorELNS0_4arch9wavefront6targetE1EEEvT1_.has_dyn_sized_stack, 0
	.set _ZN7rocprim17ROCPRIM_400000_NS6detail17trampoline_kernelINS0_14default_configENS1_27scan_by_key_config_selectorIiiEEZZNS1_16scan_by_key_implILNS1_25lookback_scan_determinismE0ELb0ES3_PKiN6hipcub16HIPCUB_304000_NS21ConstantInputIteratorIilEEPiiNSB_3SumENSB_8EqualityEiEE10hipError_tPvRmT2_T3_T4_T5_mT6_T7_P12ihipStream_tbENKUlT_T0_E_clISt17integral_constantIbLb1EESW_IbLb0EEEEDaSS_ST_EUlSS_E_NS1_11comp_targetILNS1_3genE10ELNS1_11target_archE1201ELNS1_3gpuE5ELNS1_3repE0EEENS1_30default_config_static_selectorELNS0_4arch9wavefront6targetE1EEEvT1_.has_recursion, 0
	.set _ZN7rocprim17ROCPRIM_400000_NS6detail17trampoline_kernelINS0_14default_configENS1_27scan_by_key_config_selectorIiiEEZZNS1_16scan_by_key_implILNS1_25lookback_scan_determinismE0ELb0ES3_PKiN6hipcub16HIPCUB_304000_NS21ConstantInputIteratorIilEEPiiNSB_3SumENSB_8EqualityEiEE10hipError_tPvRmT2_T3_T4_T5_mT6_T7_P12ihipStream_tbENKUlT_T0_E_clISt17integral_constantIbLb1EESW_IbLb0EEEEDaSS_ST_EUlSS_E_NS1_11comp_targetILNS1_3genE10ELNS1_11target_archE1201ELNS1_3gpuE5ELNS1_3repE0EEENS1_30default_config_static_selectorELNS0_4arch9wavefront6targetE1EEEvT1_.has_indirect_call, 0
	.section	.AMDGPU.csdata,"",@progbits
; Kernel info:
; codeLenInByte = 0
; TotalNumSgprs: 6
; NumVgprs: 0
; NumAgprs: 0
; TotalNumVgprs: 0
; ScratchSize: 0
; MemoryBound: 0
; FloatMode: 240
; IeeeMode: 1
; LDSByteSize: 0 bytes/workgroup (compile time only)
; SGPRBlocks: 0
; VGPRBlocks: 0
; NumSGPRsForWavesPerEU: 6
; NumVGPRsForWavesPerEU: 1
; AccumOffset: 4
; Occupancy: 8
; WaveLimiterHint : 0
; COMPUTE_PGM_RSRC2:SCRATCH_EN: 0
; COMPUTE_PGM_RSRC2:USER_SGPR: 2
; COMPUTE_PGM_RSRC2:TRAP_HANDLER: 0
; COMPUTE_PGM_RSRC2:TGID_X_EN: 1
; COMPUTE_PGM_RSRC2:TGID_Y_EN: 0
; COMPUTE_PGM_RSRC2:TGID_Z_EN: 0
; COMPUTE_PGM_RSRC2:TIDIG_COMP_CNT: 0
; COMPUTE_PGM_RSRC3_GFX90A:ACCUM_OFFSET: 0
; COMPUTE_PGM_RSRC3_GFX90A:TG_SPLIT: 0
	.section	.text._ZN7rocprim17ROCPRIM_400000_NS6detail17trampoline_kernelINS0_14default_configENS1_27scan_by_key_config_selectorIiiEEZZNS1_16scan_by_key_implILNS1_25lookback_scan_determinismE0ELb0ES3_PKiN6hipcub16HIPCUB_304000_NS21ConstantInputIteratorIilEEPiiNSB_3SumENSB_8EqualityEiEE10hipError_tPvRmT2_T3_T4_T5_mT6_T7_P12ihipStream_tbENKUlT_T0_E_clISt17integral_constantIbLb1EESW_IbLb0EEEEDaSS_ST_EUlSS_E_NS1_11comp_targetILNS1_3genE5ELNS1_11target_archE942ELNS1_3gpuE9ELNS1_3repE0EEENS1_30default_config_static_selectorELNS0_4arch9wavefront6targetE1EEEvT1_,"axG",@progbits,_ZN7rocprim17ROCPRIM_400000_NS6detail17trampoline_kernelINS0_14default_configENS1_27scan_by_key_config_selectorIiiEEZZNS1_16scan_by_key_implILNS1_25lookback_scan_determinismE0ELb0ES3_PKiN6hipcub16HIPCUB_304000_NS21ConstantInputIteratorIilEEPiiNSB_3SumENSB_8EqualityEiEE10hipError_tPvRmT2_T3_T4_T5_mT6_T7_P12ihipStream_tbENKUlT_T0_E_clISt17integral_constantIbLb1EESW_IbLb0EEEEDaSS_ST_EUlSS_E_NS1_11comp_targetILNS1_3genE5ELNS1_11target_archE942ELNS1_3gpuE9ELNS1_3repE0EEENS1_30default_config_static_selectorELNS0_4arch9wavefront6targetE1EEEvT1_,comdat
	.protected	_ZN7rocprim17ROCPRIM_400000_NS6detail17trampoline_kernelINS0_14default_configENS1_27scan_by_key_config_selectorIiiEEZZNS1_16scan_by_key_implILNS1_25lookback_scan_determinismE0ELb0ES3_PKiN6hipcub16HIPCUB_304000_NS21ConstantInputIteratorIilEEPiiNSB_3SumENSB_8EqualityEiEE10hipError_tPvRmT2_T3_T4_T5_mT6_T7_P12ihipStream_tbENKUlT_T0_E_clISt17integral_constantIbLb1EESW_IbLb0EEEEDaSS_ST_EUlSS_E_NS1_11comp_targetILNS1_3genE5ELNS1_11target_archE942ELNS1_3gpuE9ELNS1_3repE0EEENS1_30default_config_static_selectorELNS0_4arch9wavefront6targetE1EEEvT1_ ; -- Begin function _ZN7rocprim17ROCPRIM_400000_NS6detail17trampoline_kernelINS0_14default_configENS1_27scan_by_key_config_selectorIiiEEZZNS1_16scan_by_key_implILNS1_25lookback_scan_determinismE0ELb0ES3_PKiN6hipcub16HIPCUB_304000_NS21ConstantInputIteratorIilEEPiiNSB_3SumENSB_8EqualityEiEE10hipError_tPvRmT2_T3_T4_T5_mT6_T7_P12ihipStream_tbENKUlT_T0_E_clISt17integral_constantIbLb1EESW_IbLb0EEEEDaSS_ST_EUlSS_E_NS1_11comp_targetILNS1_3genE5ELNS1_11target_archE942ELNS1_3gpuE9ELNS1_3repE0EEENS1_30default_config_static_selectorELNS0_4arch9wavefront6targetE1EEEvT1_
	.globl	_ZN7rocprim17ROCPRIM_400000_NS6detail17trampoline_kernelINS0_14default_configENS1_27scan_by_key_config_selectorIiiEEZZNS1_16scan_by_key_implILNS1_25lookback_scan_determinismE0ELb0ES3_PKiN6hipcub16HIPCUB_304000_NS21ConstantInputIteratorIilEEPiiNSB_3SumENSB_8EqualityEiEE10hipError_tPvRmT2_T3_T4_T5_mT6_T7_P12ihipStream_tbENKUlT_T0_E_clISt17integral_constantIbLb1EESW_IbLb0EEEEDaSS_ST_EUlSS_E_NS1_11comp_targetILNS1_3genE5ELNS1_11target_archE942ELNS1_3gpuE9ELNS1_3repE0EEENS1_30default_config_static_selectorELNS0_4arch9wavefront6targetE1EEEvT1_
	.p2align	8
	.type	_ZN7rocprim17ROCPRIM_400000_NS6detail17trampoline_kernelINS0_14default_configENS1_27scan_by_key_config_selectorIiiEEZZNS1_16scan_by_key_implILNS1_25lookback_scan_determinismE0ELb0ES3_PKiN6hipcub16HIPCUB_304000_NS21ConstantInputIteratorIilEEPiiNSB_3SumENSB_8EqualityEiEE10hipError_tPvRmT2_T3_T4_T5_mT6_T7_P12ihipStream_tbENKUlT_T0_E_clISt17integral_constantIbLb1EESW_IbLb0EEEEDaSS_ST_EUlSS_E_NS1_11comp_targetILNS1_3genE5ELNS1_11target_archE942ELNS1_3gpuE9ELNS1_3repE0EEENS1_30default_config_static_selectorELNS0_4arch9wavefront6targetE1EEEvT1_,@function
_ZN7rocprim17ROCPRIM_400000_NS6detail17trampoline_kernelINS0_14default_configENS1_27scan_by_key_config_selectorIiiEEZZNS1_16scan_by_key_implILNS1_25lookback_scan_determinismE0ELb0ES3_PKiN6hipcub16HIPCUB_304000_NS21ConstantInputIteratorIilEEPiiNSB_3SumENSB_8EqualityEiEE10hipError_tPvRmT2_T3_T4_T5_mT6_T7_P12ihipStream_tbENKUlT_T0_E_clISt17integral_constantIbLb1EESW_IbLb0EEEEDaSS_ST_EUlSS_E_NS1_11comp_targetILNS1_3genE5ELNS1_11target_archE942ELNS1_3gpuE9ELNS1_3repE0EEENS1_30default_config_static_selectorELNS0_4arch9wavefront6targetE1EEEvT1_: ; @_ZN7rocprim17ROCPRIM_400000_NS6detail17trampoline_kernelINS0_14default_configENS1_27scan_by_key_config_selectorIiiEEZZNS1_16scan_by_key_implILNS1_25lookback_scan_determinismE0ELb0ES3_PKiN6hipcub16HIPCUB_304000_NS21ConstantInputIteratorIilEEPiiNSB_3SumENSB_8EqualityEiEE10hipError_tPvRmT2_T3_T4_T5_mT6_T7_P12ihipStream_tbENKUlT_T0_E_clISt17integral_constantIbLb1EESW_IbLb0EEEEDaSS_ST_EUlSS_E_NS1_11comp_targetILNS1_3genE5ELNS1_11target_archE942ELNS1_3gpuE9ELNS1_3repE0EEENS1_30default_config_static_selectorELNS0_4arch9wavefront6targetE1EEEvT1_
; %bb.0:
	.section	.rodata,"a",@progbits
	.p2align	6, 0x0
	.amdhsa_kernel _ZN7rocprim17ROCPRIM_400000_NS6detail17trampoline_kernelINS0_14default_configENS1_27scan_by_key_config_selectorIiiEEZZNS1_16scan_by_key_implILNS1_25lookback_scan_determinismE0ELb0ES3_PKiN6hipcub16HIPCUB_304000_NS21ConstantInputIteratorIilEEPiiNSB_3SumENSB_8EqualityEiEE10hipError_tPvRmT2_T3_T4_T5_mT6_T7_P12ihipStream_tbENKUlT_T0_E_clISt17integral_constantIbLb1EESW_IbLb0EEEEDaSS_ST_EUlSS_E_NS1_11comp_targetILNS1_3genE5ELNS1_11target_archE942ELNS1_3gpuE9ELNS1_3repE0EEENS1_30default_config_static_selectorELNS0_4arch9wavefront6targetE1EEEvT1_
		.amdhsa_group_segment_fixed_size 0
		.amdhsa_private_segment_fixed_size 0
		.amdhsa_kernarg_size 120
		.amdhsa_user_sgpr_count 2
		.amdhsa_user_sgpr_dispatch_ptr 0
		.amdhsa_user_sgpr_queue_ptr 0
		.amdhsa_user_sgpr_kernarg_segment_ptr 1
		.amdhsa_user_sgpr_dispatch_id 0
		.amdhsa_user_sgpr_kernarg_preload_length 0
		.amdhsa_user_sgpr_kernarg_preload_offset 0
		.amdhsa_user_sgpr_private_segment_size 0
		.amdhsa_uses_dynamic_stack 0
		.amdhsa_enable_private_segment 0
		.amdhsa_system_sgpr_workgroup_id_x 1
		.amdhsa_system_sgpr_workgroup_id_y 0
		.amdhsa_system_sgpr_workgroup_id_z 0
		.amdhsa_system_sgpr_workgroup_info 0
		.amdhsa_system_vgpr_workitem_id 0
		.amdhsa_next_free_vgpr 1
		.amdhsa_next_free_sgpr 0
		.amdhsa_accum_offset 4
		.amdhsa_reserve_vcc 0
		.amdhsa_float_round_mode_32 0
		.amdhsa_float_round_mode_16_64 0
		.amdhsa_float_denorm_mode_32 3
		.amdhsa_float_denorm_mode_16_64 3
		.amdhsa_dx10_clamp 1
		.amdhsa_ieee_mode 1
		.amdhsa_fp16_overflow 0
		.amdhsa_tg_split 0
		.amdhsa_exception_fp_ieee_invalid_op 0
		.amdhsa_exception_fp_denorm_src 0
		.amdhsa_exception_fp_ieee_div_zero 0
		.amdhsa_exception_fp_ieee_overflow 0
		.amdhsa_exception_fp_ieee_underflow 0
		.amdhsa_exception_fp_ieee_inexact 0
		.amdhsa_exception_int_div_zero 0
	.end_amdhsa_kernel
	.section	.text._ZN7rocprim17ROCPRIM_400000_NS6detail17trampoline_kernelINS0_14default_configENS1_27scan_by_key_config_selectorIiiEEZZNS1_16scan_by_key_implILNS1_25lookback_scan_determinismE0ELb0ES3_PKiN6hipcub16HIPCUB_304000_NS21ConstantInputIteratorIilEEPiiNSB_3SumENSB_8EqualityEiEE10hipError_tPvRmT2_T3_T4_T5_mT6_T7_P12ihipStream_tbENKUlT_T0_E_clISt17integral_constantIbLb1EESW_IbLb0EEEEDaSS_ST_EUlSS_E_NS1_11comp_targetILNS1_3genE5ELNS1_11target_archE942ELNS1_3gpuE9ELNS1_3repE0EEENS1_30default_config_static_selectorELNS0_4arch9wavefront6targetE1EEEvT1_,"axG",@progbits,_ZN7rocprim17ROCPRIM_400000_NS6detail17trampoline_kernelINS0_14default_configENS1_27scan_by_key_config_selectorIiiEEZZNS1_16scan_by_key_implILNS1_25lookback_scan_determinismE0ELb0ES3_PKiN6hipcub16HIPCUB_304000_NS21ConstantInputIteratorIilEEPiiNSB_3SumENSB_8EqualityEiEE10hipError_tPvRmT2_T3_T4_T5_mT6_T7_P12ihipStream_tbENKUlT_T0_E_clISt17integral_constantIbLb1EESW_IbLb0EEEEDaSS_ST_EUlSS_E_NS1_11comp_targetILNS1_3genE5ELNS1_11target_archE942ELNS1_3gpuE9ELNS1_3repE0EEENS1_30default_config_static_selectorELNS0_4arch9wavefront6targetE1EEEvT1_,comdat
.Lfunc_end34:
	.size	_ZN7rocprim17ROCPRIM_400000_NS6detail17trampoline_kernelINS0_14default_configENS1_27scan_by_key_config_selectorIiiEEZZNS1_16scan_by_key_implILNS1_25lookback_scan_determinismE0ELb0ES3_PKiN6hipcub16HIPCUB_304000_NS21ConstantInputIteratorIilEEPiiNSB_3SumENSB_8EqualityEiEE10hipError_tPvRmT2_T3_T4_T5_mT6_T7_P12ihipStream_tbENKUlT_T0_E_clISt17integral_constantIbLb1EESW_IbLb0EEEEDaSS_ST_EUlSS_E_NS1_11comp_targetILNS1_3genE5ELNS1_11target_archE942ELNS1_3gpuE9ELNS1_3repE0EEENS1_30default_config_static_selectorELNS0_4arch9wavefront6targetE1EEEvT1_, .Lfunc_end34-_ZN7rocprim17ROCPRIM_400000_NS6detail17trampoline_kernelINS0_14default_configENS1_27scan_by_key_config_selectorIiiEEZZNS1_16scan_by_key_implILNS1_25lookback_scan_determinismE0ELb0ES3_PKiN6hipcub16HIPCUB_304000_NS21ConstantInputIteratorIilEEPiiNSB_3SumENSB_8EqualityEiEE10hipError_tPvRmT2_T3_T4_T5_mT6_T7_P12ihipStream_tbENKUlT_T0_E_clISt17integral_constantIbLb1EESW_IbLb0EEEEDaSS_ST_EUlSS_E_NS1_11comp_targetILNS1_3genE5ELNS1_11target_archE942ELNS1_3gpuE9ELNS1_3repE0EEENS1_30default_config_static_selectorELNS0_4arch9wavefront6targetE1EEEvT1_
                                        ; -- End function
	.set _ZN7rocprim17ROCPRIM_400000_NS6detail17trampoline_kernelINS0_14default_configENS1_27scan_by_key_config_selectorIiiEEZZNS1_16scan_by_key_implILNS1_25lookback_scan_determinismE0ELb0ES3_PKiN6hipcub16HIPCUB_304000_NS21ConstantInputIteratorIilEEPiiNSB_3SumENSB_8EqualityEiEE10hipError_tPvRmT2_T3_T4_T5_mT6_T7_P12ihipStream_tbENKUlT_T0_E_clISt17integral_constantIbLb1EESW_IbLb0EEEEDaSS_ST_EUlSS_E_NS1_11comp_targetILNS1_3genE5ELNS1_11target_archE942ELNS1_3gpuE9ELNS1_3repE0EEENS1_30default_config_static_selectorELNS0_4arch9wavefront6targetE1EEEvT1_.num_vgpr, 0
	.set _ZN7rocprim17ROCPRIM_400000_NS6detail17trampoline_kernelINS0_14default_configENS1_27scan_by_key_config_selectorIiiEEZZNS1_16scan_by_key_implILNS1_25lookback_scan_determinismE0ELb0ES3_PKiN6hipcub16HIPCUB_304000_NS21ConstantInputIteratorIilEEPiiNSB_3SumENSB_8EqualityEiEE10hipError_tPvRmT2_T3_T4_T5_mT6_T7_P12ihipStream_tbENKUlT_T0_E_clISt17integral_constantIbLb1EESW_IbLb0EEEEDaSS_ST_EUlSS_E_NS1_11comp_targetILNS1_3genE5ELNS1_11target_archE942ELNS1_3gpuE9ELNS1_3repE0EEENS1_30default_config_static_selectorELNS0_4arch9wavefront6targetE1EEEvT1_.num_agpr, 0
	.set _ZN7rocprim17ROCPRIM_400000_NS6detail17trampoline_kernelINS0_14default_configENS1_27scan_by_key_config_selectorIiiEEZZNS1_16scan_by_key_implILNS1_25lookback_scan_determinismE0ELb0ES3_PKiN6hipcub16HIPCUB_304000_NS21ConstantInputIteratorIilEEPiiNSB_3SumENSB_8EqualityEiEE10hipError_tPvRmT2_T3_T4_T5_mT6_T7_P12ihipStream_tbENKUlT_T0_E_clISt17integral_constantIbLb1EESW_IbLb0EEEEDaSS_ST_EUlSS_E_NS1_11comp_targetILNS1_3genE5ELNS1_11target_archE942ELNS1_3gpuE9ELNS1_3repE0EEENS1_30default_config_static_selectorELNS0_4arch9wavefront6targetE1EEEvT1_.numbered_sgpr, 0
	.set _ZN7rocprim17ROCPRIM_400000_NS6detail17trampoline_kernelINS0_14default_configENS1_27scan_by_key_config_selectorIiiEEZZNS1_16scan_by_key_implILNS1_25lookback_scan_determinismE0ELb0ES3_PKiN6hipcub16HIPCUB_304000_NS21ConstantInputIteratorIilEEPiiNSB_3SumENSB_8EqualityEiEE10hipError_tPvRmT2_T3_T4_T5_mT6_T7_P12ihipStream_tbENKUlT_T0_E_clISt17integral_constantIbLb1EESW_IbLb0EEEEDaSS_ST_EUlSS_E_NS1_11comp_targetILNS1_3genE5ELNS1_11target_archE942ELNS1_3gpuE9ELNS1_3repE0EEENS1_30default_config_static_selectorELNS0_4arch9wavefront6targetE1EEEvT1_.num_named_barrier, 0
	.set _ZN7rocprim17ROCPRIM_400000_NS6detail17trampoline_kernelINS0_14default_configENS1_27scan_by_key_config_selectorIiiEEZZNS1_16scan_by_key_implILNS1_25lookback_scan_determinismE0ELb0ES3_PKiN6hipcub16HIPCUB_304000_NS21ConstantInputIteratorIilEEPiiNSB_3SumENSB_8EqualityEiEE10hipError_tPvRmT2_T3_T4_T5_mT6_T7_P12ihipStream_tbENKUlT_T0_E_clISt17integral_constantIbLb1EESW_IbLb0EEEEDaSS_ST_EUlSS_E_NS1_11comp_targetILNS1_3genE5ELNS1_11target_archE942ELNS1_3gpuE9ELNS1_3repE0EEENS1_30default_config_static_selectorELNS0_4arch9wavefront6targetE1EEEvT1_.private_seg_size, 0
	.set _ZN7rocprim17ROCPRIM_400000_NS6detail17trampoline_kernelINS0_14default_configENS1_27scan_by_key_config_selectorIiiEEZZNS1_16scan_by_key_implILNS1_25lookback_scan_determinismE0ELb0ES3_PKiN6hipcub16HIPCUB_304000_NS21ConstantInputIteratorIilEEPiiNSB_3SumENSB_8EqualityEiEE10hipError_tPvRmT2_T3_T4_T5_mT6_T7_P12ihipStream_tbENKUlT_T0_E_clISt17integral_constantIbLb1EESW_IbLb0EEEEDaSS_ST_EUlSS_E_NS1_11comp_targetILNS1_3genE5ELNS1_11target_archE942ELNS1_3gpuE9ELNS1_3repE0EEENS1_30default_config_static_selectorELNS0_4arch9wavefront6targetE1EEEvT1_.uses_vcc, 0
	.set _ZN7rocprim17ROCPRIM_400000_NS6detail17trampoline_kernelINS0_14default_configENS1_27scan_by_key_config_selectorIiiEEZZNS1_16scan_by_key_implILNS1_25lookback_scan_determinismE0ELb0ES3_PKiN6hipcub16HIPCUB_304000_NS21ConstantInputIteratorIilEEPiiNSB_3SumENSB_8EqualityEiEE10hipError_tPvRmT2_T3_T4_T5_mT6_T7_P12ihipStream_tbENKUlT_T0_E_clISt17integral_constantIbLb1EESW_IbLb0EEEEDaSS_ST_EUlSS_E_NS1_11comp_targetILNS1_3genE5ELNS1_11target_archE942ELNS1_3gpuE9ELNS1_3repE0EEENS1_30default_config_static_selectorELNS0_4arch9wavefront6targetE1EEEvT1_.uses_flat_scratch, 0
	.set _ZN7rocprim17ROCPRIM_400000_NS6detail17trampoline_kernelINS0_14default_configENS1_27scan_by_key_config_selectorIiiEEZZNS1_16scan_by_key_implILNS1_25lookback_scan_determinismE0ELb0ES3_PKiN6hipcub16HIPCUB_304000_NS21ConstantInputIteratorIilEEPiiNSB_3SumENSB_8EqualityEiEE10hipError_tPvRmT2_T3_T4_T5_mT6_T7_P12ihipStream_tbENKUlT_T0_E_clISt17integral_constantIbLb1EESW_IbLb0EEEEDaSS_ST_EUlSS_E_NS1_11comp_targetILNS1_3genE5ELNS1_11target_archE942ELNS1_3gpuE9ELNS1_3repE0EEENS1_30default_config_static_selectorELNS0_4arch9wavefront6targetE1EEEvT1_.has_dyn_sized_stack, 0
	.set _ZN7rocprim17ROCPRIM_400000_NS6detail17trampoline_kernelINS0_14default_configENS1_27scan_by_key_config_selectorIiiEEZZNS1_16scan_by_key_implILNS1_25lookback_scan_determinismE0ELb0ES3_PKiN6hipcub16HIPCUB_304000_NS21ConstantInputIteratorIilEEPiiNSB_3SumENSB_8EqualityEiEE10hipError_tPvRmT2_T3_T4_T5_mT6_T7_P12ihipStream_tbENKUlT_T0_E_clISt17integral_constantIbLb1EESW_IbLb0EEEEDaSS_ST_EUlSS_E_NS1_11comp_targetILNS1_3genE5ELNS1_11target_archE942ELNS1_3gpuE9ELNS1_3repE0EEENS1_30default_config_static_selectorELNS0_4arch9wavefront6targetE1EEEvT1_.has_recursion, 0
	.set _ZN7rocprim17ROCPRIM_400000_NS6detail17trampoline_kernelINS0_14default_configENS1_27scan_by_key_config_selectorIiiEEZZNS1_16scan_by_key_implILNS1_25lookback_scan_determinismE0ELb0ES3_PKiN6hipcub16HIPCUB_304000_NS21ConstantInputIteratorIilEEPiiNSB_3SumENSB_8EqualityEiEE10hipError_tPvRmT2_T3_T4_T5_mT6_T7_P12ihipStream_tbENKUlT_T0_E_clISt17integral_constantIbLb1EESW_IbLb0EEEEDaSS_ST_EUlSS_E_NS1_11comp_targetILNS1_3genE5ELNS1_11target_archE942ELNS1_3gpuE9ELNS1_3repE0EEENS1_30default_config_static_selectorELNS0_4arch9wavefront6targetE1EEEvT1_.has_indirect_call, 0
	.section	.AMDGPU.csdata,"",@progbits
; Kernel info:
; codeLenInByte = 0
; TotalNumSgprs: 6
; NumVgprs: 0
; NumAgprs: 0
; TotalNumVgprs: 0
; ScratchSize: 0
; MemoryBound: 0
; FloatMode: 240
; IeeeMode: 1
; LDSByteSize: 0 bytes/workgroup (compile time only)
; SGPRBlocks: 0
; VGPRBlocks: 0
; NumSGPRsForWavesPerEU: 6
; NumVGPRsForWavesPerEU: 1
; AccumOffset: 4
; Occupancy: 8
; WaveLimiterHint : 0
; COMPUTE_PGM_RSRC2:SCRATCH_EN: 0
; COMPUTE_PGM_RSRC2:USER_SGPR: 2
; COMPUTE_PGM_RSRC2:TRAP_HANDLER: 0
; COMPUTE_PGM_RSRC2:TGID_X_EN: 1
; COMPUTE_PGM_RSRC2:TGID_Y_EN: 0
; COMPUTE_PGM_RSRC2:TGID_Z_EN: 0
; COMPUTE_PGM_RSRC2:TIDIG_COMP_CNT: 0
; COMPUTE_PGM_RSRC3_GFX90A:ACCUM_OFFSET: 0
; COMPUTE_PGM_RSRC3_GFX90A:TG_SPLIT: 0
	.section	.text._ZN7rocprim17ROCPRIM_400000_NS6detail17trampoline_kernelINS0_14default_configENS1_27scan_by_key_config_selectorIiiEEZZNS1_16scan_by_key_implILNS1_25lookback_scan_determinismE0ELb0ES3_PKiN6hipcub16HIPCUB_304000_NS21ConstantInputIteratorIilEEPiiNSB_3SumENSB_8EqualityEiEE10hipError_tPvRmT2_T3_T4_T5_mT6_T7_P12ihipStream_tbENKUlT_T0_E_clISt17integral_constantIbLb1EESW_IbLb0EEEEDaSS_ST_EUlSS_E_NS1_11comp_targetILNS1_3genE4ELNS1_11target_archE910ELNS1_3gpuE8ELNS1_3repE0EEENS1_30default_config_static_selectorELNS0_4arch9wavefront6targetE1EEEvT1_,"axG",@progbits,_ZN7rocprim17ROCPRIM_400000_NS6detail17trampoline_kernelINS0_14default_configENS1_27scan_by_key_config_selectorIiiEEZZNS1_16scan_by_key_implILNS1_25lookback_scan_determinismE0ELb0ES3_PKiN6hipcub16HIPCUB_304000_NS21ConstantInputIteratorIilEEPiiNSB_3SumENSB_8EqualityEiEE10hipError_tPvRmT2_T3_T4_T5_mT6_T7_P12ihipStream_tbENKUlT_T0_E_clISt17integral_constantIbLb1EESW_IbLb0EEEEDaSS_ST_EUlSS_E_NS1_11comp_targetILNS1_3genE4ELNS1_11target_archE910ELNS1_3gpuE8ELNS1_3repE0EEENS1_30default_config_static_selectorELNS0_4arch9wavefront6targetE1EEEvT1_,comdat
	.protected	_ZN7rocprim17ROCPRIM_400000_NS6detail17trampoline_kernelINS0_14default_configENS1_27scan_by_key_config_selectorIiiEEZZNS1_16scan_by_key_implILNS1_25lookback_scan_determinismE0ELb0ES3_PKiN6hipcub16HIPCUB_304000_NS21ConstantInputIteratorIilEEPiiNSB_3SumENSB_8EqualityEiEE10hipError_tPvRmT2_T3_T4_T5_mT6_T7_P12ihipStream_tbENKUlT_T0_E_clISt17integral_constantIbLb1EESW_IbLb0EEEEDaSS_ST_EUlSS_E_NS1_11comp_targetILNS1_3genE4ELNS1_11target_archE910ELNS1_3gpuE8ELNS1_3repE0EEENS1_30default_config_static_selectorELNS0_4arch9wavefront6targetE1EEEvT1_ ; -- Begin function _ZN7rocprim17ROCPRIM_400000_NS6detail17trampoline_kernelINS0_14default_configENS1_27scan_by_key_config_selectorIiiEEZZNS1_16scan_by_key_implILNS1_25lookback_scan_determinismE0ELb0ES3_PKiN6hipcub16HIPCUB_304000_NS21ConstantInputIteratorIilEEPiiNSB_3SumENSB_8EqualityEiEE10hipError_tPvRmT2_T3_T4_T5_mT6_T7_P12ihipStream_tbENKUlT_T0_E_clISt17integral_constantIbLb1EESW_IbLb0EEEEDaSS_ST_EUlSS_E_NS1_11comp_targetILNS1_3genE4ELNS1_11target_archE910ELNS1_3gpuE8ELNS1_3repE0EEENS1_30default_config_static_selectorELNS0_4arch9wavefront6targetE1EEEvT1_
	.globl	_ZN7rocprim17ROCPRIM_400000_NS6detail17trampoline_kernelINS0_14default_configENS1_27scan_by_key_config_selectorIiiEEZZNS1_16scan_by_key_implILNS1_25lookback_scan_determinismE0ELb0ES3_PKiN6hipcub16HIPCUB_304000_NS21ConstantInputIteratorIilEEPiiNSB_3SumENSB_8EqualityEiEE10hipError_tPvRmT2_T3_T4_T5_mT6_T7_P12ihipStream_tbENKUlT_T0_E_clISt17integral_constantIbLb1EESW_IbLb0EEEEDaSS_ST_EUlSS_E_NS1_11comp_targetILNS1_3genE4ELNS1_11target_archE910ELNS1_3gpuE8ELNS1_3repE0EEENS1_30default_config_static_selectorELNS0_4arch9wavefront6targetE1EEEvT1_
	.p2align	8
	.type	_ZN7rocprim17ROCPRIM_400000_NS6detail17trampoline_kernelINS0_14default_configENS1_27scan_by_key_config_selectorIiiEEZZNS1_16scan_by_key_implILNS1_25lookback_scan_determinismE0ELb0ES3_PKiN6hipcub16HIPCUB_304000_NS21ConstantInputIteratorIilEEPiiNSB_3SumENSB_8EqualityEiEE10hipError_tPvRmT2_T3_T4_T5_mT6_T7_P12ihipStream_tbENKUlT_T0_E_clISt17integral_constantIbLb1EESW_IbLb0EEEEDaSS_ST_EUlSS_E_NS1_11comp_targetILNS1_3genE4ELNS1_11target_archE910ELNS1_3gpuE8ELNS1_3repE0EEENS1_30default_config_static_selectorELNS0_4arch9wavefront6targetE1EEEvT1_,@function
_ZN7rocprim17ROCPRIM_400000_NS6detail17trampoline_kernelINS0_14default_configENS1_27scan_by_key_config_selectorIiiEEZZNS1_16scan_by_key_implILNS1_25lookback_scan_determinismE0ELb0ES3_PKiN6hipcub16HIPCUB_304000_NS21ConstantInputIteratorIilEEPiiNSB_3SumENSB_8EqualityEiEE10hipError_tPvRmT2_T3_T4_T5_mT6_T7_P12ihipStream_tbENKUlT_T0_E_clISt17integral_constantIbLb1EESW_IbLb0EEEEDaSS_ST_EUlSS_E_NS1_11comp_targetILNS1_3genE4ELNS1_11target_archE910ELNS1_3gpuE8ELNS1_3repE0EEENS1_30default_config_static_selectorELNS0_4arch9wavefront6targetE1EEEvT1_: ; @_ZN7rocprim17ROCPRIM_400000_NS6detail17trampoline_kernelINS0_14default_configENS1_27scan_by_key_config_selectorIiiEEZZNS1_16scan_by_key_implILNS1_25lookback_scan_determinismE0ELb0ES3_PKiN6hipcub16HIPCUB_304000_NS21ConstantInputIteratorIilEEPiiNSB_3SumENSB_8EqualityEiEE10hipError_tPvRmT2_T3_T4_T5_mT6_T7_P12ihipStream_tbENKUlT_T0_E_clISt17integral_constantIbLb1EESW_IbLb0EEEEDaSS_ST_EUlSS_E_NS1_11comp_targetILNS1_3genE4ELNS1_11target_archE910ELNS1_3gpuE8ELNS1_3repE0EEENS1_30default_config_static_selectorELNS0_4arch9wavefront6targetE1EEEvT1_
; %bb.0:
	.section	.rodata,"a",@progbits
	.p2align	6, 0x0
	.amdhsa_kernel _ZN7rocprim17ROCPRIM_400000_NS6detail17trampoline_kernelINS0_14default_configENS1_27scan_by_key_config_selectorIiiEEZZNS1_16scan_by_key_implILNS1_25lookback_scan_determinismE0ELb0ES3_PKiN6hipcub16HIPCUB_304000_NS21ConstantInputIteratorIilEEPiiNSB_3SumENSB_8EqualityEiEE10hipError_tPvRmT2_T3_T4_T5_mT6_T7_P12ihipStream_tbENKUlT_T0_E_clISt17integral_constantIbLb1EESW_IbLb0EEEEDaSS_ST_EUlSS_E_NS1_11comp_targetILNS1_3genE4ELNS1_11target_archE910ELNS1_3gpuE8ELNS1_3repE0EEENS1_30default_config_static_selectorELNS0_4arch9wavefront6targetE1EEEvT1_
		.amdhsa_group_segment_fixed_size 0
		.amdhsa_private_segment_fixed_size 0
		.amdhsa_kernarg_size 120
		.amdhsa_user_sgpr_count 2
		.amdhsa_user_sgpr_dispatch_ptr 0
		.amdhsa_user_sgpr_queue_ptr 0
		.amdhsa_user_sgpr_kernarg_segment_ptr 1
		.amdhsa_user_sgpr_dispatch_id 0
		.amdhsa_user_sgpr_kernarg_preload_length 0
		.amdhsa_user_sgpr_kernarg_preload_offset 0
		.amdhsa_user_sgpr_private_segment_size 0
		.amdhsa_uses_dynamic_stack 0
		.amdhsa_enable_private_segment 0
		.amdhsa_system_sgpr_workgroup_id_x 1
		.amdhsa_system_sgpr_workgroup_id_y 0
		.amdhsa_system_sgpr_workgroup_id_z 0
		.amdhsa_system_sgpr_workgroup_info 0
		.amdhsa_system_vgpr_workitem_id 0
		.amdhsa_next_free_vgpr 1
		.amdhsa_next_free_sgpr 0
		.amdhsa_accum_offset 4
		.amdhsa_reserve_vcc 0
		.amdhsa_float_round_mode_32 0
		.amdhsa_float_round_mode_16_64 0
		.amdhsa_float_denorm_mode_32 3
		.amdhsa_float_denorm_mode_16_64 3
		.amdhsa_dx10_clamp 1
		.amdhsa_ieee_mode 1
		.amdhsa_fp16_overflow 0
		.amdhsa_tg_split 0
		.amdhsa_exception_fp_ieee_invalid_op 0
		.amdhsa_exception_fp_denorm_src 0
		.amdhsa_exception_fp_ieee_div_zero 0
		.amdhsa_exception_fp_ieee_overflow 0
		.amdhsa_exception_fp_ieee_underflow 0
		.amdhsa_exception_fp_ieee_inexact 0
		.amdhsa_exception_int_div_zero 0
	.end_amdhsa_kernel
	.section	.text._ZN7rocprim17ROCPRIM_400000_NS6detail17trampoline_kernelINS0_14default_configENS1_27scan_by_key_config_selectorIiiEEZZNS1_16scan_by_key_implILNS1_25lookback_scan_determinismE0ELb0ES3_PKiN6hipcub16HIPCUB_304000_NS21ConstantInputIteratorIilEEPiiNSB_3SumENSB_8EqualityEiEE10hipError_tPvRmT2_T3_T4_T5_mT6_T7_P12ihipStream_tbENKUlT_T0_E_clISt17integral_constantIbLb1EESW_IbLb0EEEEDaSS_ST_EUlSS_E_NS1_11comp_targetILNS1_3genE4ELNS1_11target_archE910ELNS1_3gpuE8ELNS1_3repE0EEENS1_30default_config_static_selectorELNS0_4arch9wavefront6targetE1EEEvT1_,"axG",@progbits,_ZN7rocprim17ROCPRIM_400000_NS6detail17trampoline_kernelINS0_14default_configENS1_27scan_by_key_config_selectorIiiEEZZNS1_16scan_by_key_implILNS1_25lookback_scan_determinismE0ELb0ES3_PKiN6hipcub16HIPCUB_304000_NS21ConstantInputIteratorIilEEPiiNSB_3SumENSB_8EqualityEiEE10hipError_tPvRmT2_T3_T4_T5_mT6_T7_P12ihipStream_tbENKUlT_T0_E_clISt17integral_constantIbLb1EESW_IbLb0EEEEDaSS_ST_EUlSS_E_NS1_11comp_targetILNS1_3genE4ELNS1_11target_archE910ELNS1_3gpuE8ELNS1_3repE0EEENS1_30default_config_static_selectorELNS0_4arch9wavefront6targetE1EEEvT1_,comdat
.Lfunc_end35:
	.size	_ZN7rocprim17ROCPRIM_400000_NS6detail17trampoline_kernelINS0_14default_configENS1_27scan_by_key_config_selectorIiiEEZZNS1_16scan_by_key_implILNS1_25lookback_scan_determinismE0ELb0ES3_PKiN6hipcub16HIPCUB_304000_NS21ConstantInputIteratorIilEEPiiNSB_3SumENSB_8EqualityEiEE10hipError_tPvRmT2_T3_T4_T5_mT6_T7_P12ihipStream_tbENKUlT_T0_E_clISt17integral_constantIbLb1EESW_IbLb0EEEEDaSS_ST_EUlSS_E_NS1_11comp_targetILNS1_3genE4ELNS1_11target_archE910ELNS1_3gpuE8ELNS1_3repE0EEENS1_30default_config_static_selectorELNS0_4arch9wavefront6targetE1EEEvT1_, .Lfunc_end35-_ZN7rocprim17ROCPRIM_400000_NS6detail17trampoline_kernelINS0_14default_configENS1_27scan_by_key_config_selectorIiiEEZZNS1_16scan_by_key_implILNS1_25lookback_scan_determinismE0ELb0ES3_PKiN6hipcub16HIPCUB_304000_NS21ConstantInputIteratorIilEEPiiNSB_3SumENSB_8EqualityEiEE10hipError_tPvRmT2_T3_T4_T5_mT6_T7_P12ihipStream_tbENKUlT_T0_E_clISt17integral_constantIbLb1EESW_IbLb0EEEEDaSS_ST_EUlSS_E_NS1_11comp_targetILNS1_3genE4ELNS1_11target_archE910ELNS1_3gpuE8ELNS1_3repE0EEENS1_30default_config_static_selectorELNS0_4arch9wavefront6targetE1EEEvT1_
                                        ; -- End function
	.set _ZN7rocprim17ROCPRIM_400000_NS6detail17trampoline_kernelINS0_14default_configENS1_27scan_by_key_config_selectorIiiEEZZNS1_16scan_by_key_implILNS1_25lookback_scan_determinismE0ELb0ES3_PKiN6hipcub16HIPCUB_304000_NS21ConstantInputIteratorIilEEPiiNSB_3SumENSB_8EqualityEiEE10hipError_tPvRmT2_T3_T4_T5_mT6_T7_P12ihipStream_tbENKUlT_T0_E_clISt17integral_constantIbLb1EESW_IbLb0EEEEDaSS_ST_EUlSS_E_NS1_11comp_targetILNS1_3genE4ELNS1_11target_archE910ELNS1_3gpuE8ELNS1_3repE0EEENS1_30default_config_static_selectorELNS0_4arch9wavefront6targetE1EEEvT1_.num_vgpr, 0
	.set _ZN7rocprim17ROCPRIM_400000_NS6detail17trampoline_kernelINS0_14default_configENS1_27scan_by_key_config_selectorIiiEEZZNS1_16scan_by_key_implILNS1_25lookback_scan_determinismE0ELb0ES3_PKiN6hipcub16HIPCUB_304000_NS21ConstantInputIteratorIilEEPiiNSB_3SumENSB_8EqualityEiEE10hipError_tPvRmT2_T3_T4_T5_mT6_T7_P12ihipStream_tbENKUlT_T0_E_clISt17integral_constantIbLb1EESW_IbLb0EEEEDaSS_ST_EUlSS_E_NS1_11comp_targetILNS1_3genE4ELNS1_11target_archE910ELNS1_3gpuE8ELNS1_3repE0EEENS1_30default_config_static_selectorELNS0_4arch9wavefront6targetE1EEEvT1_.num_agpr, 0
	.set _ZN7rocprim17ROCPRIM_400000_NS6detail17trampoline_kernelINS0_14default_configENS1_27scan_by_key_config_selectorIiiEEZZNS1_16scan_by_key_implILNS1_25lookback_scan_determinismE0ELb0ES3_PKiN6hipcub16HIPCUB_304000_NS21ConstantInputIteratorIilEEPiiNSB_3SumENSB_8EqualityEiEE10hipError_tPvRmT2_T3_T4_T5_mT6_T7_P12ihipStream_tbENKUlT_T0_E_clISt17integral_constantIbLb1EESW_IbLb0EEEEDaSS_ST_EUlSS_E_NS1_11comp_targetILNS1_3genE4ELNS1_11target_archE910ELNS1_3gpuE8ELNS1_3repE0EEENS1_30default_config_static_selectorELNS0_4arch9wavefront6targetE1EEEvT1_.numbered_sgpr, 0
	.set _ZN7rocprim17ROCPRIM_400000_NS6detail17trampoline_kernelINS0_14default_configENS1_27scan_by_key_config_selectorIiiEEZZNS1_16scan_by_key_implILNS1_25lookback_scan_determinismE0ELb0ES3_PKiN6hipcub16HIPCUB_304000_NS21ConstantInputIteratorIilEEPiiNSB_3SumENSB_8EqualityEiEE10hipError_tPvRmT2_T3_T4_T5_mT6_T7_P12ihipStream_tbENKUlT_T0_E_clISt17integral_constantIbLb1EESW_IbLb0EEEEDaSS_ST_EUlSS_E_NS1_11comp_targetILNS1_3genE4ELNS1_11target_archE910ELNS1_3gpuE8ELNS1_3repE0EEENS1_30default_config_static_selectorELNS0_4arch9wavefront6targetE1EEEvT1_.num_named_barrier, 0
	.set _ZN7rocprim17ROCPRIM_400000_NS6detail17trampoline_kernelINS0_14default_configENS1_27scan_by_key_config_selectorIiiEEZZNS1_16scan_by_key_implILNS1_25lookback_scan_determinismE0ELb0ES3_PKiN6hipcub16HIPCUB_304000_NS21ConstantInputIteratorIilEEPiiNSB_3SumENSB_8EqualityEiEE10hipError_tPvRmT2_T3_T4_T5_mT6_T7_P12ihipStream_tbENKUlT_T0_E_clISt17integral_constantIbLb1EESW_IbLb0EEEEDaSS_ST_EUlSS_E_NS1_11comp_targetILNS1_3genE4ELNS1_11target_archE910ELNS1_3gpuE8ELNS1_3repE0EEENS1_30default_config_static_selectorELNS0_4arch9wavefront6targetE1EEEvT1_.private_seg_size, 0
	.set _ZN7rocprim17ROCPRIM_400000_NS6detail17trampoline_kernelINS0_14default_configENS1_27scan_by_key_config_selectorIiiEEZZNS1_16scan_by_key_implILNS1_25lookback_scan_determinismE0ELb0ES3_PKiN6hipcub16HIPCUB_304000_NS21ConstantInputIteratorIilEEPiiNSB_3SumENSB_8EqualityEiEE10hipError_tPvRmT2_T3_T4_T5_mT6_T7_P12ihipStream_tbENKUlT_T0_E_clISt17integral_constantIbLb1EESW_IbLb0EEEEDaSS_ST_EUlSS_E_NS1_11comp_targetILNS1_3genE4ELNS1_11target_archE910ELNS1_3gpuE8ELNS1_3repE0EEENS1_30default_config_static_selectorELNS0_4arch9wavefront6targetE1EEEvT1_.uses_vcc, 0
	.set _ZN7rocprim17ROCPRIM_400000_NS6detail17trampoline_kernelINS0_14default_configENS1_27scan_by_key_config_selectorIiiEEZZNS1_16scan_by_key_implILNS1_25lookback_scan_determinismE0ELb0ES3_PKiN6hipcub16HIPCUB_304000_NS21ConstantInputIteratorIilEEPiiNSB_3SumENSB_8EqualityEiEE10hipError_tPvRmT2_T3_T4_T5_mT6_T7_P12ihipStream_tbENKUlT_T0_E_clISt17integral_constantIbLb1EESW_IbLb0EEEEDaSS_ST_EUlSS_E_NS1_11comp_targetILNS1_3genE4ELNS1_11target_archE910ELNS1_3gpuE8ELNS1_3repE0EEENS1_30default_config_static_selectorELNS0_4arch9wavefront6targetE1EEEvT1_.uses_flat_scratch, 0
	.set _ZN7rocprim17ROCPRIM_400000_NS6detail17trampoline_kernelINS0_14default_configENS1_27scan_by_key_config_selectorIiiEEZZNS1_16scan_by_key_implILNS1_25lookback_scan_determinismE0ELb0ES3_PKiN6hipcub16HIPCUB_304000_NS21ConstantInputIteratorIilEEPiiNSB_3SumENSB_8EqualityEiEE10hipError_tPvRmT2_T3_T4_T5_mT6_T7_P12ihipStream_tbENKUlT_T0_E_clISt17integral_constantIbLb1EESW_IbLb0EEEEDaSS_ST_EUlSS_E_NS1_11comp_targetILNS1_3genE4ELNS1_11target_archE910ELNS1_3gpuE8ELNS1_3repE0EEENS1_30default_config_static_selectorELNS0_4arch9wavefront6targetE1EEEvT1_.has_dyn_sized_stack, 0
	.set _ZN7rocprim17ROCPRIM_400000_NS6detail17trampoline_kernelINS0_14default_configENS1_27scan_by_key_config_selectorIiiEEZZNS1_16scan_by_key_implILNS1_25lookback_scan_determinismE0ELb0ES3_PKiN6hipcub16HIPCUB_304000_NS21ConstantInputIteratorIilEEPiiNSB_3SumENSB_8EqualityEiEE10hipError_tPvRmT2_T3_T4_T5_mT6_T7_P12ihipStream_tbENKUlT_T0_E_clISt17integral_constantIbLb1EESW_IbLb0EEEEDaSS_ST_EUlSS_E_NS1_11comp_targetILNS1_3genE4ELNS1_11target_archE910ELNS1_3gpuE8ELNS1_3repE0EEENS1_30default_config_static_selectorELNS0_4arch9wavefront6targetE1EEEvT1_.has_recursion, 0
	.set _ZN7rocprim17ROCPRIM_400000_NS6detail17trampoline_kernelINS0_14default_configENS1_27scan_by_key_config_selectorIiiEEZZNS1_16scan_by_key_implILNS1_25lookback_scan_determinismE0ELb0ES3_PKiN6hipcub16HIPCUB_304000_NS21ConstantInputIteratorIilEEPiiNSB_3SumENSB_8EqualityEiEE10hipError_tPvRmT2_T3_T4_T5_mT6_T7_P12ihipStream_tbENKUlT_T0_E_clISt17integral_constantIbLb1EESW_IbLb0EEEEDaSS_ST_EUlSS_E_NS1_11comp_targetILNS1_3genE4ELNS1_11target_archE910ELNS1_3gpuE8ELNS1_3repE0EEENS1_30default_config_static_selectorELNS0_4arch9wavefront6targetE1EEEvT1_.has_indirect_call, 0
	.section	.AMDGPU.csdata,"",@progbits
; Kernel info:
; codeLenInByte = 0
; TotalNumSgprs: 6
; NumVgprs: 0
; NumAgprs: 0
; TotalNumVgprs: 0
; ScratchSize: 0
; MemoryBound: 0
; FloatMode: 240
; IeeeMode: 1
; LDSByteSize: 0 bytes/workgroup (compile time only)
; SGPRBlocks: 0
; VGPRBlocks: 0
; NumSGPRsForWavesPerEU: 6
; NumVGPRsForWavesPerEU: 1
; AccumOffset: 4
; Occupancy: 8
; WaveLimiterHint : 0
; COMPUTE_PGM_RSRC2:SCRATCH_EN: 0
; COMPUTE_PGM_RSRC2:USER_SGPR: 2
; COMPUTE_PGM_RSRC2:TRAP_HANDLER: 0
; COMPUTE_PGM_RSRC2:TGID_X_EN: 1
; COMPUTE_PGM_RSRC2:TGID_Y_EN: 0
; COMPUTE_PGM_RSRC2:TGID_Z_EN: 0
; COMPUTE_PGM_RSRC2:TIDIG_COMP_CNT: 0
; COMPUTE_PGM_RSRC3_GFX90A:ACCUM_OFFSET: 0
; COMPUTE_PGM_RSRC3_GFX90A:TG_SPLIT: 0
	.section	.text._ZN7rocprim17ROCPRIM_400000_NS6detail17trampoline_kernelINS0_14default_configENS1_27scan_by_key_config_selectorIiiEEZZNS1_16scan_by_key_implILNS1_25lookback_scan_determinismE0ELb0ES3_PKiN6hipcub16HIPCUB_304000_NS21ConstantInputIteratorIilEEPiiNSB_3SumENSB_8EqualityEiEE10hipError_tPvRmT2_T3_T4_T5_mT6_T7_P12ihipStream_tbENKUlT_T0_E_clISt17integral_constantIbLb1EESW_IbLb0EEEEDaSS_ST_EUlSS_E_NS1_11comp_targetILNS1_3genE3ELNS1_11target_archE908ELNS1_3gpuE7ELNS1_3repE0EEENS1_30default_config_static_selectorELNS0_4arch9wavefront6targetE1EEEvT1_,"axG",@progbits,_ZN7rocprim17ROCPRIM_400000_NS6detail17trampoline_kernelINS0_14default_configENS1_27scan_by_key_config_selectorIiiEEZZNS1_16scan_by_key_implILNS1_25lookback_scan_determinismE0ELb0ES3_PKiN6hipcub16HIPCUB_304000_NS21ConstantInputIteratorIilEEPiiNSB_3SumENSB_8EqualityEiEE10hipError_tPvRmT2_T3_T4_T5_mT6_T7_P12ihipStream_tbENKUlT_T0_E_clISt17integral_constantIbLb1EESW_IbLb0EEEEDaSS_ST_EUlSS_E_NS1_11comp_targetILNS1_3genE3ELNS1_11target_archE908ELNS1_3gpuE7ELNS1_3repE0EEENS1_30default_config_static_selectorELNS0_4arch9wavefront6targetE1EEEvT1_,comdat
	.protected	_ZN7rocprim17ROCPRIM_400000_NS6detail17trampoline_kernelINS0_14default_configENS1_27scan_by_key_config_selectorIiiEEZZNS1_16scan_by_key_implILNS1_25lookback_scan_determinismE0ELb0ES3_PKiN6hipcub16HIPCUB_304000_NS21ConstantInputIteratorIilEEPiiNSB_3SumENSB_8EqualityEiEE10hipError_tPvRmT2_T3_T4_T5_mT6_T7_P12ihipStream_tbENKUlT_T0_E_clISt17integral_constantIbLb1EESW_IbLb0EEEEDaSS_ST_EUlSS_E_NS1_11comp_targetILNS1_3genE3ELNS1_11target_archE908ELNS1_3gpuE7ELNS1_3repE0EEENS1_30default_config_static_selectorELNS0_4arch9wavefront6targetE1EEEvT1_ ; -- Begin function _ZN7rocprim17ROCPRIM_400000_NS6detail17trampoline_kernelINS0_14default_configENS1_27scan_by_key_config_selectorIiiEEZZNS1_16scan_by_key_implILNS1_25lookback_scan_determinismE0ELb0ES3_PKiN6hipcub16HIPCUB_304000_NS21ConstantInputIteratorIilEEPiiNSB_3SumENSB_8EqualityEiEE10hipError_tPvRmT2_T3_T4_T5_mT6_T7_P12ihipStream_tbENKUlT_T0_E_clISt17integral_constantIbLb1EESW_IbLb0EEEEDaSS_ST_EUlSS_E_NS1_11comp_targetILNS1_3genE3ELNS1_11target_archE908ELNS1_3gpuE7ELNS1_3repE0EEENS1_30default_config_static_selectorELNS0_4arch9wavefront6targetE1EEEvT1_
	.globl	_ZN7rocprim17ROCPRIM_400000_NS6detail17trampoline_kernelINS0_14default_configENS1_27scan_by_key_config_selectorIiiEEZZNS1_16scan_by_key_implILNS1_25lookback_scan_determinismE0ELb0ES3_PKiN6hipcub16HIPCUB_304000_NS21ConstantInputIteratorIilEEPiiNSB_3SumENSB_8EqualityEiEE10hipError_tPvRmT2_T3_T4_T5_mT6_T7_P12ihipStream_tbENKUlT_T0_E_clISt17integral_constantIbLb1EESW_IbLb0EEEEDaSS_ST_EUlSS_E_NS1_11comp_targetILNS1_3genE3ELNS1_11target_archE908ELNS1_3gpuE7ELNS1_3repE0EEENS1_30default_config_static_selectorELNS0_4arch9wavefront6targetE1EEEvT1_
	.p2align	8
	.type	_ZN7rocprim17ROCPRIM_400000_NS6detail17trampoline_kernelINS0_14default_configENS1_27scan_by_key_config_selectorIiiEEZZNS1_16scan_by_key_implILNS1_25lookback_scan_determinismE0ELb0ES3_PKiN6hipcub16HIPCUB_304000_NS21ConstantInputIteratorIilEEPiiNSB_3SumENSB_8EqualityEiEE10hipError_tPvRmT2_T3_T4_T5_mT6_T7_P12ihipStream_tbENKUlT_T0_E_clISt17integral_constantIbLb1EESW_IbLb0EEEEDaSS_ST_EUlSS_E_NS1_11comp_targetILNS1_3genE3ELNS1_11target_archE908ELNS1_3gpuE7ELNS1_3repE0EEENS1_30default_config_static_selectorELNS0_4arch9wavefront6targetE1EEEvT1_,@function
_ZN7rocprim17ROCPRIM_400000_NS6detail17trampoline_kernelINS0_14default_configENS1_27scan_by_key_config_selectorIiiEEZZNS1_16scan_by_key_implILNS1_25lookback_scan_determinismE0ELb0ES3_PKiN6hipcub16HIPCUB_304000_NS21ConstantInputIteratorIilEEPiiNSB_3SumENSB_8EqualityEiEE10hipError_tPvRmT2_T3_T4_T5_mT6_T7_P12ihipStream_tbENKUlT_T0_E_clISt17integral_constantIbLb1EESW_IbLb0EEEEDaSS_ST_EUlSS_E_NS1_11comp_targetILNS1_3genE3ELNS1_11target_archE908ELNS1_3gpuE7ELNS1_3repE0EEENS1_30default_config_static_selectorELNS0_4arch9wavefront6targetE1EEEvT1_: ; @_ZN7rocprim17ROCPRIM_400000_NS6detail17trampoline_kernelINS0_14default_configENS1_27scan_by_key_config_selectorIiiEEZZNS1_16scan_by_key_implILNS1_25lookback_scan_determinismE0ELb0ES3_PKiN6hipcub16HIPCUB_304000_NS21ConstantInputIteratorIilEEPiiNSB_3SumENSB_8EqualityEiEE10hipError_tPvRmT2_T3_T4_T5_mT6_T7_P12ihipStream_tbENKUlT_T0_E_clISt17integral_constantIbLb1EESW_IbLb0EEEEDaSS_ST_EUlSS_E_NS1_11comp_targetILNS1_3genE3ELNS1_11target_archE908ELNS1_3gpuE7ELNS1_3repE0EEENS1_30default_config_static_selectorELNS0_4arch9wavefront6targetE1EEEvT1_
; %bb.0:
	.section	.rodata,"a",@progbits
	.p2align	6, 0x0
	.amdhsa_kernel _ZN7rocprim17ROCPRIM_400000_NS6detail17trampoline_kernelINS0_14default_configENS1_27scan_by_key_config_selectorIiiEEZZNS1_16scan_by_key_implILNS1_25lookback_scan_determinismE0ELb0ES3_PKiN6hipcub16HIPCUB_304000_NS21ConstantInputIteratorIilEEPiiNSB_3SumENSB_8EqualityEiEE10hipError_tPvRmT2_T3_T4_T5_mT6_T7_P12ihipStream_tbENKUlT_T0_E_clISt17integral_constantIbLb1EESW_IbLb0EEEEDaSS_ST_EUlSS_E_NS1_11comp_targetILNS1_3genE3ELNS1_11target_archE908ELNS1_3gpuE7ELNS1_3repE0EEENS1_30default_config_static_selectorELNS0_4arch9wavefront6targetE1EEEvT1_
		.amdhsa_group_segment_fixed_size 0
		.amdhsa_private_segment_fixed_size 0
		.amdhsa_kernarg_size 120
		.amdhsa_user_sgpr_count 2
		.amdhsa_user_sgpr_dispatch_ptr 0
		.amdhsa_user_sgpr_queue_ptr 0
		.amdhsa_user_sgpr_kernarg_segment_ptr 1
		.amdhsa_user_sgpr_dispatch_id 0
		.amdhsa_user_sgpr_kernarg_preload_length 0
		.amdhsa_user_sgpr_kernarg_preload_offset 0
		.amdhsa_user_sgpr_private_segment_size 0
		.amdhsa_uses_dynamic_stack 0
		.amdhsa_enable_private_segment 0
		.amdhsa_system_sgpr_workgroup_id_x 1
		.amdhsa_system_sgpr_workgroup_id_y 0
		.amdhsa_system_sgpr_workgroup_id_z 0
		.amdhsa_system_sgpr_workgroup_info 0
		.amdhsa_system_vgpr_workitem_id 0
		.amdhsa_next_free_vgpr 1
		.amdhsa_next_free_sgpr 0
		.amdhsa_accum_offset 4
		.amdhsa_reserve_vcc 0
		.amdhsa_float_round_mode_32 0
		.amdhsa_float_round_mode_16_64 0
		.amdhsa_float_denorm_mode_32 3
		.amdhsa_float_denorm_mode_16_64 3
		.amdhsa_dx10_clamp 1
		.amdhsa_ieee_mode 1
		.amdhsa_fp16_overflow 0
		.amdhsa_tg_split 0
		.amdhsa_exception_fp_ieee_invalid_op 0
		.amdhsa_exception_fp_denorm_src 0
		.amdhsa_exception_fp_ieee_div_zero 0
		.amdhsa_exception_fp_ieee_overflow 0
		.amdhsa_exception_fp_ieee_underflow 0
		.amdhsa_exception_fp_ieee_inexact 0
		.amdhsa_exception_int_div_zero 0
	.end_amdhsa_kernel
	.section	.text._ZN7rocprim17ROCPRIM_400000_NS6detail17trampoline_kernelINS0_14default_configENS1_27scan_by_key_config_selectorIiiEEZZNS1_16scan_by_key_implILNS1_25lookback_scan_determinismE0ELb0ES3_PKiN6hipcub16HIPCUB_304000_NS21ConstantInputIteratorIilEEPiiNSB_3SumENSB_8EqualityEiEE10hipError_tPvRmT2_T3_T4_T5_mT6_T7_P12ihipStream_tbENKUlT_T0_E_clISt17integral_constantIbLb1EESW_IbLb0EEEEDaSS_ST_EUlSS_E_NS1_11comp_targetILNS1_3genE3ELNS1_11target_archE908ELNS1_3gpuE7ELNS1_3repE0EEENS1_30default_config_static_selectorELNS0_4arch9wavefront6targetE1EEEvT1_,"axG",@progbits,_ZN7rocprim17ROCPRIM_400000_NS6detail17trampoline_kernelINS0_14default_configENS1_27scan_by_key_config_selectorIiiEEZZNS1_16scan_by_key_implILNS1_25lookback_scan_determinismE0ELb0ES3_PKiN6hipcub16HIPCUB_304000_NS21ConstantInputIteratorIilEEPiiNSB_3SumENSB_8EqualityEiEE10hipError_tPvRmT2_T3_T4_T5_mT6_T7_P12ihipStream_tbENKUlT_T0_E_clISt17integral_constantIbLb1EESW_IbLb0EEEEDaSS_ST_EUlSS_E_NS1_11comp_targetILNS1_3genE3ELNS1_11target_archE908ELNS1_3gpuE7ELNS1_3repE0EEENS1_30default_config_static_selectorELNS0_4arch9wavefront6targetE1EEEvT1_,comdat
.Lfunc_end36:
	.size	_ZN7rocprim17ROCPRIM_400000_NS6detail17trampoline_kernelINS0_14default_configENS1_27scan_by_key_config_selectorIiiEEZZNS1_16scan_by_key_implILNS1_25lookback_scan_determinismE0ELb0ES3_PKiN6hipcub16HIPCUB_304000_NS21ConstantInputIteratorIilEEPiiNSB_3SumENSB_8EqualityEiEE10hipError_tPvRmT2_T3_T4_T5_mT6_T7_P12ihipStream_tbENKUlT_T0_E_clISt17integral_constantIbLb1EESW_IbLb0EEEEDaSS_ST_EUlSS_E_NS1_11comp_targetILNS1_3genE3ELNS1_11target_archE908ELNS1_3gpuE7ELNS1_3repE0EEENS1_30default_config_static_selectorELNS0_4arch9wavefront6targetE1EEEvT1_, .Lfunc_end36-_ZN7rocprim17ROCPRIM_400000_NS6detail17trampoline_kernelINS0_14default_configENS1_27scan_by_key_config_selectorIiiEEZZNS1_16scan_by_key_implILNS1_25lookback_scan_determinismE0ELb0ES3_PKiN6hipcub16HIPCUB_304000_NS21ConstantInputIteratorIilEEPiiNSB_3SumENSB_8EqualityEiEE10hipError_tPvRmT2_T3_T4_T5_mT6_T7_P12ihipStream_tbENKUlT_T0_E_clISt17integral_constantIbLb1EESW_IbLb0EEEEDaSS_ST_EUlSS_E_NS1_11comp_targetILNS1_3genE3ELNS1_11target_archE908ELNS1_3gpuE7ELNS1_3repE0EEENS1_30default_config_static_selectorELNS0_4arch9wavefront6targetE1EEEvT1_
                                        ; -- End function
	.set _ZN7rocprim17ROCPRIM_400000_NS6detail17trampoline_kernelINS0_14default_configENS1_27scan_by_key_config_selectorIiiEEZZNS1_16scan_by_key_implILNS1_25lookback_scan_determinismE0ELb0ES3_PKiN6hipcub16HIPCUB_304000_NS21ConstantInputIteratorIilEEPiiNSB_3SumENSB_8EqualityEiEE10hipError_tPvRmT2_T3_T4_T5_mT6_T7_P12ihipStream_tbENKUlT_T0_E_clISt17integral_constantIbLb1EESW_IbLb0EEEEDaSS_ST_EUlSS_E_NS1_11comp_targetILNS1_3genE3ELNS1_11target_archE908ELNS1_3gpuE7ELNS1_3repE0EEENS1_30default_config_static_selectorELNS0_4arch9wavefront6targetE1EEEvT1_.num_vgpr, 0
	.set _ZN7rocprim17ROCPRIM_400000_NS6detail17trampoline_kernelINS0_14default_configENS1_27scan_by_key_config_selectorIiiEEZZNS1_16scan_by_key_implILNS1_25lookback_scan_determinismE0ELb0ES3_PKiN6hipcub16HIPCUB_304000_NS21ConstantInputIteratorIilEEPiiNSB_3SumENSB_8EqualityEiEE10hipError_tPvRmT2_T3_T4_T5_mT6_T7_P12ihipStream_tbENKUlT_T0_E_clISt17integral_constantIbLb1EESW_IbLb0EEEEDaSS_ST_EUlSS_E_NS1_11comp_targetILNS1_3genE3ELNS1_11target_archE908ELNS1_3gpuE7ELNS1_3repE0EEENS1_30default_config_static_selectorELNS0_4arch9wavefront6targetE1EEEvT1_.num_agpr, 0
	.set _ZN7rocprim17ROCPRIM_400000_NS6detail17trampoline_kernelINS0_14default_configENS1_27scan_by_key_config_selectorIiiEEZZNS1_16scan_by_key_implILNS1_25lookback_scan_determinismE0ELb0ES3_PKiN6hipcub16HIPCUB_304000_NS21ConstantInputIteratorIilEEPiiNSB_3SumENSB_8EqualityEiEE10hipError_tPvRmT2_T3_T4_T5_mT6_T7_P12ihipStream_tbENKUlT_T0_E_clISt17integral_constantIbLb1EESW_IbLb0EEEEDaSS_ST_EUlSS_E_NS1_11comp_targetILNS1_3genE3ELNS1_11target_archE908ELNS1_3gpuE7ELNS1_3repE0EEENS1_30default_config_static_selectorELNS0_4arch9wavefront6targetE1EEEvT1_.numbered_sgpr, 0
	.set _ZN7rocprim17ROCPRIM_400000_NS6detail17trampoline_kernelINS0_14default_configENS1_27scan_by_key_config_selectorIiiEEZZNS1_16scan_by_key_implILNS1_25lookback_scan_determinismE0ELb0ES3_PKiN6hipcub16HIPCUB_304000_NS21ConstantInputIteratorIilEEPiiNSB_3SumENSB_8EqualityEiEE10hipError_tPvRmT2_T3_T4_T5_mT6_T7_P12ihipStream_tbENKUlT_T0_E_clISt17integral_constantIbLb1EESW_IbLb0EEEEDaSS_ST_EUlSS_E_NS1_11comp_targetILNS1_3genE3ELNS1_11target_archE908ELNS1_3gpuE7ELNS1_3repE0EEENS1_30default_config_static_selectorELNS0_4arch9wavefront6targetE1EEEvT1_.num_named_barrier, 0
	.set _ZN7rocprim17ROCPRIM_400000_NS6detail17trampoline_kernelINS0_14default_configENS1_27scan_by_key_config_selectorIiiEEZZNS1_16scan_by_key_implILNS1_25lookback_scan_determinismE0ELb0ES3_PKiN6hipcub16HIPCUB_304000_NS21ConstantInputIteratorIilEEPiiNSB_3SumENSB_8EqualityEiEE10hipError_tPvRmT2_T3_T4_T5_mT6_T7_P12ihipStream_tbENKUlT_T0_E_clISt17integral_constantIbLb1EESW_IbLb0EEEEDaSS_ST_EUlSS_E_NS1_11comp_targetILNS1_3genE3ELNS1_11target_archE908ELNS1_3gpuE7ELNS1_3repE0EEENS1_30default_config_static_selectorELNS0_4arch9wavefront6targetE1EEEvT1_.private_seg_size, 0
	.set _ZN7rocprim17ROCPRIM_400000_NS6detail17trampoline_kernelINS0_14default_configENS1_27scan_by_key_config_selectorIiiEEZZNS1_16scan_by_key_implILNS1_25lookback_scan_determinismE0ELb0ES3_PKiN6hipcub16HIPCUB_304000_NS21ConstantInputIteratorIilEEPiiNSB_3SumENSB_8EqualityEiEE10hipError_tPvRmT2_T3_T4_T5_mT6_T7_P12ihipStream_tbENKUlT_T0_E_clISt17integral_constantIbLb1EESW_IbLb0EEEEDaSS_ST_EUlSS_E_NS1_11comp_targetILNS1_3genE3ELNS1_11target_archE908ELNS1_3gpuE7ELNS1_3repE0EEENS1_30default_config_static_selectorELNS0_4arch9wavefront6targetE1EEEvT1_.uses_vcc, 0
	.set _ZN7rocprim17ROCPRIM_400000_NS6detail17trampoline_kernelINS0_14default_configENS1_27scan_by_key_config_selectorIiiEEZZNS1_16scan_by_key_implILNS1_25lookback_scan_determinismE0ELb0ES3_PKiN6hipcub16HIPCUB_304000_NS21ConstantInputIteratorIilEEPiiNSB_3SumENSB_8EqualityEiEE10hipError_tPvRmT2_T3_T4_T5_mT6_T7_P12ihipStream_tbENKUlT_T0_E_clISt17integral_constantIbLb1EESW_IbLb0EEEEDaSS_ST_EUlSS_E_NS1_11comp_targetILNS1_3genE3ELNS1_11target_archE908ELNS1_3gpuE7ELNS1_3repE0EEENS1_30default_config_static_selectorELNS0_4arch9wavefront6targetE1EEEvT1_.uses_flat_scratch, 0
	.set _ZN7rocprim17ROCPRIM_400000_NS6detail17trampoline_kernelINS0_14default_configENS1_27scan_by_key_config_selectorIiiEEZZNS1_16scan_by_key_implILNS1_25lookback_scan_determinismE0ELb0ES3_PKiN6hipcub16HIPCUB_304000_NS21ConstantInputIteratorIilEEPiiNSB_3SumENSB_8EqualityEiEE10hipError_tPvRmT2_T3_T4_T5_mT6_T7_P12ihipStream_tbENKUlT_T0_E_clISt17integral_constantIbLb1EESW_IbLb0EEEEDaSS_ST_EUlSS_E_NS1_11comp_targetILNS1_3genE3ELNS1_11target_archE908ELNS1_3gpuE7ELNS1_3repE0EEENS1_30default_config_static_selectorELNS0_4arch9wavefront6targetE1EEEvT1_.has_dyn_sized_stack, 0
	.set _ZN7rocprim17ROCPRIM_400000_NS6detail17trampoline_kernelINS0_14default_configENS1_27scan_by_key_config_selectorIiiEEZZNS1_16scan_by_key_implILNS1_25lookback_scan_determinismE0ELb0ES3_PKiN6hipcub16HIPCUB_304000_NS21ConstantInputIteratorIilEEPiiNSB_3SumENSB_8EqualityEiEE10hipError_tPvRmT2_T3_T4_T5_mT6_T7_P12ihipStream_tbENKUlT_T0_E_clISt17integral_constantIbLb1EESW_IbLb0EEEEDaSS_ST_EUlSS_E_NS1_11comp_targetILNS1_3genE3ELNS1_11target_archE908ELNS1_3gpuE7ELNS1_3repE0EEENS1_30default_config_static_selectorELNS0_4arch9wavefront6targetE1EEEvT1_.has_recursion, 0
	.set _ZN7rocprim17ROCPRIM_400000_NS6detail17trampoline_kernelINS0_14default_configENS1_27scan_by_key_config_selectorIiiEEZZNS1_16scan_by_key_implILNS1_25lookback_scan_determinismE0ELb0ES3_PKiN6hipcub16HIPCUB_304000_NS21ConstantInputIteratorIilEEPiiNSB_3SumENSB_8EqualityEiEE10hipError_tPvRmT2_T3_T4_T5_mT6_T7_P12ihipStream_tbENKUlT_T0_E_clISt17integral_constantIbLb1EESW_IbLb0EEEEDaSS_ST_EUlSS_E_NS1_11comp_targetILNS1_3genE3ELNS1_11target_archE908ELNS1_3gpuE7ELNS1_3repE0EEENS1_30default_config_static_selectorELNS0_4arch9wavefront6targetE1EEEvT1_.has_indirect_call, 0
	.section	.AMDGPU.csdata,"",@progbits
; Kernel info:
; codeLenInByte = 0
; TotalNumSgprs: 6
; NumVgprs: 0
; NumAgprs: 0
; TotalNumVgprs: 0
; ScratchSize: 0
; MemoryBound: 0
; FloatMode: 240
; IeeeMode: 1
; LDSByteSize: 0 bytes/workgroup (compile time only)
; SGPRBlocks: 0
; VGPRBlocks: 0
; NumSGPRsForWavesPerEU: 6
; NumVGPRsForWavesPerEU: 1
; AccumOffset: 4
; Occupancy: 8
; WaveLimiterHint : 0
; COMPUTE_PGM_RSRC2:SCRATCH_EN: 0
; COMPUTE_PGM_RSRC2:USER_SGPR: 2
; COMPUTE_PGM_RSRC2:TRAP_HANDLER: 0
; COMPUTE_PGM_RSRC2:TGID_X_EN: 1
; COMPUTE_PGM_RSRC2:TGID_Y_EN: 0
; COMPUTE_PGM_RSRC2:TGID_Z_EN: 0
; COMPUTE_PGM_RSRC2:TIDIG_COMP_CNT: 0
; COMPUTE_PGM_RSRC3_GFX90A:ACCUM_OFFSET: 0
; COMPUTE_PGM_RSRC3_GFX90A:TG_SPLIT: 0
	.section	.text._ZN7rocprim17ROCPRIM_400000_NS6detail17trampoline_kernelINS0_14default_configENS1_27scan_by_key_config_selectorIiiEEZZNS1_16scan_by_key_implILNS1_25lookback_scan_determinismE0ELb0ES3_PKiN6hipcub16HIPCUB_304000_NS21ConstantInputIteratorIilEEPiiNSB_3SumENSB_8EqualityEiEE10hipError_tPvRmT2_T3_T4_T5_mT6_T7_P12ihipStream_tbENKUlT_T0_E_clISt17integral_constantIbLb1EESW_IbLb0EEEEDaSS_ST_EUlSS_E_NS1_11comp_targetILNS1_3genE2ELNS1_11target_archE906ELNS1_3gpuE6ELNS1_3repE0EEENS1_30default_config_static_selectorELNS0_4arch9wavefront6targetE1EEEvT1_,"axG",@progbits,_ZN7rocprim17ROCPRIM_400000_NS6detail17trampoline_kernelINS0_14default_configENS1_27scan_by_key_config_selectorIiiEEZZNS1_16scan_by_key_implILNS1_25lookback_scan_determinismE0ELb0ES3_PKiN6hipcub16HIPCUB_304000_NS21ConstantInputIteratorIilEEPiiNSB_3SumENSB_8EqualityEiEE10hipError_tPvRmT2_T3_T4_T5_mT6_T7_P12ihipStream_tbENKUlT_T0_E_clISt17integral_constantIbLb1EESW_IbLb0EEEEDaSS_ST_EUlSS_E_NS1_11comp_targetILNS1_3genE2ELNS1_11target_archE906ELNS1_3gpuE6ELNS1_3repE0EEENS1_30default_config_static_selectorELNS0_4arch9wavefront6targetE1EEEvT1_,comdat
	.protected	_ZN7rocprim17ROCPRIM_400000_NS6detail17trampoline_kernelINS0_14default_configENS1_27scan_by_key_config_selectorIiiEEZZNS1_16scan_by_key_implILNS1_25lookback_scan_determinismE0ELb0ES3_PKiN6hipcub16HIPCUB_304000_NS21ConstantInputIteratorIilEEPiiNSB_3SumENSB_8EqualityEiEE10hipError_tPvRmT2_T3_T4_T5_mT6_T7_P12ihipStream_tbENKUlT_T0_E_clISt17integral_constantIbLb1EESW_IbLb0EEEEDaSS_ST_EUlSS_E_NS1_11comp_targetILNS1_3genE2ELNS1_11target_archE906ELNS1_3gpuE6ELNS1_3repE0EEENS1_30default_config_static_selectorELNS0_4arch9wavefront6targetE1EEEvT1_ ; -- Begin function _ZN7rocprim17ROCPRIM_400000_NS6detail17trampoline_kernelINS0_14default_configENS1_27scan_by_key_config_selectorIiiEEZZNS1_16scan_by_key_implILNS1_25lookback_scan_determinismE0ELb0ES3_PKiN6hipcub16HIPCUB_304000_NS21ConstantInputIteratorIilEEPiiNSB_3SumENSB_8EqualityEiEE10hipError_tPvRmT2_T3_T4_T5_mT6_T7_P12ihipStream_tbENKUlT_T0_E_clISt17integral_constantIbLb1EESW_IbLb0EEEEDaSS_ST_EUlSS_E_NS1_11comp_targetILNS1_3genE2ELNS1_11target_archE906ELNS1_3gpuE6ELNS1_3repE0EEENS1_30default_config_static_selectorELNS0_4arch9wavefront6targetE1EEEvT1_
	.globl	_ZN7rocprim17ROCPRIM_400000_NS6detail17trampoline_kernelINS0_14default_configENS1_27scan_by_key_config_selectorIiiEEZZNS1_16scan_by_key_implILNS1_25lookback_scan_determinismE0ELb0ES3_PKiN6hipcub16HIPCUB_304000_NS21ConstantInputIteratorIilEEPiiNSB_3SumENSB_8EqualityEiEE10hipError_tPvRmT2_T3_T4_T5_mT6_T7_P12ihipStream_tbENKUlT_T0_E_clISt17integral_constantIbLb1EESW_IbLb0EEEEDaSS_ST_EUlSS_E_NS1_11comp_targetILNS1_3genE2ELNS1_11target_archE906ELNS1_3gpuE6ELNS1_3repE0EEENS1_30default_config_static_selectorELNS0_4arch9wavefront6targetE1EEEvT1_
	.p2align	8
	.type	_ZN7rocprim17ROCPRIM_400000_NS6detail17trampoline_kernelINS0_14default_configENS1_27scan_by_key_config_selectorIiiEEZZNS1_16scan_by_key_implILNS1_25lookback_scan_determinismE0ELb0ES3_PKiN6hipcub16HIPCUB_304000_NS21ConstantInputIteratorIilEEPiiNSB_3SumENSB_8EqualityEiEE10hipError_tPvRmT2_T3_T4_T5_mT6_T7_P12ihipStream_tbENKUlT_T0_E_clISt17integral_constantIbLb1EESW_IbLb0EEEEDaSS_ST_EUlSS_E_NS1_11comp_targetILNS1_3genE2ELNS1_11target_archE906ELNS1_3gpuE6ELNS1_3repE0EEENS1_30default_config_static_selectorELNS0_4arch9wavefront6targetE1EEEvT1_,@function
_ZN7rocprim17ROCPRIM_400000_NS6detail17trampoline_kernelINS0_14default_configENS1_27scan_by_key_config_selectorIiiEEZZNS1_16scan_by_key_implILNS1_25lookback_scan_determinismE0ELb0ES3_PKiN6hipcub16HIPCUB_304000_NS21ConstantInputIteratorIilEEPiiNSB_3SumENSB_8EqualityEiEE10hipError_tPvRmT2_T3_T4_T5_mT6_T7_P12ihipStream_tbENKUlT_T0_E_clISt17integral_constantIbLb1EESW_IbLb0EEEEDaSS_ST_EUlSS_E_NS1_11comp_targetILNS1_3genE2ELNS1_11target_archE906ELNS1_3gpuE6ELNS1_3repE0EEENS1_30default_config_static_selectorELNS0_4arch9wavefront6targetE1EEEvT1_: ; @_ZN7rocprim17ROCPRIM_400000_NS6detail17trampoline_kernelINS0_14default_configENS1_27scan_by_key_config_selectorIiiEEZZNS1_16scan_by_key_implILNS1_25lookback_scan_determinismE0ELb0ES3_PKiN6hipcub16HIPCUB_304000_NS21ConstantInputIteratorIilEEPiiNSB_3SumENSB_8EqualityEiEE10hipError_tPvRmT2_T3_T4_T5_mT6_T7_P12ihipStream_tbENKUlT_T0_E_clISt17integral_constantIbLb1EESW_IbLb0EEEEDaSS_ST_EUlSS_E_NS1_11comp_targetILNS1_3genE2ELNS1_11target_archE906ELNS1_3gpuE6ELNS1_3repE0EEENS1_30default_config_static_selectorELNS0_4arch9wavefront6targetE1EEEvT1_
; %bb.0:
	.section	.rodata,"a",@progbits
	.p2align	6, 0x0
	.amdhsa_kernel _ZN7rocprim17ROCPRIM_400000_NS6detail17trampoline_kernelINS0_14default_configENS1_27scan_by_key_config_selectorIiiEEZZNS1_16scan_by_key_implILNS1_25lookback_scan_determinismE0ELb0ES3_PKiN6hipcub16HIPCUB_304000_NS21ConstantInputIteratorIilEEPiiNSB_3SumENSB_8EqualityEiEE10hipError_tPvRmT2_T3_T4_T5_mT6_T7_P12ihipStream_tbENKUlT_T0_E_clISt17integral_constantIbLb1EESW_IbLb0EEEEDaSS_ST_EUlSS_E_NS1_11comp_targetILNS1_3genE2ELNS1_11target_archE906ELNS1_3gpuE6ELNS1_3repE0EEENS1_30default_config_static_selectorELNS0_4arch9wavefront6targetE1EEEvT1_
		.amdhsa_group_segment_fixed_size 0
		.amdhsa_private_segment_fixed_size 0
		.amdhsa_kernarg_size 120
		.amdhsa_user_sgpr_count 2
		.amdhsa_user_sgpr_dispatch_ptr 0
		.amdhsa_user_sgpr_queue_ptr 0
		.amdhsa_user_sgpr_kernarg_segment_ptr 1
		.amdhsa_user_sgpr_dispatch_id 0
		.amdhsa_user_sgpr_kernarg_preload_length 0
		.amdhsa_user_sgpr_kernarg_preload_offset 0
		.amdhsa_user_sgpr_private_segment_size 0
		.amdhsa_uses_dynamic_stack 0
		.amdhsa_enable_private_segment 0
		.amdhsa_system_sgpr_workgroup_id_x 1
		.amdhsa_system_sgpr_workgroup_id_y 0
		.amdhsa_system_sgpr_workgroup_id_z 0
		.amdhsa_system_sgpr_workgroup_info 0
		.amdhsa_system_vgpr_workitem_id 0
		.amdhsa_next_free_vgpr 1
		.amdhsa_next_free_sgpr 0
		.amdhsa_accum_offset 4
		.amdhsa_reserve_vcc 0
		.amdhsa_float_round_mode_32 0
		.amdhsa_float_round_mode_16_64 0
		.amdhsa_float_denorm_mode_32 3
		.amdhsa_float_denorm_mode_16_64 3
		.amdhsa_dx10_clamp 1
		.amdhsa_ieee_mode 1
		.amdhsa_fp16_overflow 0
		.amdhsa_tg_split 0
		.amdhsa_exception_fp_ieee_invalid_op 0
		.amdhsa_exception_fp_denorm_src 0
		.amdhsa_exception_fp_ieee_div_zero 0
		.amdhsa_exception_fp_ieee_overflow 0
		.amdhsa_exception_fp_ieee_underflow 0
		.amdhsa_exception_fp_ieee_inexact 0
		.amdhsa_exception_int_div_zero 0
	.end_amdhsa_kernel
	.section	.text._ZN7rocprim17ROCPRIM_400000_NS6detail17trampoline_kernelINS0_14default_configENS1_27scan_by_key_config_selectorIiiEEZZNS1_16scan_by_key_implILNS1_25lookback_scan_determinismE0ELb0ES3_PKiN6hipcub16HIPCUB_304000_NS21ConstantInputIteratorIilEEPiiNSB_3SumENSB_8EqualityEiEE10hipError_tPvRmT2_T3_T4_T5_mT6_T7_P12ihipStream_tbENKUlT_T0_E_clISt17integral_constantIbLb1EESW_IbLb0EEEEDaSS_ST_EUlSS_E_NS1_11comp_targetILNS1_3genE2ELNS1_11target_archE906ELNS1_3gpuE6ELNS1_3repE0EEENS1_30default_config_static_selectorELNS0_4arch9wavefront6targetE1EEEvT1_,"axG",@progbits,_ZN7rocprim17ROCPRIM_400000_NS6detail17trampoline_kernelINS0_14default_configENS1_27scan_by_key_config_selectorIiiEEZZNS1_16scan_by_key_implILNS1_25lookback_scan_determinismE0ELb0ES3_PKiN6hipcub16HIPCUB_304000_NS21ConstantInputIteratorIilEEPiiNSB_3SumENSB_8EqualityEiEE10hipError_tPvRmT2_T3_T4_T5_mT6_T7_P12ihipStream_tbENKUlT_T0_E_clISt17integral_constantIbLb1EESW_IbLb0EEEEDaSS_ST_EUlSS_E_NS1_11comp_targetILNS1_3genE2ELNS1_11target_archE906ELNS1_3gpuE6ELNS1_3repE0EEENS1_30default_config_static_selectorELNS0_4arch9wavefront6targetE1EEEvT1_,comdat
.Lfunc_end37:
	.size	_ZN7rocprim17ROCPRIM_400000_NS6detail17trampoline_kernelINS0_14default_configENS1_27scan_by_key_config_selectorIiiEEZZNS1_16scan_by_key_implILNS1_25lookback_scan_determinismE0ELb0ES3_PKiN6hipcub16HIPCUB_304000_NS21ConstantInputIteratorIilEEPiiNSB_3SumENSB_8EqualityEiEE10hipError_tPvRmT2_T3_T4_T5_mT6_T7_P12ihipStream_tbENKUlT_T0_E_clISt17integral_constantIbLb1EESW_IbLb0EEEEDaSS_ST_EUlSS_E_NS1_11comp_targetILNS1_3genE2ELNS1_11target_archE906ELNS1_3gpuE6ELNS1_3repE0EEENS1_30default_config_static_selectorELNS0_4arch9wavefront6targetE1EEEvT1_, .Lfunc_end37-_ZN7rocprim17ROCPRIM_400000_NS6detail17trampoline_kernelINS0_14default_configENS1_27scan_by_key_config_selectorIiiEEZZNS1_16scan_by_key_implILNS1_25lookback_scan_determinismE0ELb0ES3_PKiN6hipcub16HIPCUB_304000_NS21ConstantInputIteratorIilEEPiiNSB_3SumENSB_8EqualityEiEE10hipError_tPvRmT2_T3_T4_T5_mT6_T7_P12ihipStream_tbENKUlT_T0_E_clISt17integral_constantIbLb1EESW_IbLb0EEEEDaSS_ST_EUlSS_E_NS1_11comp_targetILNS1_3genE2ELNS1_11target_archE906ELNS1_3gpuE6ELNS1_3repE0EEENS1_30default_config_static_selectorELNS0_4arch9wavefront6targetE1EEEvT1_
                                        ; -- End function
	.set _ZN7rocprim17ROCPRIM_400000_NS6detail17trampoline_kernelINS0_14default_configENS1_27scan_by_key_config_selectorIiiEEZZNS1_16scan_by_key_implILNS1_25lookback_scan_determinismE0ELb0ES3_PKiN6hipcub16HIPCUB_304000_NS21ConstantInputIteratorIilEEPiiNSB_3SumENSB_8EqualityEiEE10hipError_tPvRmT2_T3_T4_T5_mT6_T7_P12ihipStream_tbENKUlT_T0_E_clISt17integral_constantIbLb1EESW_IbLb0EEEEDaSS_ST_EUlSS_E_NS1_11comp_targetILNS1_3genE2ELNS1_11target_archE906ELNS1_3gpuE6ELNS1_3repE0EEENS1_30default_config_static_selectorELNS0_4arch9wavefront6targetE1EEEvT1_.num_vgpr, 0
	.set _ZN7rocprim17ROCPRIM_400000_NS6detail17trampoline_kernelINS0_14default_configENS1_27scan_by_key_config_selectorIiiEEZZNS1_16scan_by_key_implILNS1_25lookback_scan_determinismE0ELb0ES3_PKiN6hipcub16HIPCUB_304000_NS21ConstantInputIteratorIilEEPiiNSB_3SumENSB_8EqualityEiEE10hipError_tPvRmT2_T3_T4_T5_mT6_T7_P12ihipStream_tbENKUlT_T0_E_clISt17integral_constantIbLb1EESW_IbLb0EEEEDaSS_ST_EUlSS_E_NS1_11comp_targetILNS1_3genE2ELNS1_11target_archE906ELNS1_3gpuE6ELNS1_3repE0EEENS1_30default_config_static_selectorELNS0_4arch9wavefront6targetE1EEEvT1_.num_agpr, 0
	.set _ZN7rocprim17ROCPRIM_400000_NS6detail17trampoline_kernelINS0_14default_configENS1_27scan_by_key_config_selectorIiiEEZZNS1_16scan_by_key_implILNS1_25lookback_scan_determinismE0ELb0ES3_PKiN6hipcub16HIPCUB_304000_NS21ConstantInputIteratorIilEEPiiNSB_3SumENSB_8EqualityEiEE10hipError_tPvRmT2_T3_T4_T5_mT6_T7_P12ihipStream_tbENKUlT_T0_E_clISt17integral_constantIbLb1EESW_IbLb0EEEEDaSS_ST_EUlSS_E_NS1_11comp_targetILNS1_3genE2ELNS1_11target_archE906ELNS1_3gpuE6ELNS1_3repE0EEENS1_30default_config_static_selectorELNS0_4arch9wavefront6targetE1EEEvT1_.numbered_sgpr, 0
	.set _ZN7rocprim17ROCPRIM_400000_NS6detail17trampoline_kernelINS0_14default_configENS1_27scan_by_key_config_selectorIiiEEZZNS1_16scan_by_key_implILNS1_25lookback_scan_determinismE0ELb0ES3_PKiN6hipcub16HIPCUB_304000_NS21ConstantInputIteratorIilEEPiiNSB_3SumENSB_8EqualityEiEE10hipError_tPvRmT2_T3_T4_T5_mT6_T7_P12ihipStream_tbENKUlT_T0_E_clISt17integral_constantIbLb1EESW_IbLb0EEEEDaSS_ST_EUlSS_E_NS1_11comp_targetILNS1_3genE2ELNS1_11target_archE906ELNS1_3gpuE6ELNS1_3repE0EEENS1_30default_config_static_selectorELNS0_4arch9wavefront6targetE1EEEvT1_.num_named_barrier, 0
	.set _ZN7rocprim17ROCPRIM_400000_NS6detail17trampoline_kernelINS0_14default_configENS1_27scan_by_key_config_selectorIiiEEZZNS1_16scan_by_key_implILNS1_25lookback_scan_determinismE0ELb0ES3_PKiN6hipcub16HIPCUB_304000_NS21ConstantInputIteratorIilEEPiiNSB_3SumENSB_8EqualityEiEE10hipError_tPvRmT2_T3_T4_T5_mT6_T7_P12ihipStream_tbENKUlT_T0_E_clISt17integral_constantIbLb1EESW_IbLb0EEEEDaSS_ST_EUlSS_E_NS1_11comp_targetILNS1_3genE2ELNS1_11target_archE906ELNS1_3gpuE6ELNS1_3repE0EEENS1_30default_config_static_selectorELNS0_4arch9wavefront6targetE1EEEvT1_.private_seg_size, 0
	.set _ZN7rocprim17ROCPRIM_400000_NS6detail17trampoline_kernelINS0_14default_configENS1_27scan_by_key_config_selectorIiiEEZZNS1_16scan_by_key_implILNS1_25lookback_scan_determinismE0ELb0ES3_PKiN6hipcub16HIPCUB_304000_NS21ConstantInputIteratorIilEEPiiNSB_3SumENSB_8EqualityEiEE10hipError_tPvRmT2_T3_T4_T5_mT6_T7_P12ihipStream_tbENKUlT_T0_E_clISt17integral_constantIbLb1EESW_IbLb0EEEEDaSS_ST_EUlSS_E_NS1_11comp_targetILNS1_3genE2ELNS1_11target_archE906ELNS1_3gpuE6ELNS1_3repE0EEENS1_30default_config_static_selectorELNS0_4arch9wavefront6targetE1EEEvT1_.uses_vcc, 0
	.set _ZN7rocprim17ROCPRIM_400000_NS6detail17trampoline_kernelINS0_14default_configENS1_27scan_by_key_config_selectorIiiEEZZNS1_16scan_by_key_implILNS1_25lookback_scan_determinismE0ELb0ES3_PKiN6hipcub16HIPCUB_304000_NS21ConstantInputIteratorIilEEPiiNSB_3SumENSB_8EqualityEiEE10hipError_tPvRmT2_T3_T4_T5_mT6_T7_P12ihipStream_tbENKUlT_T0_E_clISt17integral_constantIbLb1EESW_IbLb0EEEEDaSS_ST_EUlSS_E_NS1_11comp_targetILNS1_3genE2ELNS1_11target_archE906ELNS1_3gpuE6ELNS1_3repE0EEENS1_30default_config_static_selectorELNS0_4arch9wavefront6targetE1EEEvT1_.uses_flat_scratch, 0
	.set _ZN7rocprim17ROCPRIM_400000_NS6detail17trampoline_kernelINS0_14default_configENS1_27scan_by_key_config_selectorIiiEEZZNS1_16scan_by_key_implILNS1_25lookback_scan_determinismE0ELb0ES3_PKiN6hipcub16HIPCUB_304000_NS21ConstantInputIteratorIilEEPiiNSB_3SumENSB_8EqualityEiEE10hipError_tPvRmT2_T3_T4_T5_mT6_T7_P12ihipStream_tbENKUlT_T0_E_clISt17integral_constantIbLb1EESW_IbLb0EEEEDaSS_ST_EUlSS_E_NS1_11comp_targetILNS1_3genE2ELNS1_11target_archE906ELNS1_3gpuE6ELNS1_3repE0EEENS1_30default_config_static_selectorELNS0_4arch9wavefront6targetE1EEEvT1_.has_dyn_sized_stack, 0
	.set _ZN7rocprim17ROCPRIM_400000_NS6detail17trampoline_kernelINS0_14default_configENS1_27scan_by_key_config_selectorIiiEEZZNS1_16scan_by_key_implILNS1_25lookback_scan_determinismE0ELb0ES3_PKiN6hipcub16HIPCUB_304000_NS21ConstantInputIteratorIilEEPiiNSB_3SumENSB_8EqualityEiEE10hipError_tPvRmT2_T3_T4_T5_mT6_T7_P12ihipStream_tbENKUlT_T0_E_clISt17integral_constantIbLb1EESW_IbLb0EEEEDaSS_ST_EUlSS_E_NS1_11comp_targetILNS1_3genE2ELNS1_11target_archE906ELNS1_3gpuE6ELNS1_3repE0EEENS1_30default_config_static_selectorELNS0_4arch9wavefront6targetE1EEEvT1_.has_recursion, 0
	.set _ZN7rocprim17ROCPRIM_400000_NS6detail17trampoline_kernelINS0_14default_configENS1_27scan_by_key_config_selectorIiiEEZZNS1_16scan_by_key_implILNS1_25lookback_scan_determinismE0ELb0ES3_PKiN6hipcub16HIPCUB_304000_NS21ConstantInputIteratorIilEEPiiNSB_3SumENSB_8EqualityEiEE10hipError_tPvRmT2_T3_T4_T5_mT6_T7_P12ihipStream_tbENKUlT_T0_E_clISt17integral_constantIbLb1EESW_IbLb0EEEEDaSS_ST_EUlSS_E_NS1_11comp_targetILNS1_3genE2ELNS1_11target_archE906ELNS1_3gpuE6ELNS1_3repE0EEENS1_30default_config_static_selectorELNS0_4arch9wavefront6targetE1EEEvT1_.has_indirect_call, 0
	.section	.AMDGPU.csdata,"",@progbits
; Kernel info:
; codeLenInByte = 0
; TotalNumSgprs: 6
; NumVgprs: 0
; NumAgprs: 0
; TotalNumVgprs: 0
; ScratchSize: 0
; MemoryBound: 0
; FloatMode: 240
; IeeeMode: 1
; LDSByteSize: 0 bytes/workgroup (compile time only)
; SGPRBlocks: 0
; VGPRBlocks: 0
; NumSGPRsForWavesPerEU: 6
; NumVGPRsForWavesPerEU: 1
; AccumOffset: 4
; Occupancy: 8
; WaveLimiterHint : 0
; COMPUTE_PGM_RSRC2:SCRATCH_EN: 0
; COMPUTE_PGM_RSRC2:USER_SGPR: 2
; COMPUTE_PGM_RSRC2:TRAP_HANDLER: 0
; COMPUTE_PGM_RSRC2:TGID_X_EN: 1
; COMPUTE_PGM_RSRC2:TGID_Y_EN: 0
; COMPUTE_PGM_RSRC2:TGID_Z_EN: 0
; COMPUTE_PGM_RSRC2:TIDIG_COMP_CNT: 0
; COMPUTE_PGM_RSRC3_GFX90A:ACCUM_OFFSET: 0
; COMPUTE_PGM_RSRC3_GFX90A:TG_SPLIT: 0
	.section	.text._ZN7rocprim17ROCPRIM_400000_NS6detail17trampoline_kernelINS0_14default_configENS1_27scan_by_key_config_selectorIiiEEZZNS1_16scan_by_key_implILNS1_25lookback_scan_determinismE0ELb0ES3_PKiN6hipcub16HIPCUB_304000_NS21ConstantInputIteratorIilEEPiiNSB_3SumENSB_8EqualityEiEE10hipError_tPvRmT2_T3_T4_T5_mT6_T7_P12ihipStream_tbENKUlT_T0_E_clISt17integral_constantIbLb1EESW_IbLb0EEEEDaSS_ST_EUlSS_E_NS1_11comp_targetILNS1_3genE10ELNS1_11target_archE1200ELNS1_3gpuE4ELNS1_3repE0EEENS1_30default_config_static_selectorELNS0_4arch9wavefront6targetE1EEEvT1_,"axG",@progbits,_ZN7rocprim17ROCPRIM_400000_NS6detail17trampoline_kernelINS0_14default_configENS1_27scan_by_key_config_selectorIiiEEZZNS1_16scan_by_key_implILNS1_25lookback_scan_determinismE0ELb0ES3_PKiN6hipcub16HIPCUB_304000_NS21ConstantInputIteratorIilEEPiiNSB_3SumENSB_8EqualityEiEE10hipError_tPvRmT2_T3_T4_T5_mT6_T7_P12ihipStream_tbENKUlT_T0_E_clISt17integral_constantIbLb1EESW_IbLb0EEEEDaSS_ST_EUlSS_E_NS1_11comp_targetILNS1_3genE10ELNS1_11target_archE1200ELNS1_3gpuE4ELNS1_3repE0EEENS1_30default_config_static_selectorELNS0_4arch9wavefront6targetE1EEEvT1_,comdat
	.protected	_ZN7rocprim17ROCPRIM_400000_NS6detail17trampoline_kernelINS0_14default_configENS1_27scan_by_key_config_selectorIiiEEZZNS1_16scan_by_key_implILNS1_25lookback_scan_determinismE0ELb0ES3_PKiN6hipcub16HIPCUB_304000_NS21ConstantInputIteratorIilEEPiiNSB_3SumENSB_8EqualityEiEE10hipError_tPvRmT2_T3_T4_T5_mT6_T7_P12ihipStream_tbENKUlT_T0_E_clISt17integral_constantIbLb1EESW_IbLb0EEEEDaSS_ST_EUlSS_E_NS1_11comp_targetILNS1_3genE10ELNS1_11target_archE1200ELNS1_3gpuE4ELNS1_3repE0EEENS1_30default_config_static_selectorELNS0_4arch9wavefront6targetE1EEEvT1_ ; -- Begin function _ZN7rocprim17ROCPRIM_400000_NS6detail17trampoline_kernelINS0_14default_configENS1_27scan_by_key_config_selectorIiiEEZZNS1_16scan_by_key_implILNS1_25lookback_scan_determinismE0ELb0ES3_PKiN6hipcub16HIPCUB_304000_NS21ConstantInputIteratorIilEEPiiNSB_3SumENSB_8EqualityEiEE10hipError_tPvRmT2_T3_T4_T5_mT6_T7_P12ihipStream_tbENKUlT_T0_E_clISt17integral_constantIbLb1EESW_IbLb0EEEEDaSS_ST_EUlSS_E_NS1_11comp_targetILNS1_3genE10ELNS1_11target_archE1200ELNS1_3gpuE4ELNS1_3repE0EEENS1_30default_config_static_selectorELNS0_4arch9wavefront6targetE1EEEvT1_
	.globl	_ZN7rocprim17ROCPRIM_400000_NS6detail17trampoline_kernelINS0_14default_configENS1_27scan_by_key_config_selectorIiiEEZZNS1_16scan_by_key_implILNS1_25lookback_scan_determinismE0ELb0ES3_PKiN6hipcub16HIPCUB_304000_NS21ConstantInputIteratorIilEEPiiNSB_3SumENSB_8EqualityEiEE10hipError_tPvRmT2_T3_T4_T5_mT6_T7_P12ihipStream_tbENKUlT_T0_E_clISt17integral_constantIbLb1EESW_IbLb0EEEEDaSS_ST_EUlSS_E_NS1_11comp_targetILNS1_3genE10ELNS1_11target_archE1200ELNS1_3gpuE4ELNS1_3repE0EEENS1_30default_config_static_selectorELNS0_4arch9wavefront6targetE1EEEvT1_
	.p2align	8
	.type	_ZN7rocprim17ROCPRIM_400000_NS6detail17trampoline_kernelINS0_14default_configENS1_27scan_by_key_config_selectorIiiEEZZNS1_16scan_by_key_implILNS1_25lookback_scan_determinismE0ELb0ES3_PKiN6hipcub16HIPCUB_304000_NS21ConstantInputIteratorIilEEPiiNSB_3SumENSB_8EqualityEiEE10hipError_tPvRmT2_T3_T4_T5_mT6_T7_P12ihipStream_tbENKUlT_T0_E_clISt17integral_constantIbLb1EESW_IbLb0EEEEDaSS_ST_EUlSS_E_NS1_11comp_targetILNS1_3genE10ELNS1_11target_archE1200ELNS1_3gpuE4ELNS1_3repE0EEENS1_30default_config_static_selectorELNS0_4arch9wavefront6targetE1EEEvT1_,@function
_ZN7rocprim17ROCPRIM_400000_NS6detail17trampoline_kernelINS0_14default_configENS1_27scan_by_key_config_selectorIiiEEZZNS1_16scan_by_key_implILNS1_25lookback_scan_determinismE0ELb0ES3_PKiN6hipcub16HIPCUB_304000_NS21ConstantInputIteratorIilEEPiiNSB_3SumENSB_8EqualityEiEE10hipError_tPvRmT2_T3_T4_T5_mT6_T7_P12ihipStream_tbENKUlT_T0_E_clISt17integral_constantIbLb1EESW_IbLb0EEEEDaSS_ST_EUlSS_E_NS1_11comp_targetILNS1_3genE10ELNS1_11target_archE1200ELNS1_3gpuE4ELNS1_3repE0EEENS1_30default_config_static_selectorELNS0_4arch9wavefront6targetE1EEEvT1_: ; @_ZN7rocprim17ROCPRIM_400000_NS6detail17trampoline_kernelINS0_14default_configENS1_27scan_by_key_config_selectorIiiEEZZNS1_16scan_by_key_implILNS1_25lookback_scan_determinismE0ELb0ES3_PKiN6hipcub16HIPCUB_304000_NS21ConstantInputIteratorIilEEPiiNSB_3SumENSB_8EqualityEiEE10hipError_tPvRmT2_T3_T4_T5_mT6_T7_P12ihipStream_tbENKUlT_T0_E_clISt17integral_constantIbLb1EESW_IbLb0EEEEDaSS_ST_EUlSS_E_NS1_11comp_targetILNS1_3genE10ELNS1_11target_archE1200ELNS1_3gpuE4ELNS1_3repE0EEENS1_30default_config_static_selectorELNS0_4arch9wavefront6targetE1EEEvT1_
; %bb.0:
	.section	.rodata,"a",@progbits
	.p2align	6, 0x0
	.amdhsa_kernel _ZN7rocprim17ROCPRIM_400000_NS6detail17trampoline_kernelINS0_14default_configENS1_27scan_by_key_config_selectorIiiEEZZNS1_16scan_by_key_implILNS1_25lookback_scan_determinismE0ELb0ES3_PKiN6hipcub16HIPCUB_304000_NS21ConstantInputIteratorIilEEPiiNSB_3SumENSB_8EqualityEiEE10hipError_tPvRmT2_T3_T4_T5_mT6_T7_P12ihipStream_tbENKUlT_T0_E_clISt17integral_constantIbLb1EESW_IbLb0EEEEDaSS_ST_EUlSS_E_NS1_11comp_targetILNS1_3genE10ELNS1_11target_archE1200ELNS1_3gpuE4ELNS1_3repE0EEENS1_30default_config_static_selectorELNS0_4arch9wavefront6targetE1EEEvT1_
		.amdhsa_group_segment_fixed_size 0
		.amdhsa_private_segment_fixed_size 0
		.amdhsa_kernarg_size 120
		.amdhsa_user_sgpr_count 2
		.amdhsa_user_sgpr_dispatch_ptr 0
		.amdhsa_user_sgpr_queue_ptr 0
		.amdhsa_user_sgpr_kernarg_segment_ptr 1
		.amdhsa_user_sgpr_dispatch_id 0
		.amdhsa_user_sgpr_kernarg_preload_length 0
		.amdhsa_user_sgpr_kernarg_preload_offset 0
		.amdhsa_user_sgpr_private_segment_size 0
		.amdhsa_uses_dynamic_stack 0
		.amdhsa_enable_private_segment 0
		.amdhsa_system_sgpr_workgroup_id_x 1
		.amdhsa_system_sgpr_workgroup_id_y 0
		.amdhsa_system_sgpr_workgroup_id_z 0
		.amdhsa_system_sgpr_workgroup_info 0
		.amdhsa_system_vgpr_workitem_id 0
		.amdhsa_next_free_vgpr 1
		.amdhsa_next_free_sgpr 0
		.amdhsa_accum_offset 4
		.amdhsa_reserve_vcc 0
		.amdhsa_float_round_mode_32 0
		.amdhsa_float_round_mode_16_64 0
		.amdhsa_float_denorm_mode_32 3
		.amdhsa_float_denorm_mode_16_64 3
		.amdhsa_dx10_clamp 1
		.amdhsa_ieee_mode 1
		.amdhsa_fp16_overflow 0
		.amdhsa_tg_split 0
		.amdhsa_exception_fp_ieee_invalid_op 0
		.amdhsa_exception_fp_denorm_src 0
		.amdhsa_exception_fp_ieee_div_zero 0
		.amdhsa_exception_fp_ieee_overflow 0
		.amdhsa_exception_fp_ieee_underflow 0
		.amdhsa_exception_fp_ieee_inexact 0
		.amdhsa_exception_int_div_zero 0
	.end_amdhsa_kernel
	.section	.text._ZN7rocprim17ROCPRIM_400000_NS6detail17trampoline_kernelINS0_14default_configENS1_27scan_by_key_config_selectorIiiEEZZNS1_16scan_by_key_implILNS1_25lookback_scan_determinismE0ELb0ES3_PKiN6hipcub16HIPCUB_304000_NS21ConstantInputIteratorIilEEPiiNSB_3SumENSB_8EqualityEiEE10hipError_tPvRmT2_T3_T4_T5_mT6_T7_P12ihipStream_tbENKUlT_T0_E_clISt17integral_constantIbLb1EESW_IbLb0EEEEDaSS_ST_EUlSS_E_NS1_11comp_targetILNS1_3genE10ELNS1_11target_archE1200ELNS1_3gpuE4ELNS1_3repE0EEENS1_30default_config_static_selectorELNS0_4arch9wavefront6targetE1EEEvT1_,"axG",@progbits,_ZN7rocprim17ROCPRIM_400000_NS6detail17trampoline_kernelINS0_14default_configENS1_27scan_by_key_config_selectorIiiEEZZNS1_16scan_by_key_implILNS1_25lookback_scan_determinismE0ELb0ES3_PKiN6hipcub16HIPCUB_304000_NS21ConstantInputIteratorIilEEPiiNSB_3SumENSB_8EqualityEiEE10hipError_tPvRmT2_T3_T4_T5_mT6_T7_P12ihipStream_tbENKUlT_T0_E_clISt17integral_constantIbLb1EESW_IbLb0EEEEDaSS_ST_EUlSS_E_NS1_11comp_targetILNS1_3genE10ELNS1_11target_archE1200ELNS1_3gpuE4ELNS1_3repE0EEENS1_30default_config_static_selectorELNS0_4arch9wavefront6targetE1EEEvT1_,comdat
.Lfunc_end38:
	.size	_ZN7rocprim17ROCPRIM_400000_NS6detail17trampoline_kernelINS0_14default_configENS1_27scan_by_key_config_selectorIiiEEZZNS1_16scan_by_key_implILNS1_25lookback_scan_determinismE0ELb0ES3_PKiN6hipcub16HIPCUB_304000_NS21ConstantInputIteratorIilEEPiiNSB_3SumENSB_8EqualityEiEE10hipError_tPvRmT2_T3_T4_T5_mT6_T7_P12ihipStream_tbENKUlT_T0_E_clISt17integral_constantIbLb1EESW_IbLb0EEEEDaSS_ST_EUlSS_E_NS1_11comp_targetILNS1_3genE10ELNS1_11target_archE1200ELNS1_3gpuE4ELNS1_3repE0EEENS1_30default_config_static_selectorELNS0_4arch9wavefront6targetE1EEEvT1_, .Lfunc_end38-_ZN7rocprim17ROCPRIM_400000_NS6detail17trampoline_kernelINS0_14default_configENS1_27scan_by_key_config_selectorIiiEEZZNS1_16scan_by_key_implILNS1_25lookback_scan_determinismE0ELb0ES3_PKiN6hipcub16HIPCUB_304000_NS21ConstantInputIteratorIilEEPiiNSB_3SumENSB_8EqualityEiEE10hipError_tPvRmT2_T3_T4_T5_mT6_T7_P12ihipStream_tbENKUlT_T0_E_clISt17integral_constantIbLb1EESW_IbLb0EEEEDaSS_ST_EUlSS_E_NS1_11comp_targetILNS1_3genE10ELNS1_11target_archE1200ELNS1_3gpuE4ELNS1_3repE0EEENS1_30default_config_static_selectorELNS0_4arch9wavefront6targetE1EEEvT1_
                                        ; -- End function
	.set _ZN7rocprim17ROCPRIM_400000_NS6detail17trampoline_kernelINS0_14default_configENS1_27scan_by_key_config_selectorIiiEEZZNS1_16scan_by_key_implILNS1_25lookback_scan_determinismE0ELb0ES3_PKiN6hipcub16HIPCUB_304000_NS21ConstantInputIteratorIilEEPiiNSB_3SumENSB_8EqualityEiEE10hipError_tPvRmT2_T3_T4_T5_mT6_T7_P12ihipStream_tbENKUlT_T0_E_clISt17integral_constantIbLb1EESW_IbLb0EEEEDaSS_ST_EUlSS_E_NS1_11comp_targetILNS1_3genE10ELNS1_11target_archE1200ELNS1_3gpuE4ELNS1_3repE0EEENS1_30default_config_static_selectorELNS0_4arch9wavefront6targetE1EEEvT1_.num_vgpr, 0
	.set _ZN7rocprim17ROCPRIM_400000_NS6detail17trampoline_kernelINS0_14default_configENS1_27scan_by_key_config_selectorIiiEEZZNS1_16scan_by_key_implILNS1_25lookback_scan_determinismE0ELb0ES3_PKiN6hipcub16HIPCUB_304000_NS21ConstantInputIteratorIilEEPiiNSB_3SumENSB_8EqualityEiEE10hipError_tPvRmT2_T3_T4_T5_mT6_T7_P12ihipStream_tbENKUlT_T0_E_clISt17integral_constantIbLb1EESW_IbLb0EEEEDaSS_ST_EUlSS_E_NS1_11comp_targetILNS1_3genE10ELNS1_11target_archE1200ELNS1_3gpuE4ELNS1_3repE0EEENS1_30default_config_static_selectorELNS0_4arch9wavefront6targetE1EEEvT1_.num_agpr, 0
	.set _ZN7rocprim17ROCPRIM_400000_NS6detail17trampoline_kernelINS0_14default_configENS1_27scan_by_key_config_selectorIiiEEZZNS1_16scan_by_key_implILNS1_25lookback_scan_determinismE0ELb0ES3_PKiN6hipcub16HIPCUB_304000_NS21ConstantInputIteratorIilEEPiiNSB_3SumENSB_8EqualityEiEE10hipError_tPvRmT2_T3_T4_T5_mT6_T7_P12ihipStream_tbENKUlT_T0_E_clISt17integral_constantIbLb1EESW_IbLb0EEEEDaSS_ST_EUlSS_E_NS1_11comp_targetILNS1_3genE10ELNS1_11target_archE1200ELNS1_3gpuE4ELNS1_3repE0EEENS1_30default_config_static_selectorELNS0_4arch9wavefront6targetE1EEEvT1_.numbered_sgpr, 0
	.set _ZN7rocprim17ROCPRIM_400000_NS6detail17trampoline_kernelINS0_14default_configENS1_27scan_by_key_config_selectorIiiEEZZNS1_16scan_by_key_implILNS1_25lookback_scan_determinismE0ELb0ES3_PKiN6hipcub16HIPCUB_304000_NS21ConstantInputIteratorIilEEPiiNSB_3SumENSB_8EqualityEiEE10hipError_tPvRmT2_T3_T4_T5_mT6_T7_P12ihipStream_tbENKUlT_T0_E_clISt17integral_constantIbLb1EESW_IbLb0EEEEDaSS_ST_EUlSS_E_NS1_11comp_targetILNS1_3genE10ELNS1_11target_archE1200ELNS1_3gpuE4ELNS1_3repE0EEENS1_30default_config_static_selectorELNS0_4arch9wavefront6targetE1EEEvT1_.num_named_barrier, 0
	.set _ZN7rocprim17ROCPRIM_400000_NS6detail17trampoline_kernelINS0_14default_configENS1_27scan_by_key_config_selectorIiiEEZZNS1_16scan_by_key_implILNS1_25lookback_scan_determinismE0ELb0ES3_PKiN6hipcub16HIPCUB_304000_NS21ConstantInputIteratorIilEEPiiNSB_3SumENSB_8EqualityEiEE10hipError_tPvRmT2_T3_T4_T5_mT6_T7_P12ihipStream_tbENKUlT_T0_E_clISt17integral_constantIbLb1EESW_IbLb0EEEEDaSS_ST_EUlSS_E_NS1_11comp_targetILNS1_3genE10ELNS1_11target_archE1200ELNS1_3gpuE4ELNS1_3repE0EEENS1_30default_config_static_selectorELNS0_4arch9wavefront6targetE1EEEvT1_.private_seg_size, 0
	.set _ZN7rocprim17ROCPRIM_400000_NS6detail17trampoline_kernelINS0_14default_configENS1_27scan_by_key_config_selectorIiiEEZZNS1_16scan_by_key_implILNS1_25lookback_scan_determinismE0ELb0ES3_PKiN6hipcub16HIPCUB_304000_NS21ConstantInputIteratorIilEEPiiNSB_3SumENSB_8EqualityEiEE10hipError_tPvRmT2_T3_T4_T5_mT6_T7_P12ihipStream_tbENKUlT_T0_E_clISt17integral_constantIbLb1EESW_IbLb0EEEEDaSS_ST_EUlSS_E_NS1_11comp_targetILNS1_3genE10ELNS1_11target_archE1200ELNS1_3gpuE4ELNS1_3repE0EEENS1_30default_config_static_selectorELNS0_4arch9wavefront6targetE1EEEvT1_.uses_vcc, 0
	.set _ZN7rocprim17ROCPRIM_400000_NS6detail17trampoline_kernelINS0_14default_configENS1_27scan_by_key_config_selectorIiiEEZZNS1_16scan_by_key_implILNS1_25lookback_scan_determinismE0ELb0ES3_PKiN6hipcub16HIPCUB_304000_NS21ConstantInputIteratorIilEEPiiNSB_3SumENSB_8EqualityEiEE10hipError_tPvRmT2_T3_T4_T5_mT6_T7_P12ihipStream_tbENKUlT_T0_E_clISt17integral_constantIbLb1EESW_IbLb0EEEEDaSS_ST_EUlSS_E_NS1_11comp_targetILNS1_3genE10ELNS1_11target_archE1200ELNS1_3gpuE4ELNS1_3repE0EEENS1_30default_config_static_selectorELNS0_4arch9wavefront6targetE1EEEvT1_.uses_flat_scratch, 0
	.set _ZN7rocprim17ROCPRIM_400000_NS6detail17trampoline_kernelINS0_14default_configENS1_27scan_by_key_config_selectorIiiEEZZNS1_16scan_by_key_implILNS1_25lookback_scan_determinismE0ELb0ES3_PKiN6hipcub16HIPCUB_304000_NS21ConstantInputIteratorIilEEPiiNSB_3SumENSB_8EqualityEiEE10hipError_tPvRmT2_T3_T4_T5_mT6_T7_P12ihipStream_tbENKUlT_T0_E_clISt17integral_constantIbLb1EESW_IbLb0EEEEDaSS_ST_EUlSS_E_NS1_11comp_targetILNS1_3genE10ELNS1_11target_archE1200ELNS1_3gpuE4ELNS1_3repE0EEENS1_30default_config_static_selectorELNS0_4arch9wavefront6targetE1EEEvT1_.has_dyn_sized_stack, 0
	.set _ZN7rocprim17ROCPRIM_400000_NS6detail17trampoline_kernelINS0_14default_configENS1_27scan_by_key_config_selectorIiiEEZZNS1_16scan_by_key_implILNS1_25lookback_scan_determinismE0ELb0ES3_PKiN6hipcub16HIPCUB_304000_NS21ConstantInputIteratorIilEEPiiNSB_3SumENSB_8EqualityEiEE10hipError_tPvRmT2_T3_T4_T5_mT6_T7_P12ihipStream_tbENKUlT_T0_E_clISt17integral_constantIbLb1EESW_IbLb0EEEEDaSS_ST_EUlSS_E_NS1_11comp_targetILNS1_3genE10ELNS1_11target_archE1200ELNS1_3gpuE4ELNS1_3repE0EEENS1_30default_config_static_selectorELNS0_4arch9wavefront6targetE1EEEvT1_.has_recursion, 0
	.set _ZN7rocprim17ROCPRIM_400000_NS6detail17trampoline_kernelINS0_14default_configENS1_27scan_by_key_config_selectorIiiEEZZNS1_16scan_by_key_implILNS1_25lookback_scan_determinismE0ELb0ES3_PKiN6hipcub16HIPCUB_304000_NS21ConstantInputIteratorIilEEPiiNSB_3SumENSB_8EqualityEiEE10hipError_tPvRmT2_T3_T4_T5_mT6_T7_P12ihipStream_tbENKUlT_T0_E_clISt17integral_constantIbLb1EESW_IbLb0EEEEDaSS_ST_EUlSS_E_NS1_11comp_targetILNS1_3genE10ELNS1_11target_archE1200ELNS1_3gpuE4ELNS1_3repE0EEENS1_30default_config_static_selectorELNS0_4arch9wavefront6targetE1EEEvT1_.has_indirect_call, 0
	.section	.AMDGPU.csdata,"",@progbits
; Kernel info:
; codeLenInByte = 0
; TotalNumSgprs: 6
; NumVgprs: 0
; NumAgprs: 0
; TotalNumVgprs: 0
; ScratchSize: 0
; MemoryBound: 0
; FloatMode: 240
; IeeeMode: 1
; LDSByteSize: 0 bytes/workgroup (compile time only)
; SGPRBlocks: 0
; VGPRBlocks: 0
; NumSGPRsForWavesPerEU: 6
; NumVGPRsForWavesPerEU: 1
; AccumOffset: 4
; Occupancy: 8
; WaveLimiterHint : 0
; COMPUTE_PGM_RSRC2:SCRATCH_EN: 0
; COMPUTE_PGM_RSRC2:USER_SGPR: 2
; COMPUTE_PGM_RSRC2:TRAP_HANDLER: 0
; COMPUTE_PGM_RSRC2:TGID_X_EN: 1
; COMPUTE_PGM_RSRC2:TGID_Y_EN: 0
; COMPUTE_PGM_RSRC2:TGID_Z_EN: 0
; COMPUTE_PGM_RSRC2:TIDIG_COMP_CNT: 0
; COMPUTE_PGM_RSRC3_GFX90A:ACCUM_OFFSET: 0
; COMPUTE_PGM_RSRC3_GFX90A:TG_SPLIT: 0
	.section	.text._ZN7rocprim17ROCPRIM_400000_NS6detail17trampoline_kernelINS0_14default_configENS1_27scan_by_key_config_selectorIiiEEZZNS1_16scan_by_key_implILNS1_25lookback_scan_determinismE0ELb0ES3_PKiN6hipcub16HIPCUB_304000_NS21ConstantInputIteratorIilEEPiiNSB_3SumENSB_8EqualityEiEE10hipError_tPvRmT2_T3_T4_T5_mT6_T7_P12ihipStream_tbENKUlT_T0_E_clISt17integral_constantIbLb1EESW_IbLb0EEEEDaSS_ST_EUlSS_E_NS1_11comp_targetILNS1_3genE9ELNS1_11target_archE1100ELNS1_3gpuE3ELNS1_3repE0EEENS1_30default_config_static_selectorELNS0_4arch9wavefront6targetE1EEEvT1_,"axG",@progbits,_ZN7rocprim17ROCPRIM_400000_NS6detail17trampoline_kernelINS0_14default_configENS1_27scan_by_key_config_selectorIiiEEZZNS1_16scan_by_key_implILNS1_25lookback_scan_determinismE0ELb0ES3_PKiN6hipcub16HIPCUB_304000_NS21ConstantInputIteratorIilEEPiiNSB_3SumENSB_8EqualityEiEE10hipError_tPvRmT2_T3_T4_T5_mT6_T7_P12ihipStream_tbENKUlT_T0_E_clISt17integral_constantIbLb1EESW_IbLb0EEEEDaSS_ST_EUlSS_E_NS1_11comp_targetILNS1_3genE9ELNS1_11target_archE1100ELNS1_3gpuE3ELNS1_3repE0EEENS1_30default_config_static_selectorELNS0_4arch9wavefront6targetE1EEEvT1_,comdat
	.protected	_ZN7rocprim17ROCPRIM_400000_NS6detail17trampoline_kernelINS0_14default_configENS1_27scan_by_key_config_selectorIiiEEZZNS1_16scan_by_key_implILNS1_25lookback_scan_determinismE0ELb0ES3_PKiN6hipcub16HIPCUB_304000_NS21ConstantInputIteratorIilEEPiiNSB_3SumENSB_8EqualityEiEE10hipError_tPvRmT2_T3_T4_T5_mT6_T7_P12ihipStream_tbENKUlT_T0_E_clISt17integral_constantIbLb1EESW_IbLb0EEEEDaSS_ST_EUlSS_E_NS1_11comp_targetILNS1_3genE9ELNS1_11target_archE1100ELNS1_3gpuE3ELNS1_3repE0EEENS1_30default_config_static_selectorELNS0_4arch9wavefront6targetE1EEEvT1_ ; -- Begin function _ZN7rocprim17ROCPRIM_400000_NS6detail17trampoline_kernelINS0_14default_configENS1_27scan_by_key_config_selectorIiiEEZZNS1_16scan_by_key_implILNS1_25lookback_scan_determinismE0ELb0ES3_PKiN6hipcub16HIPCUB_304000_NS21ConstantInputIteratorIilEEPiiNSB_3SumENSB_8EqualityEiEE10hipError_tPvRmT2_T3_T4_T5_mT6_T7_P12ihipStream_tbENKUlT_T0_E_clISt17integral_constantIbLb1EESW_IbLb0EEEEDaSS_ST_EUlSS_E_NS1_11comp_targetILNS1_3genE9ELNS1_11target_archE1100ELNS1_3gpuE3ELNS1_3repE0EEENS1_30default_config_static_selectorELNS0_4arch9wavefront6targetE1EEEvT1_
	.globl	_ZN7rocprim17ROCPRIM_400000_NS6detail17trampoline_kernelINS0_14default_configENS1_27scan_by_key_config_selectorIiiEEZZNS1_16scan_by_key_implILNS1_25lookback_scan_determinismE0ELb0ES3_PKiN6hipcub16HIPCUB_304000_NS21ConstantInputIteratorIilEEPiiNSB_3SumENSB_8EqualityEiEE10hipError_tPvRmT2_T3_T4_T5_mT6_T7_P12ihipStream_tbENKUlT_T0_E_clISt17integral_constantIbLb1EESW_IbLb0EEEEDaSS_ST_EUlSS_E_NS1_11comp_targetILNS1_3genE9ELNS1_11target_archE1100ELNS1_3gpuE3ELNS1_3repE0EEENS1_30default_config_static_selectorELNS0_4arch9wavefront6targetE1EEEvT1_
	.p2align	8
	.type	_ZN7rocprim17ROCPRIM_400000_NS6detail17trampoline_kernelINS0_14default_configENS1_27scan_by_key_config_selectorIiiEEZZNS1_16scan_by_key_implILNS1_25lookback_scan_determinismE0ELb0ES3_PKiN6hipcub16HIPCUB_304000_NS21ConstantInputIteratorIilEEPiiNSB_3SumENSB_8EqualityEiEE10hipError_tPvRmT2_T3_T4_T5_mT6_T7_P12ihipStream_tbENKUlT_T0_E_clISt17integral_constantIbLb1EESW_IbLb0EEEEDaSS_ST_EUlSS_E_NS1_11comp_targetILNS1_3genE9ELNS1_11target_archE1100ELNS1_3gpuE3ELNS1_3repE0EEENS1_30default_config_static_selectorELNS0_4arch9wavefront6targetE1EEEvT1_,@function
_ZN7rocprim17ROCPRIM_400000_NS6detail17trampoline_kernelINS0_14default_configENS1_27scan_by_key_config_selectorIiiEEZZNS1_16scan_by_key_implILNS1_25lookback_scan_determinismE0ELb0ES3_PKiN6hipcub16HIPCUB_304000_NS21ConstantInputIteratorIilEEPiiNSB_3SumENSB_8EqualityEiEE10hipError_tPvRmT2_T3_T4_T5_mT6_T7_P12ihipStream_tbENKUlT_T0_E_clISt17integral_constantIbLb1EESW_IbLb0EEEEDaSS_ST_EUlSS_E_NS1_11comp_targetILNS1_3genE9ELNS1_11target_archE1100ELNS1_3gpuE3ELNS1_3repE0EEENS1_30default_config_static_selectorELNS0_4arch9wavefront6targetE1EEEvT1_: ; @_ZN7rocprim17ROCPRIM_400000_NS6detail17trampoline_kernelINS0_14default_configENS1_27scan_by_key_config_selectorIiiEEZZNS1_16scan_by_key_implILNS1_25lookback_scan_determinismE0ELb0ES3_PKiN6hipcub16HIPCUB_304000_NS21ConstantInputIteratorIilEEPiiNSB_3SumENSB_8EqualityEiEE10hipError_tPvRmT2_T3_T4_T5_mT6_T7_P12ihipStream_tbENKUlT_T0_E_clISt17integral_constantIbLb1EESW_IbLb0EEEEDaSS_ST_EUlSS_E_NS1_11comp_targetILNS1_3genE9ELNS1_11target_archE1100ELNS1_3gpuE3ELNS1_3repE0EEENS1_30default_config_static_selectorELNS0_4arch9wavefront6targetE1EEEvT1_
; %bb.0:
	.section	.rodata,"a",@progbits
	.p2align	6, 0x0
	.amdhsa_kernel _ZN7rocprim17ROCPRIM_400000_NS6detail17trampoline_kernelINS0_14default_configENS1_27scan_by_key_config_selectorIiiEEZZNS1_16scan_by_key_implILNS1_25lookback_scan_determinismE0ELb0ES3_PKiN6hipcub16HIPCUB_304000_NS21ConstantInputIteratorIilEEPiiNSB_3SumENSB_8EqualityEiEE10hipError_tPvRmT2_T3_T4_T5_mT6_T7_P12ihipStream_tbENKUlT_T0_E_clISt17integral_constantIbLb1EESW_IbLb0EEEEDaSS_ST_EUlSS_E_NS1_11comp_targetILNS1_3genE9ELNS1_11target_archE1100ELNS1_3gpuE3ELNS1_3repE0EEENS1_30default_config_static_selectorELNS0_4arch9wavefront6targetE1EEEvT1_
		.amdhsa_group_segment_fixed_size 0
		.amdhsa_private_segment_fixed_size 0
		.amdhsa_kernarg_size 120
		.amdhsa_user_sgpr_count 2
		.amdhsa_user_sgpr_dispatch_ptr 0
		.amdhsa_user_sgpr_queue_ptr 0
		.amdhsa_user_sgpr_kernarg_segment_ptr 1
		.amdhsa_user_sgpr_dispatch_id 0
		.amdhsa_user_sgpr_kernarg_preload_length 0
		.amdhsa_user_sgpr_kernarg_preload_offset 0
		.amdhsa_user_sgpr_private_segment_size 0
		.amdhsa_uses_dynamic_stack 0
		.amdhsa_enable_private_segment 0
		.amdhsa_system_sgpr_workgroup_id_x 1
		.amdhsa_system_sgpr_workgroup_id_y 0
		.amdhsa_system_sgpr_workgroup_id_z 0
		.amdhsa_system_sgpr_workgroup_info 0
		.amdhsa_system_vgpr_workitem_id 0
		.amdhsa_next_free_vgpr 1
		.amdhsa_next_free_sgpr 0
		.amdhsa_accum_offset 4
		.amdhsa_reserve_vcc 0
		.amdhsa_float_round_mode_32 0
		.amdhsa_float_round_mode_16_64 0
		.amdhsa_float_denorm_mode_32 3
		.amdhsa_float_denorm_mode_16_64 3
		.amdhsa_dx10_clamp 1
		.amdhsa_ieee_mode 1
		.amdhsa_fp16_overflow 0
		.amdhsa_tg_split 0
		.amdhsa_exception_fp_ieee_invalid_op 0
		.amdhsa_exception_fp_denorm_src 0
		.amdhsa_exception_fp_ieee_div_zero 0
		.amdhsa_exception_fp_ieee_overflow 0
		.amdhsa_exception_fp_ieee_underflow 0
		.amdhsa_exception_fp_ieee_inexact 0
		.amdhsa_exception_int_div_zero 0
	.end_amdhsa_kernel
	.section	.text._ZN7rocprim17ROCPRIM_400000_NS6detail17trampoline_kernelINS0_14default_configENS1_27scan_by_key_config_selectorIiiEEZZNS1_16scan_by_key_implILNS1_25lookback_scan_determinismE0ELb0ES3_PKiN6hipcub16HIPCUB_304000_NS21ConstantInputIteratorIilEEPiiNSB_3SumENSB_8EqualityEiEE10hipError_tPvRmT2_T3_T4_T5_mT6_T7_P12ihipStream_tbENKUlT_T0_E_clISt17integral_constantIbLb1EESW_IbLb0EEEEDaSS_ST_EUlSS_E_NS1_11comp_targetILNS1_3genE9ELNS1_11target_archE1100ELNS1_3gpuE3ELNS1_3repE0EEENS1_30default_config_static_selectorELNS0_4arch9wavefront6targetE1EEEvT1_,"axG",@progbits,_ZN7rocprim17ROCPRIM_400000_NS6detail17trampoline_kernelINS0_14default_configENS1_27scan_by_key_config_selectorIiiEEZZNS1_16scan_by_key_implILNS1_25lookback_scan_determinismE0ELb0ES3_PKiN6hipcub16HIPCUB_304000_NS21ConstantInputIteratorIilEEPiiNSB_3SumENSB_8EqualityEiEE10hipError_tPvRmT2_T3_T4_T5_mT6_T7_P12ihipStream_tbENKUlT_T0_E_clISt17integral_constantIbLb1EESW_IbLb0EEEEDaSS_ST_EUlSS_E_NS1_11comp_targetILNS1_3genE9ELNS1_11target_archE1100ELNS1_3gpuE3ELNS1_3repE0EEENS1_30default_config_static_selectorELNS0_4arch9wavefront6targetE1EEEvT1_,comdat
.Lfunc_end39:
	.size	_ZN7rocprim17ROCPRIM_400000_NS6detail17trampoline_kernelINS0_14default_configENS1_27scan_by_key_config_selectorIiiEEZZNS1_16scan_by_key_implILNS1_25lookback_scan_determinismE0ELb0ES3_PKiN6hipcub16HIPCUB_304000_NS21ConstantInputIteratorIilEEPiiNSB_3SumENSB_8EqualityEiEE10hipError_tPvRmT2_T3_T4_T5_mT6_T7_P12ihipStream_tbENKUlT_T0_E_clISt17integral_constantIbLb1EESW_IbLb0EEEEDaSS_ST_EUlSS_E_NS1_11comp_targetILNS1_3genE9ELNS1_11target_archE1100ELNS1_3gpuE3ELNS1_3repE0EEENS1_30default_config_static_selectorELNS0_4arch9wavefront6targetE1EEEvT1_, .Lfunc_end39-_ZN7rocprim17ROCPRIM_400000_NS6detail17trampoline_kernelINS0_14default_configENS1_27scan_by_key_config_selectorIiiEEZZNS1_16scan_by_key_implILNS1_25lookback_scan_determinismE0ELb0ES3_PKiN6hipcub16HIPCUB_304000_NS21ConstantInputIteratorIilEEPiiNSB_3SumENSB_8EqualityEiEE10hipError_tPvRmT2_T3_T4_T5_mT6_T7_P12ihipStream_tbENKUlT_T0_E_clISt17integral_constantIbLb1EESW_IbLb0EEEEDaSS_ST_EUlSS_E_NS1_11comp_targetILNS1_3genE9ELNS1_11target_archE1100ELNS1_3gpuE3ELNS1_3repE0EEENS1_30default_config_static_selectorELNS0_4arch9wavefront6targetE1EEEvT1_
                                        ; -- End function
	.set _ZN7rocprim17ROCPRIM_400000_NS6detail17trampoline_kernelINS0_14default_configENS1_27scan_by_key_config_selectorIiiEEZZNS1_16scan_by_key_implILNS1_25lookback_scan_determinismE0ELb0ES3_PKiN6hipcub16HIPCUB_304000_NS21ConstantInputIteratorIilEEPiiNSB_3SumENSB_8EqualityEiEE10hipError_tPvRmT2_T3_T4_T5_mT6_T7_P12ihipStream_tbENKUlT_T0_E_clISt17integral_constantIbLb1EESW_IbLb0EEEEDaSS_ST_EUlSS_E_NS1_11comp_targetILNS1_3genE9ELNS1_11target_archE1100ELNS1_3gpuE3ELNS1_3repE0EEENS1_30default_config_static_selectorELNS0_4arch9wavefront6targetE1EEEvT1_.num_vgpr, 0
	.set _ZN7rocprim17ROCPRIM_400000_NS6detail17trampoline_kernelINS0_14default_configENS1_27scan_by_key_config_selectorIiiEEZZNS1_16scan_by_key_implILNS1_25lookback_scan_determinismE0ELb0ES3_PKiN6hipcub16HIPCUB_304000_NS21ConstantInputIteratorIilEEPiiNSB_3SumENSB_8EqualityEiEE10hipError_tPvRmT2_T3_T4_T5_mT6_T7_P12ihipStream_tbENKUlT_T0_E_clISt17integral_constantIbLb1EESW_IbLb0EEEEDaSS_ST_EUlSS_E_NS1_11comp_targetILNS1_3genE9ELNS1_11target_archE1100ELNS1_3gpuE3ELNS1_3repE0EEENS1_30default_config_static_selectorELNS0_4arch9wavefront6targetE1EEEvT1_.num_agpr, 0
	.set _ZN7rocprim17ROCPRIM_400000_NS6detail17trampoline_kernelINS0_14default_configENS1_27scan_by_key_config_selectorIiiEEZZNS1_16scan_by_key_implILNS1_25lookback_scan_determinismE0ELb0ES3_PKiN6hipcub16HIPCUB_304000_NS21ConstantInputIteratorIilEEPiiNSB_3SumENSB_8EqualityEiEE10hipError_tPvRmT2_T3_T4_T5_mT6_T7_P12ihipStream_tbENKUlT_T0_E_clISt17integral_constantIbLb1EESW_IbLb0EEEEDaSS_ST_EUlSS_E_NS1_11comp_targetILNS1_3genE9ELNS1_11target_archE1100ELNS1_3gpuE3ELNS1_3repE0EEENS1_30default_config_static_selectorELNS0_4arch9wavefront6targetE1EEEvT1_.numbered_sgpr, 0
	.set _ZN7rocprim17ROCPRIM_400000_NS6detail17trampoline_kernelINS0_14default_configENS1_27scan_by_key_config_selectorIiiEEZZNS1_16scan_by_key_implILNS1_25lookback_scan_determinismE0ELb0ES3_PKiN6hipcub16HIPCUB_304000_NS21ConstantInputIteratorIilEEPiiNSB_3SumENSB_8EqualityEiEE10hipError_tPvRmT2_T3_T4_T5_mT6_T7_P12ihipStream_tbENKUlT_T0_E_clISt17integral_constantIbLb1EESW_IbLb0EEEEDaSS_ST_EUlSS_E_NS1_11comp_targetILNS1_3genE9ELNS1_11target_archE1100ELNS1_3gpuE3ELNS1_3repE0EEENS1_30default_config_static_selectorELNS0_4arch9wavefront6targetE1EEEvT1_.num_named_barrier, 0
	.set _ZN7rocprim17ROCPRIM_400000_NS6detail17trampoline_kernelINS0_14default_configENS1_27scan_by_key_config_selectorIiiEEZZNS1_16scan_by_key_implILNS1_25lookback_scan_determinismE0ELb0ES3_PKiN6hipcub16HIPCUB_304000_NS21ConstantInputIteratorIilEEPiiNSB_3SumENSB_8EqualityEiEE10hipError_tPvRmT2_T3_T4_T5_mT6_T7_P12ihipStream_tbENKUlT_T0_E_clISt17integral_constantIbLb1EESW_IbLb0EEEEDaSS_ST_EUlSS_E_NS1_11comp_targetILNS1_3genE9ELNS1_11target_archE1100ELNS1_3gpuE3ELNS1_3repE0EEENS1_30default_config_static_selectorELNS0_4arch9wavefront6targetE1EEEvT1_.private_seg_size, 0
	.set _ZN7rocprim17ROCPRIM_400000_NS6detail17trampoline_kernelINS0_14default_configENS1_27scan_by_key_config_selectorIiiEEZZNS1_16scan_by_key_implILNS1_25lookback_scan_determinismE0ELb0ES3_PKiN6hipcub16HIPCUB_304000_NS21ConstantInputIteratorIilEEPiiNSB_3SumENSB_8EqualityEiEE10hipError_tPvRmT2_T3_T4_T5_mT6_T7_P12ihipStream_tbENKUlT_T0_E_clISt17integral_constantIbLb1EESW_IbLb0EEEEDaSS_ST_EUlSS_E_NS1_11comp_targetILNS1_3genE9ELNS1_11target_archE1100ELNS1_3gpuE3ELNS1_3repE0EEENS1_30default_config_static_selectorELNS0_4arch9wavefront6targetE1EEEvT1_.uses_vcc, 0
	.set _ZN7rocprim17ROCPRIM_400000_NS6detail17trampoline_kernelINS0_14default_configENS1_27scan_by_key_config_selectorIiiEEZZNS1_16scan_by_key_implILNS1_25lookback_scan_determinismE0ELb0ES3_PKiN6hipcub16HIPCUB_304000_NS21ConstantInputIteratorIilEEPiiNSB_3SumENSB_8EqualityEiEE10hipError_tPvRmT2_T3_T4_T5_mT6_T7_P12ihipStream_tbENKUlT_T0_E_clISt17integral_constantIbLb1EESW_IbLb0EEEEDaSS_ST_EUlSS_E_NS1_11comp_targetILNS1_3genE9ELNS1_11target_archE1100ELNS1_3gpuE3ELNS1_3repE0EEENS1_30default_config_static_selectorELNS0_4arch9wavefront6targetE1EEEvT1_.uses_flat_scratch, 0
	.set _ZN7rocprim17ROCPRIM_400000_NS6detail17trampoline_kernelINS0_14default_configENS1_27scan_by_key_config_selectorIiiEEZZNS1_16scan_by_key_implILNS1_25lookback_scan_determinismE0ELb0ES3_PKiN6hipcub16HIPCUB_304000_NS21ConstantInputIteratorIilEEPiiNSB_3SumENSB_8EqualityEiEE10hipError_tPvRmT2_T3_T4_T5_mT6_T7_P12ihipStream_tbENKUlT_T0_E_clISt17integral_constantIbLb1EESW_IbLb0EEEEDaSS_ST_EUlSS_E_NS1_11comp_targetILNS1_3genE9ELNS1_11target_archE1100ELNS1_3gpuE3ELNS1_3repE0EEENS1_30default_config_static_selectorELNS0_4arch9wavefront6targetE1EEEvT1_.has_dyn_sized_stack, 0
	.set _ZN7rocprim17ROCPRIM_400000_NS6detail17trampoline_kernelINS0_14default_configENS1_27scan_by_key_config_selectorIiiEEZZNS1_16scan_by_key_implILNS1_25lookback_scan_determinismE0ELb0ES3_PKiN6hipcub16HIPCUB_304000_NS21ConstantInputIteratorIilEEPiiNSB_3SumENSB_8EqualityEiEE10hipError_tPvRmT2_T3_T4_T5_mT6_T7_P12ihipStream_tbENKUlT_T0_E_clISt17integral_constantIbLb1EESW_IbLb0EEEEDaSS_ST_EUlSS_E_NS1_11comp_targetILNS1_3genE9ELNS1_11target_archE1100ELNS1_3gpuE3ELNS1_3repE0EEENS1_30default_config_static_selectorELNS0_4arch9wavefront6targetE1EEEvT1_.has_recursion, 0
	.set _ZN7rocprim17ROCPRIM_400000_NS6detail17trampoline_kernelINS0_14default_configENS1_27scan_by_key_config_selectorIiiEEZZNS1_16scan_by_key_implILNS1_25lookback_scan_determinismE0ELb0ES3_PKiN6hipcub16HIPCUB_304000_NS21ConstantInputIteratorIilEEPiiNSB_3SumENSB_8EqualityEiEE10hipError_tPvRmT2_T3_T4_T5_mT6_T7_P12ihipStream_tbENKUlT_T0_E_clISt17integral_constantIbLb1EESW_IbLb0EEEEDaSS_ST_EUlSS_E_NS1_11comp_targetILNS1_3genE9ELNS1_11target_archE1100ELNS1_3gpuE3ELNS1_3repE0EEENS1_30default_config_static_selectorELNS0_4arch9wavefront6targetE1EEEvT1_.has_indirect_call, 0
	.section	.AMDGPU.csdata,"",@progbits
; Kernel info:
; codeLenInByte = 0
; TotalNumSgprs: 6
; NumVgprs: 0
; NumAgprs: 0
; TotalNumVgprs: 0
; ScratchSize: 0
; MemoryBound: 0
; FloatMode: 240
; IeeeMode: 1
; LDSByteSize: 0 bytes/workgroup (compile time only)
; SGPRBlocks: 0
; VGPRBlocks: 0
; NumSGPRsForWavesPerEU: 6
; NumVGPRsForWavesPerEU: 1
; AccumOffset: 4
; Occupancy: 8
; WaveLimiterHint : 0
; COMPUTE_PGM_RSRC2:SCRATCH_EN: 0
; COMPUTE_PGM_RSRC2:USER_SGPR: 2
; COMPUTE_PGM_RSRC2:TRAP_HANDLER: 0
; COMPUTE_PGM_RSRC2:TGID_X_EN: 1
; COMPUTE_PGM_RSRC2:TGID_Y_EN: 0
; COMPUTE_PGM_RSRC2:TGID_Z_EN: 0
; COMPUTE_PGM_RSRC2:TIDIG_COMP_CNT: 0
; COMPUTE_PGM_RSRC3_GFX90A:ACCUM_OFFSET: 0
; COMPUTE_PGM_RSRC3_GFX90A:TG_SPLIT: 0
	.section	.text._ZN7rocprim17ROCPRIM_400000_NS6detail17trampoline_kernelINS0_14default_configENS1_27scan_by_key_config_selectorIiiEEZZNS1_16scan_by_key_implILNS1_25lookback_scan_determinismE0ELb0ES3_PKiN6hipcub16HIPCUB_304000_NS21ConstantInputIteratorIilEEPiiNSB_3SumENSB_8EqualityEiEE10hipError_tPvRmT2_T3_T4_T5_mT6_T7_P12ihipStream_tbENKUlT_T0_E_clISt17integral_constantIbLb1EESW_IbLb0EEEEDaSS_ST_EUlSS_E_NS1_11comp_targetILNS1_3genE8ELNS1_11target_archE1030ELNS1_3gpuE2ELNS1_3repE0EEENS1_30default_config_static_selectorELNS0_4arch9wavefront6targetE1EEEvT1_,"axG",@progbits,_ZN7rocprim17ROCPRIM_400000_NS6detail17trampoline_kernelINS0_14default_configENS1_27scan_by_key_config_selectorIiiEEZZNS1_16scan_by_key_implILNS1_25lookback_scan_determinismE0ELb0ES3_PKiN6hipcub16HIPCUB_304000_NS21ConstantInputIteratorIilEEPiiNSB_3SumENSB_8EqualityEiEE10hipError_tPvRmT2_T3_T4_T5_mT6_T7_P12ihipStream_tbENKUlT_T0_E_clISt17integral_constantIbLb1EESW_IbLb0EEEEDaSS_ST_EUlSS_E_NS1_11comp_targetILNS1_3genE8ELNS1_11target_archE1030ELNS1_3gpuE2ELNS1_3repE0EEENS1_30default_config_static_selectorELNS0_4arch9wavefront6targetE1EEEvT1_,comdat
	.protected	_ZN7rocprim17ROCPRIM_400000_NS6detail17trampoline_kernelINS0_14default_configENS1_27scan_by_key_config_selectorIiiEEZZNS1_16scan_by_key_implILNS1_25lookback_scan_determinismE0ELb0ES3_PKiN6hipcub16HIPCUB_304000_NS21ConstantInputIteratorIilEEPiiNSB_3SumENSB_8EqualityEiEE10hipError_tPvRmT2_T3_T4_T5_mT6_T7_P12ihipStream_tbENKUlT_T0_E_clISt17integral_constantIbLb1EESW_IbLb0EEEEDaSS_ST_EUlSS_E_NS1_11comp_targetILNS1_3genE8ELNS1_11target_archE1030ELNS1_3gpuE2ELNS1_3repE0EEENS1_30default_config_static_selectorELNS0_4arch9wavefront6targetE1EEEvT1_ ; -- Begin function _ZN7rocprim17ROCPRIM_400000_NS6detail17trampoline_kernelINS0_14default_configENS1_27scan_by_key_config_selectorIiiEEZZNS1_16scan_by_key_implILNS1_25lookback_scan_determinismE0ELb0ES3_PKiN6hipcub16HIPCUB_304000_NS21ConstantInputIteratorIilEEPiiNSB_3SumENSB_8EqualityEiEE10hipError_tPvRmT2_T3_T4_T5_mT6_T7_P12ihipStream_tbENKUlT_T0_E_clISt17integral_constantIbLb1EESW_IbLb0EEEEDaSS_ST_EUlSS_E_NS1_11comp_targetILNS1_3genE8ELNS1_11target_archE1030ELNS1_3gpuE2ELNS1_3repE0EEENS1_30default_config_static_selectorELNS0_4arch9wavefront6targetE1EEEvT1_
	.globl	_ZN7rocprim17ROCPRIM_400000_NS6detail17trampoline_kernelINS0_14default_configENS1_27scan_by_key_config_selectorIiiEEZZNS1_16scan_by_key_implILNS1_25lookback_scan_determinismE0ELb0ES3_PKiN6hipcub16HIPCUB_304000_NS21ConstantInputIteratorIilEEPiiNSB_3SumENSB_8EqualityEiEE10hipError_tPvRmT2_T3_T4_T5_mT6_T7_P12ihipStream_tbENKUlT_T0_E_clISt17integral_constantIbLb1EESW_IbLb0EEEEDaSS_ST_EUlSS_E_NS1_11comp_targetILNS1_3genE8ELNS1_11target_archE1030ELNS1_3gpuE2ELNS1_3repE0EEENS1_30default_config_static_selectorELNS0_4arch9wavefront6targetE1EEEvT1_
	.p2align	8
	.type	_ZN7rocprim17ROCPRIM_400000_NS6detail17trampoline_kernelINS0_14default_configENS1_27scan_by_key_config_selectorIiiEEZZNS1_16scan_by_key_implILNS1_25lookback_scan_determinismE0ELb0ES3_PKiN6hipcub16HIPCUB_304000_NS21ConstantInputIteratorIilEEPiiNSB_3SumENSB_8EqualityEiEE10hipError_tPvRmT2_T3_T4_T5_mT6_T7_P12ihipStream_tbENKUlT_T0_E_clISt17integral_constantIbLb1EESW_IbLb0EEEEDaSS_ST_EUlSS_E_NS1_11comp_targetILNS1_3genE8ELNS1_11target_archE1030ELNS1_3gpuE2ELNS1_3repE0EEENS1_30default_config_static_selectorELNS0_4arch9wavefront6targetE1EEEvT1_,@function
_ZN7rocprim17ROCPRIM_400000_NS6detail17trampoline_kernelINS0_14default_configENS1_27scan_by_key_config_selectorIiiEEZZNS1_16scan_by_key_implILNS1_25lookback_scan_determinismE0ELb0ES3_PKiN6hipcub16HIPCUB_304000_NS21ConstantInputIteratorIilEEPiiNSB_3SumENSB_8EqualityEiEE10hipError_tPvRmT2_T3_T4_T5_mT6_T7_P12ihipStream_tbENKUlT_T0_E_clISt17integral_constantIbLb1EESW_IbLb0EEEEDaSS_ST_EUlSS_E_NS1_11comp_targetILNS1_3genE8ELNS1_11target_archE1030ELNS1_3gpuE2ELNS1_3repE0EEENS1_30default_config_static_selectorELNS0_4arch9wavefront6targetE1EEEvT1_: ; @_ZN7rocprim17ROCPRIM_400000_NS6detail17trampoline_kernelINS0_14default_configENS1_27scan_by_key_config_selectorIiiEEZZNS1_16scan_by_key_implILNS1_25lookback_scan_determinismE0ELb0ES3_PKiN6hipcub16HIPCUB_304000_NS21ConstantInputIteratorIilEEPiiNSB_3SumENSB_8EqualityEiEE10hipError_tPvRmT2_T3_T4_T5_mT6_T7_P12ihipStream_tbENKUlT_T0_E_clISt17integral_constantIbLb1EESW_IbLb0EEEEDaSS_ST_EUlSS_E_NS1_11comp_targetILNS1_3genE8ELNS1_11target_archE1030ELNS1_3gpuE2ELNS1_3repE0EEENS1_30default_config_static_selectorELNS0_4arch9wavefront6targetE1EEEvT1_
; %bb.0:
	.section	.rodata,"a",@progbits
	.p2align	6, 0x0
	.amdhsa_kernel _ZN7rocprim17ROCPRIM_400000_NS6detail17trampoline_kernelINS0_14default_configENS1_27scan_by_key_config_selectorIiiEEZZNS1_16scan_by_key_implILNS1_25lookback_scan_determinismE0ELb0ES3_PKiN6hipcub16HIPCUB_304000_NS21ConstantInputIteratorIilEEPiiNSB_3SumENSB_8EqualityEiEE10hipError_tPvRmT2_T3_T4_T5_mT6_T7_P12ihipStream_tbENKUlT_T0_E_clISt17integral_constantIbLb1EESW_IbLb0EEEEDaSS_ST_EUlSS_E_NS1_11comp_targetILNS1_3genE8ELNS1_11target_archE1030ELNS1_3gpuE2ELNS1_3repE0EEENS1_30default_config_static_selectorELNS0_4arch9wavefront6targetE1EEEvT1_
		.amdhsa_group_segment_fixed_size 0
		.amdhsa_private_segment_fixed_size 0
		.amdhsa_kernarg_size 120
		.amdhsa_user_sgpr_count 2
		.amdhsa_user_sgpr_dispatch_ptr 0
		.amdhsa_user_sgpr_queue_ptr 0
		.amdhsa_user_sgpr_kernarg_segment_ptr 1
		.amdhsa_user_sgpr_dispatch_id 0
		.amdhsa_user_sgpr_kernarg_preload_length 0
		.amdhsa_user_sgpr_kernarg_preload_offset 0
		.amdhsa_user_sgpr_private_segment_size 0
		.amdhsa_uses_dynamic_stack 0
		.amdhsa_enable_private_segment 0
		.amdhsa_system_sgpr_workgroup_id_x 1
		.amdhsa_system_sgpr_workgroup_id_y 0
		.amdhsa_system_sgpr_workgroup_id_z 0
		.amdhsa_system_sgpr_workgroup_info 0
		.amdhsa_system_vgpr_workitem_id 0
		.amdhsa_next_free_vgpr 1
		.amdhsa_next_free_sgpr 0
		.amdhsa_accum_offset 4
		.amdhsa_reserve_vcc 0
		.amdhsa_float_round_mode_32 0
		.amdhsa_float_round_mode_16_64 0
		.amdhsa_float_denorm_mode_32 3
		.amdhsa_float_denorm_mode_16_64 3
		.amdhsa_dx10_clamp 1
		.amdhsa_ieee_mode 1
		.amdhsa_fp16_overflow 0
		.amdhsa_tg_split 0
		.amdhsa_exception_fp_ieee_invalid_op 0
		.amdhsa_exception_fp_denorm_src 0
		.amdhsa_exception_fp_ieee_div_zero 0
		.amdhsa_exception_fp_ieee_overflow 0
		.amdhsa_exception_fp_ieee_underflow 0
		.amdhsa_exception_fp_ieee_inexact 0
		.amdhsa_exception_int_div_zero 0
	.end_amdhsa_kernel
	.section	.text._ZN7rocprim17ROCPRIM_400000_NS6detail17trampoline_kernelINS0_14default_configENS1_27scan_by_key_config_selectorIiiEEZZNS1_16scan_by_key_implILNS1_25lookback_scan_determinismE0ELb0ES3_PKiN6hipcub16HIPCUB_304000_NS21ConstantInputIteratorIilEEPiiNSB_3SumENSB_8EqualityEiEE10hipError_tPvRmT2_T3_T4_T5_mT6_T7_P12ihipStream_tbENKUlT_T0_E_clISt17integral_constantIbLb1EESW_IbLb0EEEEDaSS_ST_EUlSS_E_NS1_11comp_targetILNS1_3genE8ELNS1_11target_archE1030ELNS1_3gpuE2ELNS1_3repE0EEENS1_30default_config_static_selectorELNS0_4arch9wavefront6targetE1EEEvT1_,"axG",@progbits,_ZN7rocprim17ROCPRIM_400000_NS6detail17trampoline_kernelINS0_14default_configENS1_27scan_by_key_config_selectorIiiEEZZNS1_16scan_by_key_implILNS1_25lookback_scan_determinismE0ELb0ES3_PKiN6hipcub16HIPCUB_304000_NS21ConstantInputIteratorIilEEPiiNSB_3SumENSB_8EqualityEiEE10hipError_tPvRmT2_T3_T4_T5_mT6_T7_P12ihipStream_tbENKUlT_T0_E_clISt17integral_constantIbLb1EESW_IbLb0EEEEDaSS_ST_EUlSS_E_NS1_11comp_targetILNS1_3genE8ELNS1_11target_archE1030ELNS1_3gpuE2ELNS1_3repE0EEENS1_30default_config_static_selectorELNS0_4arch9wavefront6targetE1EEEvT1_,comdat
.Lfunc_end40:
	.size	_ZN7rocprim17ROCPRIM_400000_NS6detail17trampoline_kernelINS0_14default_configENS1_27scan_by_key_config_selectorIiiEEZZNS1_16scan_by_key_implILNS1_25lookback_scan_determinismE0ELb0ES3_PKiN6hipcub16HIPCUB_304000_NS21ConstantInputIteratorIilEEPiiNSB_3SumENSB_8EqualityEiEE10hipError_tPvRmT2_T3_T4_T5_mT6_T7_P12ihipStream_tbENKUlT_T0_E_clISt17integral_constantIbLb1EESW_IbLb0EEEEDaSS_ST_EUlSS_E_NS1_11comp_targetILNS1_3genE8ELNS1_11target_archE1030ELNS1_3gpuE2ELNS1_3repE0EEENS1_30default_config_static_selectorELNS0_4arch9wavefront6targetE1EEEvT1_, .Lfunc_end40-_ZN7rocprim17ROCPRIM_400000_NS6detail17trampoline_kernelINS0_14default_configENS1_27scan_by_key_config_selectorIiiEEZZNS1_16scan_by_key_implILNS1_25lookback_scan_determinismE0ELb0ES3_PKiN6hipcub16HIPCUB_304000_NS21ConstantInputIteratorIilEEPiiNSB_3SumENSB_8EqualityEiEE10hipError_tPvRmT2_T3_T4_T5_mT6_T7_P12ihipStream_tbENKUlT_T0_E_clISt17integral_constantIbLb1EESW_IbLb0EEEEDaSS_ST_EUlSS_E_NS1_11comp_targetILNS1_3genE8ELNS1_11target_archE1030ELNS1_3gpuE2ELNS1_3repE0EEENS1_30default_config_static_selectorELNS0_4arch9wavefront6targetE1EEEvT1_
                                        ; -- End function
	.set _ZN7rocprim17ROCPRIM_400000_NS6detail17trampoline_kernelINS0_14default_configENS1_27scan_by_key_config_selectorIiiEEZZNS1_16scan_by_key_implILNS1_25lookback_scan_determinismE0ELb0ES3_PKiN6hipcub16HIPCUB_304000_NS21ConstantInputIteratorIilEEPiiNSB_3SumENSB_8EqualityEiEE10hipError_tPvRmT2_T3_T4_T5_mT6_T7_P12ihipStream_tbENKUlT_T0_E_clISt17integral_constantIbLb1EESW_IbLb0EEEEDaSS_ST_EUlSS_E_NS1_11comp_targetILNS1_3genE8ELNS1_11target_archE1030ELNS1_3gpuE2ELNS1_3repE0EEENS1_30default_config_static_selectorELNS0_4arch9wavefront6targetE1EEEvT1_.num_vgpr, 0
	.set _ZN7rocprim17ROCPRIM_400000_NS6detail17trampoline_kernelINS0_14default_configENS1_27scan_by_key_config_selectorIiiEEZZNS1_16scan_by_key_implILNS1_25lookback_scan_determinismE0ELb0ES3_PKiN6hipcub16HIPCUB_304000_NS21ConstantInputIteratorIilEEPiiNSB_3SumENSB_8EqualityEiEE10hipError_tPvRmT2_T3_T4_T5_mT6_T7_P12ihipStream_tbENKUlT_T0_E_clISt17integral_constantIbLb1EESW_IbLb0EEEEDaSS_ST_EUlSS_E_NS1_11comp_targetILNS1_3genE8ELNS1_11target_archE1030ELNS1_3gpuE2ELNS1_3repE0EEENS1_30default_config_static_selectorELNS0_4arch9wavefront6targetE1EEEvT1_.num_agpr, 0
	.set _ZN7rocprim17ROCPRIM_400000_NS6detail17trampoline_kernelINS0_14default_configENS1_27scan_by_key_config_selectorIiiEEZZNS1_16scan_by_key_implILNS1_25lookback_scan_determinismE0ELb0ES3_PKiN6hipcub16HIPCUB_304000_NS21ConstantInputIteratorIilEEPiiNSB_3SumENSB_8EqualityEiEE10hipError_tPvRmT2_T3_T4_T5_mT6_T7_P12ihipStream_tbENKUlT_T0_E_clISt17integral_constantIbLb1EESW_IbLb0EEEEDaSS_ST_EUlSS_E_NS1_11comp_targetILNS1_3genE8ELNS1_11target_archE1030ELNS1_3gpuE2ELNS1_3repE0EEENS1_30default_config_static_selectorELNS0_4arch9wavefront6targetE1EEEvT1_.numbered_sgpr, 0
	.set _ZN7rocprim17ROCPRIM_400000_NS6detail17trampoline_kernelINS0_14default_configENS1_27scan_by_key_config_selectorIiiEEZZNS1_16scan_by_key_implILNS1_25lookback_scan_determinismE0ELb0ES3_PKiN6hipcub16HIPCUB_304000_NS21ConstantInputIteratorIilEEPiiNSB_3SumENSB_8EqualityEiEE10hipError_tPvRmT2_T3_T4_T5_mT6_T7_P12ihipStream_tbENKUlT_T0_E_clISt17integral_constantIbLb1EESW_IbLb0EEEEDaSS_ST_EUlSS_E_NS1_11comp_targetILNS1_3genE8ELNS1_11target_archE1030ELNS1_3gpuE2ELNS1_3repE0EEENS1_30default_config_static_selectorELNS0_4arch9wavefront6targetE1EEEvT1_.num_named_barrier, 0
	.set _ZN7rocprim17ROCPRIM_400000_NS6detail17trampoline_kernelINS0_14default_configENS1_27scan_by_key_config_selectorIiiEEZZNS1_16scan_by_key_implILNS1_25lookback_scan_determinismE0ELb0ES3_PKiN6hipcub16HIPCUB_304000_NS21ConstantInputIteratorIilEEPiiNSB_3SumENSB_8EqualityEiEE10hipError_tPvRmT2_T3_T4_T5_mT6_T7_P12ihipStream_tbENKUlT_T0_E_clISt17integral_constantIbLb1EESW_IbLb0EEEEDaSS_ST_EUlSS_E_NS1_11comp_targetILNS1_3genE8ELNS1_11target_archE1030ELNS1_3gpuE2ELNS1_3repE0EEENS1_30default_config_static_selectorELNS0_4arch9wavefront6targetE1EEEvT1_.private_seg_size, 0
	.set _ZN7rocprim17ROCPRIM_400000_NS6detail17trampoline_kernelINS0_14default_configENS1_27scan_by_key_config_selectorIiiEEZZNS1_16scan_by_key_implILNS1_25lookback_scan_determinismE0ELb0ES3_PKiN6hipcub16HIPCUB_304000_NS21ConstantInputIteratorIilEEPiiNSB_3SumENSB_8EqualityEiEE10hipError_tPvRmT2_T3_T4_T5_mT6_T7_P12ihipStream_tbENKUlT_T0_E_clISt17integral_constantIbLb1EESW_IbLb0EEEEDaSS_ST_EUlSS_E_NS1_11comp_targetILNS1_3genE8ELNS1_11target_archE1030ELNS1_3gpuE2ELNS1_3repE0EEENS1_30default_config_static_selectorELNS0_4arch9wavefront6targetE1EEEvT1_.uses_vcc, 0
	.set _ZN7rocprim17ROCPRIM_400000_NS6detail17trampoline_kernelINS0_14default_configENS1_27scan_by_key_config_selectorIiiEEZZNS1_16scan_by_key_implILNS1_25lookback_scan_determinismE0ELb0ES3_PKiN6hipcub16HIPCUB_304000_NS21ConstantInputIteratorIilEEPiiNSB_3SumENSB_8EqualityEiEE10hipError_tPvRmT2_T3_T4_T5_mT6_T7_P12ihipStream_tbENKUlT_T0_E_clISt17integral_constantIbLb1EESW_IbLb0EEEEDaSS_ST_EUlSS_E_NS1_11comp_targetILNS1_3genE8ELNS1_11target_archE1030ELNS1_3gpuE2ELNS1_3repE0EEENS1_30default_config_static_selectorELNS0_4arch9wavefront6targetE1EEEvT1_.uses_flat_scratch, 0
	.set _ZN7rocprim17ROCPRIM_400000_NS6detail17trampoline_kernelINS0_14default_configENS1_27scan_by_key_config_selectorIiiEEZZNS1_16scan_by_key_implILNS1_25lookback_scan_determinismE0ELb0ES3_PKiN6hipcub16HIPCUB_304000_NS21ConstantInputIteratorIilEEPiiNSB_3SumENSB_8EqualityEiEE10hipError_tPvRmT2_T3_T4_T5_mT6_T7_P12ihipStream_tbENKUlT_T0_E_clISt17integral_constantIbLb1EESW_IbLb0EEEEDaSS_ST_EUlSS_E_NS1_11comp_targetILNS1_3genE8ELNS1_11target_archE1030ELNS1_3gpuE2ELNS1_3repE0EEENS1_30default_config_static_selectorELNS0_4arch9wavefront6targetE1EEEvT1_.has_dyn_sized_stack, 0
	.set _ZN7rocprim17ROCPRIM_400000_NS6detail17trampoline_kernelINS0_14default_configENS1_27scan_by_key_config_selectorIiiEEZZNS1_16scan_by_key_implILNS1_25lookback_scan_determinismE0ELb0ES3_PKiN6hipcub16HIPCUB_304000_NS21ConstantInputIteratorIilEEPiiNSB_3SumENSB_8EqualityEiEE10hipError_tPvRmT2_T3_T4_T5_mT6_T7_P12ihipStream_tbENKUlT_T0_E_clISt17integral_constantIbLb1EESW_IbLb0EEEEDaSS_ST_EUlSS_E_NS1_11comp_targetILNS1_3genE8ELNS1_11target_archE1030ELNS1_3gpuE2ELNS1_3repE0EEENS1_30default_config_static_selectorELNS0_4arch9wavefront6targetE1EEEvT1_.has_recursion, 0
	.set _ZN7rocprim17ROCPRIM_400000_NS6detail17trampoline_kernelINS0_14default_configENS1_27scan_by_key_config_selectorIiiEEZZNS1_16scan_by_key_implILNS1_25lookback_scan_determinismE0ELb0ES3_PKiN6hipcub16HIPCUB_304000_NS21ConstantInputIteratorIilEEPiiNSB_3SumENSB_8EqualityEiEE10hipError_tPvRmT2_T3_T4_T5_mT6_T7_P12ihipStream_tbENKUlT_T0_E_clISt17integral_constantIbLb1EESW_IbLb0EEEEDaSS_ST_EUlSS_E_NS1_11comp_targetILNS1_3genE8ELNS1_11target_archE1030ELNS1_3gpuE2ELNS1_3repE0EEENS1_30default_config_static_selectorELNS0_4arch9wavefront6targetE1EEEvT1_.has_indirect_call, 0
	.section	.AMDGPU.csdata,"",@progbits
; Kernel info:
; codeLenInByte = 0
; TotalNumSgprs: 6
; NumVgprs: 0
; NumAgprs: 0
; TotalNumVgprs: 0
; ScratchSize: 0
; MemoryBound: 0
; FloatMode: 240
; IeeeMode: 1
; LDSByteSize: 0 bytes/workgroup (compile time only)
; SGPRBlocks: 0
; VGPRBlocks: 0
; NumSGPRsForWavesPerEU: 6
; NumVGPRsForWavesPerEU: 1
; AccumOffset: 4
; Occupancy: 8
; WaveLimiterHint : 0
; COMPUTE_PGM_RSRC2:SCRATCH_EN: 0
; COMPUTE_PGM_RSRC2:USER_SGPR: 2
; COMPUTE_PGM_RSRC2:TRAP_HANDLER: 0
; COMPUTE_PGM_RSRC2:TGID_X_EN: 1
; COMPUTE_PGM_RSRC2:TGID_Y_EN: 0
; COMPUTE_PGM_RSRC2:TGID_Z_EN: 0
; COMPUTE_PGM_RSRC2:TIDIG_COMP_CNT: 0
; COMPUTE_PGM_RSRC3_GFX90A:ACCUM_OFFSET: 0
; COMPUTE_PGM_RSRC3_GFX90A:TG_SPLIT: 0
	.section	.text._ZN7rocprim17ROCPRIM_400000_NS6detail30init_device_scan_by_key_kernelINS1_19lookback_scan_stateINS0_5tupleIJibEEELb0ELb1EEEPKijNS1_16block_id_wrapperIjLb1EEEEEvT_jjPNSB_10value_typeET0_PNSt15iterator_traitsISE_E10value_typeEmT1_T2_,"axG",@progbits,_ZN7rocprim17ROCPRIM_400000_NS6detail30init_device_scan_by_key_kernelINS1_19lookback_scan_stateINS0_5tupleIJibEEELb0ELb1EEEPKijNS1_16block_id_wrapperIjLb1EEEEEvT_jjPNSB_10value_typeET0_PNSt15iterator_traitsISE_E10value_typeEmT1_T2_,comdat
	.protected	_ZN7rocprim17ROCPRIM_400000_NS6detail30init_device_scan_by_key_kernelINS1_19lookback_scan_stateINS0_5tupleIJibEEELb0ELb1EEEPKijNS1_16block_id_wrapperIjLb1EEEEEvT_jjPNSB_10value_typeET0_PNSt15iterator_traitsISE_E10value_typeEmT1_T2_ ; -- Begin function _ZN7rocprim17ROCPRIM_400000_NS6detail30init_device_scan_by_key_kernelINS1_19lookback_scan_stateINS0_5tupleIJibEEELb0ELb1EEEPKijNS1_16block_id_wrapperIjLb1EEEEEvT_jjPNSB_10value_typeET0_PNSt15iterator_traitsISE_E10value_typeEmT1_T2_
	.globl	_ZN7rocprim17ROCPRIM_400000_NS6detail30init_device_scan_by_key_kernelINS1_19lookback_scan_stateINS0_5tupleIJibEEELb0ELb1EEEPKijNS1_16block_id_wrapperIjLb1EEEEEvT_jjPNSB_10value_typeET0_PNSt15iterator_traitsISE_E10value_typeEmT1_T2_
	.p2align	8
	.type	_ZN7rocprim17ROCPRIM_400000_NS6detail30init_device_scan_by_key_kernelINS1_19lookback_scan_stateINS0_5tupleIJibEEELb0ELb1EEEPKijNS1_16block_id_wrapperIjLb1EEEEEvT_jjPNSB_10value_typeET0_PNSt15iterator_traitsISE_E10value_typeEmT1_T2_,@function
_ZN7rocprim17ROCPRIM_400000_NS6detail30init_device_scan_by_key_kernelINS1_19lookback_scan_stateINS0_5tupleIJibEEELb0ELb1EEEPKijNS1_16block_id_wrapperIjLb1EEEEEvT_jjPNSB_10value_typeET0_PNSt15iterator_traitsISE_E10value_typeEmT1_T2_: ; @_ZN7rocprim17ROCPRIM_400000_NS6detail30init_device_scan_by_key_kernelINS1_19lookback_scan_stateINS0_5tupleIJibEEELb0ELb1EEEPKijNS1_16block_id_wrapperIjLb1EEEEEvT_jjPNSB_10value_typeET0_PNSt15iterator_traitsISE_E10value_typeEmT1_T2_
; %bb.0:
	s_load_dword s3, s[0:1], 0x4c
	s_load_dwordx8 s[4:11], s[0:1], 0x0
	s_load_dword s18, s[0:1], 0x40
	s_waitcnt lgkmcnt(0)
	s_and_b32 s19, s3, 0xffff
	s_mul_i32 s2, s2, s19
	s_cmp_eq_u64 s[8:9], 0
	v_add_u32_e32 v4, s2, v0
	s_cbranch_scc1 .LBB41_8
; %bb.1:
	s_cmp_lt_u32 s7, s6
	s_cselect_b32 s2, s7, 0
	s_mov_b32 s13, 0
	v_cmp_eq_u32_e32 vcc, s2, v4
	s_and_saveexec_b64 s[2:3], vcc
	s_cbranch_execz .LBB41_7
; %bb.2:
	s_add_i32 s12, s7, 64
	s_lshl_b64 s[12:13], s[12:13], 4
	s_add_u32 s16, s4, s12
	s_addc_u32 s17, s5, s13
	v_mov_b64_e32 v[0:1], s[16:17]
	;;#ASMSTART
	global_load_dwordx4 v[0:3], v[0:1] off sc1	
s_waitcnt vmcnt(0)
	;;#ASMEND
	v_mov_b32_e32 v7, 0
	v_and_b32_e32 v6, 0xff, v2
	s_mov_b64 s[14:15], 0
	v_cmp_eq_u64_e32 vcc, 0, v[6:7]
	s_and_saveexec_b64 s[12:13], vcc
	s_cbranch_execz .LBB41_6
; %bb.3:
	v_mov_b64_e32 v[8:9], s[16:17]
.LBB41_4:                               ; =>This Inner Loop Header: Depth=1
	;;#ASMSTART
	global_load_dwordx4 v[0:3], v[8:9] off sc1	
s_waitcnt vmcnt(0)
	;;#ASMEND
	s_nop 0
	v_and_b32_e32 v6, 0xff, v2
	v_cmp_ne_u64_e32 vcc, 0, v[6:7]
	s_or_b64 s[14:15], vcc, s[14:15]
	s_andn2_b64 exec, exec, s[14:15]
	s_cbranch_execnz .LBB41_4
; %bb.5:
	s_or_b64 exec, exec, s[14:15]
.LBB41_6:
	s_or_b64 exec, exec, s[12:13]
	v_mov_b32_e32 v2, 0
	global_store_dword v2, v0, s[8:9]
	global_store_byte v2, v1, s[8:9] offset:4
.LBB41_7:
	s_or_b64 exec, exec, s[2:3]
.LBB41_8:
	v_cmp_eq_u32_e32 vcc, 0, v4
	s_and_saveexec_b64 s[2:3], vcc
	s_cbranch_execz .LBB41_10
; %bb.9:
	s_load_dwordx2 s[8:9], s[0:1], 0x38
	v_mov_b32_e32 v0, 0
	s_waitcnt lgkmcnt(0)
	global_store_dword v0, v0, s[8:9]
.LBB41_10:
	s_or_b64 exec, exec, s[2:3]
	v_cmp_gt_u32_e32 vcc, s6, v4
	s_and_saveexec_b64 s[2:3], vcc
	s_cbranch_execz .LBB41_12
; %bb.11:
	v_add_u32_e32 v0, 64, v4
	v_mov_b32_e32 v1, 0
	v_lshl_add_u64 v[6:7], v[0:1], 4, s[4:5]
	v_mov_b32_e32 v0, v1
	v_mov_b32_e32 v2, v1
	;; [unrolled: 1-line block ×3, first 2 shown]
	global_store_dwordx4 v[6:7], v[0:3], off
.LBB41_12:
	s_or_b64 exec, exec, s[2:3]
	v_cmp_gt_u32_e32 vcc, 64, v4
	v_mov_b32_e32 v5, 0
	s_and_saveexec_b64 s[2:3], vcc
	s_cbranch_execz .LBB41_14
; %bb.13:
	v_lshl_add_u64 v[6:7], v[4:5], 4, s[4:5]
	v_mov_b32_e32 v2, 0xff
	v_mov_b32_e32 v0, v5
	;; [unrolled: 1-line block ×4, first 2 shown]
	global_store_dwordx4 v[6:7], v[0:3], off
.LBB41_14:
	s_or_b64 exec, exec, s[2:3]
	s_load_dwordx2 s[2:3], s[0:1], 0x28
	s_waitcnt lgkmcnt(0)
	v_cmp_gt_u64_e32 vcc, s[2:3], v[4:5]
	s_and_saveexec_b64 s[4:5], vcc
	s_cbranch_execz .LBB41_17
; %bb.15:
	s_load_dword s12, s[0:1], 0x30
	s_load_dwordx2 s[6:7], s[0:1], 0x20
	s_mov_b32 s5, 0
	s_mov_b32 s1, s5
	s_mul_i32 s0, s18, s19
	s_waitcnt lgkmcnt(0)
	s_add_i32 s4, s12, -1
	s_lshl_b64 s[4:5], s[4:5], 2
	s_add_u32 s4, s10, s4
	v_mad_u64_u32 v[0:1], s[8:9], s12, v4, 0
	s_addc_u32 s5, s11, s5
	v_lshl_add_u64 v[0:1], v[0:1], 2, s[4:5]
	s_mul_hi_u32 s5, s12, s0
	s_mul_i32 s4, s12, s0
	s_lshl_b64 s[4:5], s[4:5], 2
	v_lshl_add_u64 v[2:3], v[4:5], 2, s[6:7]
	s_lshl_b64 s[6:7], s[0:1], 2
	s_mov_b64 s[8:9], 0
.LBB41_16:                              ; =>This Inner Loop Header: Depth=1
	global_load_dword v6, v[0:1], off
	v_lshl_add_u64 v[4:5], v[4:5], 0, s[0:1]
	v_cmp_le_u64_e32 vcc, s[2:3], v[4:5]
	v_lshl_add_u64 v[0:1], v[0:1], 0, s[4:5]
	s_or_b64 s[8:9], vcc, s[8:9]
	s_waitcnt vmcnt(0)
	global_store_dword v[2:3], v6, off
	v_lshl_add_u64 v[2:3], v[2:3], 0, s[6:7]
	s_andn2_b64 exec, exec, s[8:9]
	s_cbranch_execnz .LBB41_16
.LBB41_17:
	s_endpgm
	.section	.rodata,"a",@progbits
	.p2align	6, 0x0
	.amdhsa_kernel _ZN7rocprim17ROCPRIM_400000_NS6detail30init_device_scan_by_key_kernelINS1_19lookback_scan_stateINS0_5tupleIJibEEELb0ELb1EEEPKijNS1_16block_id_wrapperIjLb1EEEEEvT_jjPNSB_10value_typeET0_PNSt15iterator_traitsISE_E10value_typeEmT1_T2_
		.amdhsa_group_segment_fixed_size 0
		.amdhsa_private_segment_fixed_size 0
		.amdhsa_kernarg_size 320
		.amdhsa_user_sgpr_count 2
		.amdhsa_user_sgpr_dispatch_ptr 0
		.amdhsa_user_sgpr_queue_ptr 0
		.amdhsa_user_sgpr_kernarg_segment_ptr 1
		.amdhsa_user_sgpr_dispatch_id 0
		.amdhsa_user_sgpr_kernarg_preload_length 0
		.amdhsa_user_sgpr_kernarg_preload_offset 0
		.amdhsa_user_sgpr_private_segment_size 0
		.amdhsa_uses_dynamic_stack 0
		.amdhsa_enable_private_segment 0
		.amdhsa_system_sgpr_workgroup_id_x 1
		.amdhsa_system_sgpr_workgroup_id_y 0
		.amdhsa_system_sgpr_workgroup_id_z 0
		.amdhsa_system_sgpr_workgroup_info 0
		.amdhsa_system_vgpr_workitem_id 0
		.amdhsa_next_free_vgpr 10
		.amdhsa_next_free_sgpr 20
		.amdhsa_accum_offset 12
		.amdhsa_reserve_vcc 1
		.amdhsa_float_round_mode_32 0
		.amdhsa_float_round_mode_16_64 0
		.amdhsa_float_denorm_mode_32 3
		.amdhsa_float_denorm_mode_16_64 3
		.amdhsa_dx10_clamp 1
		.amdhsa_ieee_mode 1
		.amdhsa_fp16_overflow 0
		.amdhsa_tg_split 0
		.amdhsa_exception_fp_ieee_invalid_op 0
		.amdhsa_exception_fp_denorm_src 0
		.amdhsa_exception_fp_ieee_div_zero 0
		.amdhsa_exception_fp_ieee_overflow 0
		.amdhsa_exception_fp_ieee_underflow 0
		.amdhsa_exception_fp_ieee_inexact 0
		.amdhsa_exception_int_div_zero 0
	.end_amdhsa_kernel
	.section	.text._ZN7rocprim17ROCPRIM_400000_NS6detail30init_device_scan_by_key_kernelINS1_19lookback_scan_stateINS0_5tupleIJibEEELb0ELb1EEEPKijNS1_16block_id_wrapperIjLb1EEEEEvT_jjPNSB_10value_typeET0_PNSt15iterator_traitsISE_E10value_typeEmT1_T2_,"axG",@progbits,_ZN7rocprim17ROCPRIM_400000_NS6detail30init_device_scan_by_key_kernelINS1_19lookback_scan_stateINS0_5tupleIJibEEELb0ELb1EEEPKijNS1_16block_id_wrapperIjLb1EEEEEvT_jjPNSB_10value_typeET0_PNSt15iterator_traitsISE_E10value_typeEmT1_T2_,comdat
.Lfunc_end41:
	.size	_ZN7rocprim17ROCPRIM_400000_NS6detail30init_device_scan_by_key_kernelINS1_19lookback_scan_stateINS0_5tupleIJibEEELb0ELb1EEEPKijNS1_16block_id_wrapperIjLb1EEEEEvT_jjPNSB_10value_typeET0_PNSt15iterator_traitsISE_E10value_typeEmT1_T2_, .Lfunc_end41-_ZN7rocprim17ROCPRIM_400000_NS6detail30init_device_scan_by_key_kernelINS1_19lookback_scan_stateINS0_5tupleIJibEEELb0ELb1EEEPKijNS1_16block_id_wrapperIjLb1EEEEEvT_jjPNSB_10value_typeET0_PNSt15iterator_traitsISE_E10value_typeEmT1_T2_
                                        ; -- End function
	.set _ZN7rocprim17ROCPRIM_400000_NS6detail30init_device_scan_by_key_kernelINS1_19lookback_scan_stateINS0_5tupleIJibEEELb0ELb1EEEPKijNS1_16block_id_wrapperIjLb1EEEEEvT_jjPNSB_10value_typeET0_PNSt15iterator_traitsISE_E10value_typeEmT1_T2_.num_vgpr, 10
	.set _ZN7rocprim17ROCPRIM_400000_NS6detail30init_device_scan_by_key_kernelINS1_19lookback_scan_stateINS0_5tupleIJibEEELb0ELb1EEEPKijNS1_16block_id_wrapperIjLb1EEEEEvT_jjPNSB_10value_typeET0_PNSt15iterator_traitsISE_E10value_typeEmT1_T2_.num_agpr, 0
	.set _ZN7rocprim17ROCPRIM_400000_NS6detail30init_device_scan_by_key_kernelINS1_19lookback_scan_stateINS0_5tupleIJibEEELb0ELb1EEEPKijNS1_16block_id_wrapperIjLb1EEEEEvT_jjPNSB_10value_typeET0_PNSt15iterator_traitsISE_E10value_typeEmT1_T2_.numbered_sgpr, 20
	.set _ZN7rocprim17ROCPRIM_400000_NS6detail30init_device_scan_by_key_kernelINS1_19lookback_scan_stateINS0_5tupleIJibEEELb0ELb1EEEPKijNS1_16block_id_wrapperIjLb1EEEEEvT_jjPNSB_10value_typeET0_PNSt15iterator_traitsISE_E10value_typeEmT1_T2_.num_named_barrier, 0
	.set _ZN7rocprim17ROCPRIM_400000_NS6detail30init_device_scan_by_key_kernelINS1_19lookback_scan_stateINS0_5tupleIJibEEELb0ELb1EEEPKijNS1_16block_id_wrapperIjLb1EEEEEvT_jjPNSB_10value_typeET0_PNSt15iterator_traitsISE_E10value_typeEmT1_T2_.private_seg_size, 0
	.set _ZN7rocprim17ROCPRIM_400000_NS6detail30init_device_scan_by_key_kernelINS1_19lookback_scan_stateINS0_5tupleIJibEEELb0ELb1EEEPKijNS1_16block_id_wrapperIjLb1EEEEEvT_jjPNSB_10value_typeET0_PNSt15iterator_traitsISE_E10value_typeEmT1_T2_.uses_vcc, 1
	.set _ZN7rocprim17ROCPRIM_400000_NS6detail30init_device_scan_by_key_kernelINS1_19lookback_scan_stateINS0_5tupleIJibEEELb0ELb1EEEPKijNS1_16block_id_wrapperIjLb1EEEEEvT_jjPNSB_10value_typeET0_PNSt15iterator_traitsISE_E10value_typeEmT1_T2_.uses_flat_scratch, 0
	.set _ZN7rocprim17ROCPRIM_400000_NS6detail30init_device_scan_by_key_kernelINS1_19lookback_scan_stateINS0_5tupleIJibEEELb0ELb1EEEPKijNS1_16block_id_wrapperIjLb1EEEEEvT_jjPNSB_10value_typeET0_PNSt15iterator_traitsISE_E10value_typeEmT1_T2_.has_dyn_sized_stack, 0
	.set _ZN7rocprim17ROCPRIM_400000_NS6detail30init_device_scan_by_key_kernelINS1_19lookback_scan_stateINS0_5tupleIJibEEELb0ELb1EEEPKijNS1_16block_id_wrapperIjLb1EEEEEvT_jjPNSB_10value_typeET0_PNSt15iterator_traitsISE_E10value_typeEmT1_T2_.has_recursion, 0
	.set _ZN7rocprim17ROCPRIM_400000_NS6detail30init_device_scan_by_key_kernelINS1_19lookback_scan_stateINS0_5tupleIJibEEELb0ELb1EEEPKijNS1_16block_id_wrapperIjLb1EEEEEvT_jjPNSB_10value_typeET0_PNSt15iterator_traitsISE_E10value_typeEmT1_T2_.has_indirect_call, 0
	.section	.AMDGPU.csdata,"",@progbits
; Kernel info:
; codeLenInByte = 580
; TotalNumSgprs: 26
; NumVgprs: 10
; NumAgprs: 0
; TotalNumVgprs: 10
; ScratchSize: 0
; MemoryBound: 0
; FloatMode: 240
; IeeeMode: 1
; LDSByteSize: 0 bytes/workgroup (compile time only)
; SGPRBlocks: 3
; VGPRBlocks: 1
; NumSGPRsForWavesPerEU: 26
; NumVGPRsForWavesPerEU: 10
; AccumOffset: 12
; Occupancy: 8
; WaveLimiterHint : 0
; COMPUTE_PGM_RSRC2:SCRATCH_EN: 0
; COMPUTE_PGM_RSRC2:USER_SGPR: 2
; COMPUTE_PGM_RSRC2:TRAP_HANDLER: 0
; COMPUTE_PGM_RSRC2:TGID_X_EN: 1
; COMPUTE_PGM_RSRC2:TGID_Y_EN: 0
; COMPUTE_PGM_RSRC2:TGID_Z_EN: 0
; COMPUTE_PGM_RSRC2:TIDIG_COMP_CNT: 0
; COMPUTE_PGM_RSRC3_GFX90A:ACCUM_OFFSET: 2
; COMPUTE_PGM_RSRC3_GFX90A:TG_SPLIT: 0
	.section	.text._ZN7rocprim17ROCPRIM_400000_NS6detail30init_device_scan_by_key_kernelINS1_19lookback_scan_stateINS0_5tupleIJibEEELb0ELb1EEENS1_16block_id_wrapperIjLb1EEEEEvT_jjPNS9_10value_typeET0_,"axG",@progbits,_ZN7rocprim17ROCPRIM_400000_NS6detail30init_device_scan_by_key_kernelINS1_19lookback_scan_stateINS0_5tupleIJibEEELb0ELb1EEENS1_16block_id_wrapperIjLb1EEEEEvT_jjPNS9_10value_typeET0_,comdat
	.protected	_ZN7rocprim17ROCPRIM_400000_NS6detail30init_device_scan_by_key_kernelINS1_19lookback_scan_stateINS0_5tupleIJibEEELb0ELb1EEENS1_16block_id_wrapperIjLb1EEEEEvT_jjPNS9_10value_typeET0_ ; -- Begin function _ZN7rocprim17ROCPRIM_400000_NS6detail30init_device_scan_by_key_kernelINS1_19lookback_scan_stateINS0_5tupleIJibEEELb0ELb1EEENS1_16block_id_wrapperIjLb1EEEEEvT_jjPNS9_10value_typeET0_
	.globl	_ZN7rocprim17ROCPRIM_400000_NS6detail30init_device_scan_by_key_kernelINS1_19lookback_scan_stateINS0_5tupleIJibEEELb0ELb1EEENS1_16block_id_wrapperIjLb1EEEEEvT_jjPNS9_10value_typeET0_
	.p2align	8
	.type	_ZN7rocprim17ROCPRIM_400000_NS6detail30init_device_scan_by_key_kernelINS1_19lookback_scan_stateINS0_5tupleIJibEEELb0ELb1EEENS1_16block_id_wrapperIjLb1EEEEEvT_jjPNS9_10value_typeET0_,@function
_ZN7rocprim17ROCPRIM_400000_NS6detail30init_device_scan_by_key_kernelINS1_19lookback_scan_stateINS0_5tupleIJibEEELb0ELb1EEENS1_16block_id_wrapperIjLb1EEEEEvT_jjPNS9_10value_typeET0_: ; @_ZN7rocprim17ROCPRIM_400000_NS6detail30init_device_scan_by_key_kernelINS1_19lookback_scan_stateINS0_5tupleIJibEEELb0ELb1EEENS1_16block_id_wrapperIjLb1EEEEEvT_jjPNS9_10value_typeET0_
; %bb.0:
	s_load_dword s3, s[0:1], 0x2c
	s_load_dwordx8 s[4:11], s[0:1], 0x0
	s_waitcnt lgkmcnt(0)
	s_and_b32 s0, s3, 0xffff
	s_mul_i32 s2, s2, s0
	s_cmp_eq_u64 s[8:9], 0
	v_add_u32_e32 v0, s2, v0
	s_cbranch_scc1 .LBB42_8
; %bb.1:
	s_cmp_lt_u32 s7, s6
	s_cselect_b32 s0, s7, 0
	s_mov_b32 s3, 0
	v_cmp_eq_u32_e32 vcc, s0, v0
	s_and_saveexec_b64 s[0:1], vcc
	s_cbranch_execz .LBB42_7
; %bb.2:
	s_add_i32 s2, s7, 64
	s_lshl_b64 s[2:3], s[2:3], 4
	s_add_u32 s14, s4, s2
	s_addc_u32 s15, s5, s3
	v_mov_b64_e32 v[2:3], s[14:15]
	;;#ASMSTART
	global_load_dwordx4 v[2:5], v[2:3] off sc1	
s_waitcnt vmcnt(0)
	;;#ASMEND
	v_mov_b32_e32 v7, 0
	v_and_b32_e32 v6, 0xff, v4
	s_mov_b64 s[12:13], 0
	v_cmp_eq_u64_e32 vcc, 0, v[6:7]
	s_and_saveexec_b64 s[2:3], vcc
	s_cbranch_execz .LBB42_6
; %bb.3:
	v_mov_b64_e32 v[8:9], s[14:15]
.LBB42_4:                               ; =>This Inner Loop Header: Depth=1
	;;#ASMSTART
	global_load_dwordx4 v[2:5], v[8:9] off sc1	
s_waitcnt vmcnt(0)
	;;#ASMEND
	s_nop 0
	v_and_b32_e32 v6, 0xff, v4
	v_cmp_ne_u64_e32 vcc, 0, v[6:7]
	s_or_b64 s[12:13], vcc, s[12:13]
	s_andn2_b64 exec, exec, s[12:13]
	s_cbranch_execnz .LBB42_4
; %bb.5:
	s_or_b64 exec, exec, s[12:13]
.LBB42_6:
	s_or_b64 exec, exec, s[2:3]
	v_mov_b32_e32 v1, 0
	global_store_dword v1, v2, s[8:9]
	global_store_byte v1, v3, s[8:9] offset:4
.LBB42_7:
	s_or_b64 exec, exec, s[0:1]
.LBB42_8:
	v_cmp_eq_u32_e32 vcc, 0, v0
	s_and_saveexec_b64 s[0:1], vcc
	s_cbranch_execnz .LBB42_12
; %bb.9:
	s_or_b64 exec, exec, s[0:1]
	v_cmp_gt_u32_e32 vcc, s6, v0
	s_and_saveexec_b64 s[0:1], vcc
	s_cbranch_execnz .LBB42_13
.LBB42_10:
	s_or_b64 exec, exec, s[0:1]
	v_cmp_gt_u32_e32 vcc, 64, v0
	s_and_saveexec_b64 s[0:1], vcc
	s_cbranch_execnz .LBB42_14
.LBB42_11:
	s_endpgm
.LBB42_12:
	v_mov_b32_e32 v1, 0
	global_store_dword v1, v1, s[10:11]
	s_or_b64 exec, exec, s[0:1]
	v_cmp_gt_u32_e32 vcc, s6, v0
	s_and_saveexec_b64 s[0:1], vcc
	s_cbranch_execz .LBB42_10
.LBB42_13:
	v_add_u32_e32 v2, 64, v0
	v_mov_b32_e32 v3, 0
	v_lshl_add_u64 v[6:7], v[2:3], 4, s[4:5]
	v_mov_b32_e32 v2, v3
	v_mov_b32_e32 v4, v3
	;; [unrolled: 1-line block ×3, first 2 shown]
	global_store_dwordx4 v[6:7], v[2:5], off
	s_or_b64 exec, exec, s[0:1]
	v_cmp_gt_u32_e32 vcc, 64, v0
	s_and_saveexec_b64 s[0:1], vcc
	s_cbranch_execz .LBB42_11
.LBB42_14:
	v_mov_b32_e32 v1, 0
	v_lshl_add_u64 v[4:5], v[0:1], 4, s[4:5]
	v_mov_b32_e32 v2, 0xff
	v_mov_b32_e32 v0, v1
	;; [unrolled: 1-line block ×3, first 2 shown]
	global_store_dwordx4 v[4:5], v[0:3], off
	s_endpgm
	.section	.rodata,"a",@progbits
	.p2align	6, 0x0
	.amdhsa_kernel _ZN7rocprim17ROCPRIM_400000_NS6detail30init_device_scan_by_key_kernelINS1_19lookback_scan_stateINS0_5tupleIJibEEELb0ELb1EEENS1_16block_id_wrapperIjLb1EEEEEvT_jjPNS9_10value_typeET0_
		.amdhsa_group_segment_fixed_size 0
		.amdhsa_private_segment_fixed_size 0
		.amdhsa_kernarg_size 288
		.amdhsa_user_sgpr_count 2
		.amdhsa_user_sgpr_dispatch_ptr 0
		.amdhsa_user_sgpr_queue_ptr 0
		.amdhsa_user_sgpr_kernarg_segment_ptr 1
		.amdhsa_user_sgpr_dispatch_id 0
		.amdhsa_user_sgpr_kernarg_preload_length 0
		.amdhsa_user_sgpr_kernarg_preload_offset 0
		.amdhsa_user_sgpr_private_segment_size 0
		.amdhsa_uses_dynamic_stack 0
		.amdhsa_enable_private_segment 0
		.amdhsa_system_sgpr_workgroup_id_x 1
		.amdhsa_system_sgpr_workgroup_id_y 0
		.amdhsa_system_sgpr_workgroup_id_z 0
		.amdhsa_system_sgpr_workgroup_info 0
		.amdhsa_system_vgpr_workitem_id 0
		.amdhsa_next_free_vgpr 10
		.amdhsa_next_free_sgpr 16
		.amdhsa_accum_offset 12
		.amdhsa_reserve_vcc 1
		.amdhsa_float_round_mode_32 0
		.amdhsa_float_round_mode_16_64 0
		.amdhsa_float_denorm_mode_32 3
		.amdhsa_float_denorm_mode_16_64 3
		.amdhsa_dx10_clamp 1
		.amdhsa_ieee_mode 1
		.amdhsa_fp16_overflow 0
		.amdhsa_tg_split 0
		.amdhsa_exception_fp_ieee_invalid_op 0
		.amdhsa_exception_fp_denorm_src 0
		.amdhsa_exception_fp_ieee_div_zero 0
		.amdhsa_exception_fp_ieee_overflow 0
		.amdhsa_exception_fp_ieee_underflow 0
		.amdhsa_exception_fp_ieee_inexact 0
		.amdhsa_exception_int_div_zero 0
	.end_amdhsa_kernel
	.section	.text._ZN7rocprim17ROCPRIM_400000_NS6detail30init_device_scan_by_key_kernelINS1_19lookback_scan_stateINS0_5tupleIJibEEELb0ELb1EEENS1_16block_id_wrapperIjLb1EEEEEvT_jjPNS9_10value_typeET0_,"axG",@progbits,_ZN7rocprim17ROCPRIM_400000_NS6detail30init_device_scan_by_key_kernelINS1_19lookback_scan_stateINS0_5tupleIJibEEELb0ELb1EEENS1_16block_id_wrapperIjLb1EEEEEvT_jjPNS9_10value_typeET0_,comdat
.Lfunc_end42:
	.size	_ZN7rocprim17ROCPRIM_400000_NS6detail30init_device_scan_by_key_kernelINS1_19lookback_scan_stateINS0_5tupleIJibEEELb0ELb1EEENS1_16block_id_wrapperIjLb1EEEEEvT_jjPNS9_10value_typeET0_, .Lfunc_end42-_ZN7rocprim17ROCPRIM_400000_NS6detail30init_device_scan_by_key_kernelINS1_19lookback_scan_stateINS0_5tupleIJibEEELb0ELb1EEENS1_16block_id_wrapperIjLb1EEEEEvT_jjPNS9_10value_typeET0_
                                        ; -- End function
	.set _ZN7rocprim17ROCPRIM_400000_NS6detail30init_device_scan_by_key_kernelINS1_19lookback_scan_stateINS0_5tupleIJibEEELb0ELb1EEENS1_16block_id_wrapperIjLb1EEEEEvT_jjPNS9_10value_typeET0_.num_vgpr, 10
	.set _ZN7rocprim17ROCPRIM_400000_NS6detail30init_device_scan_by_key_kernelINS1_19lookback_scan_stateINS0_5tupleIJibEEELb0ELb1EEENS1_16block_id_wrapperIjLb1EEEEEvT_jjPNS9_10value_typeET0_.num_agpr, 0
	.set _ZN7rocprim17ROCPRIM_400000_NS6detail30init_device_scan_by_key_kernelINS1_19lookback_scan_stateINS0_5tupleIJibEEELb0ELb1EEENS1_16block_id_wrapperIjLb1EEEEEvT_jjPNS9_10value_typeET0_.numbered_sgpr, 16
	.set _ZN7rocprim17ROCPRIM_400000_NS6detail30init_device_scan_by_key_kernelINS1_19lookback_scan_stateINS0_5tupleIJibEEELb0ELb1EEENS1_16block_id_wrapperIjLb1EEEEEvT_jjPNS9_10value_typeET0_.num_named_barrier, 0
	.set _ZN7rocprim17ROCPRIM_400000_NS6detail30init_device_scan_by_key_kernelINS1_19lookback_scan_stateINS0_5tupleIJibEEELb0ELb1EEENS1_16block_id_wrapperIjLb1EEEEEvT_jjPNS9_10value_typeET0_.private_seg_size, 0
	.set _ZN7rocprim17ROCPRIM_400000_NS6detail30init_device_scan_by_key_kernelINS1_19lookback_scan_stateINS0_5tupleIJibEEELb0ELb1EEENS1_16block_id_wrapperIjLb1EEEEEvT_jjPNS9_10value_typeET0_.uses_vcc, 1
	.set _ZN7rocprim17ROCPRIM_400000_NS6detail30init_device_scan_by_key_kernelINS1_19lookback_scan_stateINS0_5tupleIJibEEELb0ELb1EEENS1_16block_id_wrapperIjLb1EEEEEvT_jjPNS9_10value_typeET0_.uses_flat_scratch, 0
	.set _ZN7rocprim17ROCPRIM_400000_NS6detail30init_device_scan_by_key_kernelINS1_19lookback_scan_stateINS0_5tupleIJibEEELb0ELb1EEENS1_16block_id_wrapperIjLb1EEEEEvT_jjPNS9_10value_typeET0_.has_dyn_sized_stack, 0
	.set _ZN7rocprim17ROCPRIM_400000_NS6detail30init_device_scan_by_key_kernelINS1_19lookback_scan_stateINS0_5tupleIJibEEELb0ELb1EEENS1_16block_id_wrapperIjLb1EEEEEvT_jjPNS9_10value_typeET0_.has_recursion, 0
	.set _ZN7rocprim17ROCPRIM_400000_NS6detail30init_device_scan_by_key_kernelINS1_19lookback_scan_stateINS0_5tupleIJibEEELb0ELb1EEENS1_16block_id_wrapperIjLb1EEEEEvT_jjPNS9_10value_typeET0_.has_indirect_call, 0
	.section	.AMDGPU.csdata,"",@progbits
; Kernel info:
; codeLenInByte = 412
; TotalNumSgprs: 22
; NumVgprs: 10
; NumAgprs: 0
; TotalNumVgprs: 10
; ScratchSize: 0
; MemoryBound: 0
; FloatMode: 240
; IeeeMode: 1
; LDSByteSize: 0 bytes/workgroup (compile time only)
; SGPRBlocks: 2
; VGPRBlocks: 1
; NumSGPRsForWavesPerEU: 22
; NumVGPRsForWavesPerEU: 10
; AccumOffset: 12
; Occupancy: 8
; WaveLimiterHint : 0
; COMPUTE_PGM_RSRC2:SCRATCH_EN: 0
; COMPUTE_PGM_RSRC2:USER_SGPR: 2
; COMPUTE_PGM_RSRC2:TRAP_HANDLER: 0
; COMPUTE_PGM_RSRC2:TGID_X_EN: 1
; COMPUTE_PGM_RSRC2:TGID_Y_EN: 0
; COMPUTE_PGM_RSRC2:TGID_Z_EN: 0
; COMPUTE_PGM_RSRC2:TIDIG_COMP_CNT: 0
; COMPUTE_PGM_RSRC3_GFX90A:ACCUM_OFFSET: 2
; COMPUTE_PGM_RSRC3_GFX90A:TG_SPLIT: 0
	.section	.text._ZN7rocprim17ROCPRIM_400000_NS6detail17trampoline_kernelINS0_14default_configENS1_27scan_by_key_config_selectorIiiEEZZNS1_16scan_by_key_implILNS1_25lookback_scan_determinismE0ELb0ES3_PKiN6hipcub16HIPCUB_304000_NS21ConstantInputIteratorIilEEPiiNSB_3SumENSB_8EqualityEiEE10hipError_tPvRmT2_T3_T4_T5_mT6_T7_P12ihipStream_tbENKUlT_T0_E_clISt17integral_constantIbLb0EESW_IbLb1EEEEDaSS_ST_EUlSS_E_NS1_11comp_targetILNS1_3genE0ELNS1_11target_archE4294967295ELNS1_3gpuE0ELNS1_3repE0EEENS1_30default_config_static_selectorELNS0_4arch9wavefront6targetE1EEEvT1_,"axG",@progbits,_ZN7rocprim17ROCPRIM_400000_NS6detail17trampoline_kernelINS0_14default_configENS1_27scan_by_key_config_selectorIiiEEZZNS1_16scan_by_key_implILNS1_25lookback_scan_determinismE0ELb0ES3_PKiN6hipcub16HIPCUB_304000_NS21ConstantInputIteratorIilEEPiiNSB_3SumENSB_8EqualityEiEE10hipError_tPvRmT2_T3_T4_T5_mT6_T7_P12ihipStream_tbENKUlT_T0_E_clISt17integral_constantIbLb0EESW_IbLb1EEEEDaSS_ST_EUlSS_E_NS1_11comp_targetILNS1_3genE0ELNS1_11target_archE4294967295ELNS1_3gpuE0ELNS1_3repE0EEENS1_30default_config_static_selectorELNS0_4arch9wavefront6targetE1EEEvT1_,comdat
	.protected	_ZN7rocprim17ROCPRIM_400000_NS6detail17trampoline_kernelINS0_14default_configENS1_27scan_by_key_config_selectorIiiEEZZNS1_16scan_by_key_implILNS1_25lookback_scan_determinismE0ELb0ES3_PKiN6hipcub16HIPCUB_304000_NS21ConstantInputIteratorIilEEPiiNSB_3SumENSB_8EqualityEiEE10hipError_tPvRmT2_T3_T4_T5_mT6_T7_P12ihipStream_tbENKUlT_T0_E_clISt17integral_constantIbLb0EESW_IbLb1EEEEDaSS_ST_EUlSS_E_NS1_11comp_targetILNS1_3genE0ELNS1_11target_archE4294967295ELNS1_3gpuE0ELNS1_3repE0EEENS1_30default_config_static_selectorELNS0_4arch9wavefront6targetE1EEEvT1_ ; -- Begin function _ZN7rocprim17ROCPRIM_400000_NS6detail17trampoline_kernelINS0_14default_configENS1_27scan_by_key_config_selectorIiiEEZZNS1_16scan_by_key_implILNS1_25lookback_scan_determinismE0ELb0ES3_PKiN6hipcub16HIPCUB_304000_NS21ConstantInputIteratorIilEEPiiNSB_3SumENSB_8EqualityEiEE10hipError_tPvRmT2_T3_T4_T5_mT6_T7_P12ihipStream_tbENKUlT_T0_E_clISt17integral_constantIbLb0EESW_IbLb1EEEEDaSS_ST_EUlSS_E_NS1_11comp_targetILNS1_3genE0ELNS1_11target_archE4294967295ELNS1_3gpuE0ELNS1_3repE0EEENS1_30default_config_static_selectorELNS0_4arch9wavefront6targetE1EEEvT1_
	.globl	_ZN7rocprim17ROCPRIM_400000_NS6detail17trampoline_kernelINS0_14default_configENS1_27scan_by_key_config_selectorIiiEEZZNS1_16scan_by_key_implILNS1_25lookback_scan_determinismE0ELb0ES3_PKiN6hipcub16HIPCUB_304000_NS21ConstantInputIteratorIilEEPiiNSB_3SumENSB_8EqualityEiEE10hipError_tPvRmT2_T3_T4_T5_mT6_T7_P12ihipStream_tbENKUlT_T0_E_clISt17integral_constantIbLb0EESW_IbLb1EEEEDaSS_ST_EUlSS_E_NS1_11comp_targetILNS1_3genE0ELNS1_11target_archE4294967295ELNS1_3gpuE0ELNS1_3repE0EEENS1_30default_config_static_selectorELNS0_4arch9wavefront6targetE1EEEvT1_
	.p2align	8
	.type	_ZN7rocprim17ROCPRIM_400000_NS6detail17trampoline_kernelINS0_14default_configENS1_27scan_by_key_config_selectorIiiEEZZNS1_16scan_by_key_implILNS1_25lookback_scan_determinismE0ELb0ES3_PKiN6hipcub16HIPCUB_304000_NS21ConstantInputIteratorIilEEPiiNSB_3SumENSB_8EqualityEiEE10hipError_tPvRmT2_T3_T4_T5_mT6_T7_P12ihipStream_tbENKUlT_T0_E_clISt17integral_constantIbLb0EESW_IbLb1EEEEDaSS_ST_EUlSS_E_NS1_11comp_targetILNS1_3genE0ELNS1_11target_archE4294967295ELNS1_3gpuE0ELNS1_3repE0EEENS1_30default_config_static_selectorELNS0_4arch9wavefront6targetE1EEEvT1_,@function
_ZN7rocprim17ROCPRIM_400000_NS6detail17trampoline_kernelINS0_14default_configENS1_27scan_by_key_config_selectorIiiEEZZNS1_16scan_by_key_implILNS1_25lookback_scan_determinismE0ELb0ES3_PKiN6hipcub16HIPCUB_304000_NS21ConstantInputIteratorIilEEPiiNSB_3SumENSB_8EqualityEiEE10hipError_tPvRmT2_T3_T4_T5_mT6_T7_P12ihipStream_tbENKUlT_T0_E_clISt17integral_constantIbLb0EESW_IbLb1EEEEDaSS_ST_EUlSS_E_NS1_11comp_targetILNS1_3genE0ELNS1_11target_archE4294967295ELNS1_3gpuE0ELNS1_3repE0EEENS1_30default_config_static_selectorELNS0_4arch9wavefront6targetE1EEEvT1_: ; @_ZN7rocprim17ROCPRIM_400000_NS6detail17trampoline_kernelINS0_14default_configENS1_27scan_by_key_config_selectorIiiEEZZNS1_16scan_by_key_implILNS1_25lookback_scan_determinismE0ELb0ES3_PKiN6hipcub16HIPCUB_304000_NS21ConstantInputIteratorIilEEPiiNSB_3SumENSB_8EqualityEiEE10hipError_tPvRmT2_T3_T4_T5_mT6_T7_P12ihipStream_tbENKUlT_T0_E_clISt17integral_constantIbLb0EESW_IbLb1EEEEDaSS_ST_EUlSS_E_NS1_11comp_targetILNS1_3genE0ELNS1_11target_archE4294967295ELNS1_3gpuE0ELNS1_3repE0EEENS1_30default_config_static_selectorELNS0_4arch9wavefront6targetE1EEEvT1_
; %bb.0:
	s_load_dword s58, s[0:1], 0x10
	s_load_dwordx2 s[34:35], s[0:1], 0x20
	s_load_dwordx4 s[44:47], s[0:1], 0x30
	s_load_dwordx2 s[50:51], s[0:1], 0x40
	v_cmp_ne_u32_e64 s[4:5], 0, v0
	v_cmp_eq_u32_e64 s[30:31], 0, v0
	s_and_saveexec_b64 s[2:3], s[30:31]
	s_cbranch_execz .LBB43_4
; %bb.1:
	s_mov_b64 s[8:9], exec
	v_mbcnt_lo_u32_b32 v1, s8, 0
	v_mbcnt_hi_u32_b32 v1, s9, v1
	v_cmp_eq_u32_e32 vcc, 0, v1
                                        ; implicit-def: $vgpr2
	s_and_saveexec_b64 s[6:7], vcc
	s_cbranch_execz .LBB43_3
; %bb.2:
	s_load_dwordx2 s[10:11], s[0:1], 0x70
	s_bcnt1_i32_b64 s8, s[8:9]
	v_mov_b32_e32 v2, 0
	v_mov_b32_e32 v3, s8
	s_waitcnt lgkmcnt(0)
	global_atomic_add v2, v2, v3, s[10:11] sc0
.LBB43_3:
	s_or_b64 exec, exec, s[6:7]
	s_waitcnt vmcnt(0)
	v_readfirstlane_b32 s6, v2
	v_mov_b32_e32 v2, 0
	s_nop 0
	v_add_u32_e32 v1, s6, v1
	ds_write_b32 v2, v1
.LBB43_4:
	s_or_b64 exec, exec, s[2:3]
	s_load_dwordx4 s[8:11], s[0:1], 0x0
	s_load_dword s2, s[0:1], 0x48
	s_load_dwordx8 s[36:43], s[0:1], 0x50
	v_mov_b32_e32 v1, 0
	s_waitcnt lgkmcnt(0)
	s_barrier
	ds_read_b32 v2, v1
	s_mul_i32 s0, s51, s2
	s_mul_hi_u32 s1, s50, s2
	s_add_i32 s3, s1, s0
	s_lshl_b64 s[48:49], s[10:11], 2
	s_add_u32 s8, s8, s48
	s_addc_u32 s9, s9, s49
	s_waitcnt lgkmcnt(0)
	v_readfirstlane_b32 s47, v2
	s_cmp_lg_u64 s[40:41], 0
	s_mov_b32 s1, 0
	s_mul_i32 s0, s47, 0xc00
	s_cselect_b64 s[6:7], -1, 0
	s_lshl_b64 s[40:41], s[0:1], 2
	s_add_u32 s0, s8, s40
	s_mul_i32 s2, s50, s2
	s_addc_u32 s1, s9, s41
	s_add_u32 s8, s2, s47
	s_addc_u32 s9, s3, 0
	s_add_u32 s10, s36, -1
	s_addc_u32 s11, s37, -1
	v_mov_b64_e32 v[2:3], s[10:11]
	v_cmp_ge_u64_e64 s[2:3], s[8:9], v[2:3]
	s_mov_b64 s[16:17], 0
	s_mov_b64 s[12:13], -1
	s_and_b64 vcc, exec, s[2:3]
	s_mul_i32 s33, s10, 0xfffff400
	s_barrier
	s_barrier
	s_cbranch_vccz .LBB43_58
; %bb.5:
	global_load_dword v1, v1, s[0:1]
	s_add_i32 s59, s33, s46
	v_cmp_gt_u32_e32 vcc, s59, v0
	s_waitcnt vmcnt(0)
	v_mov_b32_e32 v2, v1
	s_and_saveexec_b64 s[10:11], vcc
	s_cbranch_execz .LBB43_7
; %bb.6:
	v_lshlrev_b32_e32 v2, 2, v0
	global_load_dword v2, v2, s[0:1]
.LBB43_7:
	s_or_b64 exec, exec, s[10:11]
	v_or_b32_e32 v3, 0x100, v0
	v_cmp_gt_u32_e32 vcc, s59, v3
	v_mov_b32_e32 v3, v1
	s_and_saveexec_b64 s[10:11], vcc
	s_cbranch_execz .LBB43_9
; %bb.8:
	v_lshlrev_b32_e32 v3, 2, v0
	global_load_dword v3, v3, s[0:1] offset:1024
.LBB43_9:
	s_or_b64 exec, exec, s[10:11]
	v_or_b32_e32 v4, 0x200, v0
	v_cmp_gt_u32_e32 vcc, s59, v4
	v_mov_b32_e32 v4, v1
	s_and_saveexec_b64 s[10:11], vcc
	s_cbranch_execz .LBB43_11
; %bb.10:
	v_lshlrev_b32_e32 v4, 2, v0
	global_load_dword v4, v4, s[0:1] offset:2048
.LBB43_11:
	;; [unrolled: 10-line block ×3, first 2 shown]
	s_or_b64 exec, exec, s[10:11]
	v_or_b32_e32 v7, 0x400, v0
	v_cmp_gt_u32_e32 vcc, s59, v7
	v_mov_b32_e32 v6, v1
	s_and_saveexec_b64 s[10:11], vcc
	s_cbranch_execz .LBB43_15
; %bb.14:
	v_lshlrev_b32_e32 v6, 2, v7
	global_load_dword v6, v6, s[0:1]
.LBB43_15:
	s_or_b64 exec, exec, s[10:11]
	v_or_b32_e32 v8, 0x500, v0
	v_cmp_gt_u32_e32 vcc, s59, v8
	v_mov_b32_e32 v7, v1
	s_and_saveexec_b64 s[10:11], vcc
	s_cbranch_execz .LBB43_17
; %bb.16:
	v_lshlrev_b32_e32 v7, 2, v8
	global_load_dword v7, v7, s[0:1]
.LBB43_17:
	s_or_b64 exec, exec, s[10:11]
	v_or_b32_e32 v9, 0x600, v0
	v_cmp_gt_u32_e32 vcc, s59, v9
	v_mov_b32_e32 v8, v1
	s_and_saveexec_b64 s[10:11], vcc
	s_cbranch_execz .LBB43_19
; %bb.18:
	v_lshlrev_b32_e32 v8, 2, v9
	global_load_dword v8, v8, s[0:1]
.LBB43_19:
	s_or_b64 exec, exec, s[10:11]
	v_or_b32_e32 v10, 0x700, v0
	v_cmp_gt_u32_e32 vcc, s59, v10
	v_mov_b32_e32 v9, v1
	s_and_saveexec_b64 s[10:11], vcc
	s_cbranch_execz .LBB43_21
; %bb.20:
	v_lshlrev_b32_e32 v9, 2, v10
	global_load_dword v9, v9, s[0:1]
.LBB43_21:
	s_or_b64 exec, exec, s[10:11]
	v_or_b32_e32 v11, 0x800, v0
	v_cmp_gt_u32_e32 vcc, s59, v11
	v_mov_b32_e32 v10, v1
	s_and_saveexec_b64 s[10:11], vcc
	s_cbranch_execz .LBB43_23
; %bb.22:
	v_lshlrev_b32_e32 v10, 2, v11
	global_load_dword v10, v10, s[0:1]
.LBB43_23:
	s_or_b64 exec, exec, s[10:11]
	v_or_b32_e32 v12, 0x900, v0
	v_cmp_gt_u32_e32 vcc, s59, v12
	v_mov_b32_e32 v11, v1
	s_and_saveexec_b64 s[10:11], vcc
	s_cbranch_execz .LBB43_25
; %bb.24:
	v_lshlrev_b32_e32 v11, 2, v12
	global_load_dword v11, v11, s[0:1]
.LBB43_25:
	s_or_b64 exec, exec, s[10:11]
	v_or_b32_e32 v13, 0xa00, v0
	v_cmp_gt_u32_e32 vcc, s59, v13
	v_mov_b32_e32 v12, v1
	s_and_saveexec_b64 s[10:11], vcc
	s_cbranch_execz .LBB43_27
; %bb.26:
	v_lshlrev_b32_e32 v12, 2, v13
	global_load_dword v12, v12, s[0:1]
.LBB43_27:
	s_or_b64 exec, exec, s[10:11]
	v_or_b32_e32 v13, 0xb00, v0
	v_cmp_gt_u32_e32 vcc, s59, v13
	s_and_saveexec_b64 s[10:11], vcc
	s_cbranch_execz .LBB43_29
; %bb.28:
	v_lshlrev_b32_e32 v1, 2, v13
	global_load_dword v1, v1, s[0:1]
.LBB43_29:
	s_or_b64 exec, exec, s[10:11]
	v_lshlrev_b32_e32 v14, 2, v0
	v_mad_u32_u24 v18, v0, 44, v14
	s_waitcnt vmcnt(0)
	ds_write2st64_b32 v14, v2, v3 offset1:4
	ds_write2st64_b32 v14, v4, v5 offset0:8 offset1:12
	ds_write2st64_b32 v14, v6, v7 offset0:16 offset1:20
	ds_write2st64_b32 v14, v8, v9 offset0:24 offset1:28
	ds_write2st64_b32 v14, v10, v11 offset0:32 offset1:36
	ds_write2st64_b32 v14, v12, v1 offset0:40 offset1:44
	s_waitcnt lgkmcnt(0)
	s_barrier
	ds_read_b128 v[10:13], v18
	ds_read_b128 v[6:9], v18 offset:16
	ds_read_b128 v[2:5], v18 offset:32
	s_cmp_eq_u64 s[8:9], 0
	s_mov_b64 s[10:11], s[0:1]
	s_cbranch_scc1 .LBB43_33
; %bb.30:
	s_add_u32 s10, s0, -4
	s_addc_u32 s11, s1, -1
	s_andn2_b64 vcc, exec, s[6:7]
	s_cbranch_vccnz .LBB43_32
; %bb.31:
	s_lshl_b64 s[10:11], s[8:9], 2
	s_add_u32 s10, s42, s10
	s_addc_u32 s11, s43, s11
	s_add_u32 s10, s10, -4
	s_addc_u32 s11, s11, -1
	s_mov_b64 s[12:13], 0
.LBB43_32:
	s_andn2_b64 vcc, exec, s[12:13]
.LBB43_33:
	v_mov_b32_e32 v1, 0
	global_load_dword v1, v1, s[10:11]
	s_movk_i32 s10, 0xffd4
	v_mad_i32_i24 v15, v0, s10, v18
	s_waitcnt lgkmcnt(0)
	ds_write_b32 v15, v5 offset:12288
	s_waitcnt lgkmcnt(0)
	s_barrier
	s_and_saveexec_b64 s[10:11], s[4:5]
	s_cbranch_execz .LBB43_35
; %bb.34:
	s_waitcnt vmcnt(0)
	v_mul_i32_i24_e32 v1, 0xffffffd4, v0
	v_add_u32_e32 v1, v18, v1
	ds_read_b32 v1, v1 offset:12284
.LBB43_35:
	s_or_b64 exec, exec, s[10:11]
	v_mul_u32_u24_e32 v19, 12, v0
	v_mov_b32_e32 v15, s58
	s_waitcnt lgkmcnt(0)
	s_barrier
	ds_write2st64_b32 v14, v15, v15 offset1:4
	ds_write2st64_b32 v14, v15, v15 offset0:8 offset1:12
	ds_write2st64_b32 v14, v15, v15 offset0:16 offset1:20
	;; [unrolled: 1-line block ×5, first 2 shown]
	v_cmp_gt_u32_e32 vcc, s59, v19
	s_mov_b64 s[12:13], 0
	v_mov_b64_e32 v[16:17], 0
	v_mov_b64_e32 v[14:15], 0
	;; [unrolled: 1-line block ×20, first 2 shown]
	s_waitcnt lgkmcnt(0)
	s_barrier
                                        ; implicit-def: $sgpr10_sgpr11
                                        ; implicit-def: $vgpr61
	s_and_saveexec_b64 s[14:15], vcc
	s_cbranch_execz .LBB43_57
; %bb.36:
	ds_read_b32 v16, v18
	s_waitcnt vmcnt(0)
	v_cmp_ne_u32_e32 vcc, v1, v10
	v_or_b32_e32 v1, 1, v19
	s_mov_b64 s[18:19], 0
	v_cndmask_b32_e64 v17, 0, 1, vcc
	v_cmp_gt_u32_e32 vcc, s59, v1
	v_mov_b64_e32 v[14:15], 0
	v_mov_b64_e32 v[42:43], 0
	v_mov_b64_e32 v[44:45], 0
	v_mov_b64_e32 v[46:47], 0
	v_mov_b64_e32 v[48:49], 0
	v_mov_b64_e32 v[50:51], 0
	v_mov_b64_e32 v[52:53], 0
	v_mov_b64_e32 v[54:55], 0
	v_mov_b64_e32 v[56:57], 0
	v_mov_b64_e32 v[36:37], 0
	v_mov_b64_e32 v[34:35], 0
	v_mov_b64_e32 v[32:33], 0
	v_mov_b64_e32 v[30:31], 0
	v_mov_b64_e32 v[28:29], 0
	v_mov_b64_e32 v[26:27], 0
	v_mov_b64_e32 v[24:25], 0
	v_mov_b64_e32 v[22:23], 0
	v_mov_b64_e32 v[20:21], 0
                                        ; implicit-def: $sgpr10_sgpr11
                                        ; implicit-def: $vgpr61
	s_and_saveexec_b64 s[16:17], vcc
	s_cbranch_execz .LBB43_56
; %bb.37:
	ds_read2_b32 v[14:15], v18 offset0:1 offset1:2
	v_cmp_ne_u32_e32 vcc, v10, v11
	v_or_b32_e32 v10, 2, v19
	s_mov_b64 s[20:21], 0
	v_cndmask_b32_e64 v1, 0, 1, vcc
	v_cmp_gt_u32_e32 vcc, s59, v10
	v_mov_b64_e32 v[42:43], 0
	v_mov_b64_e32 v[44:45], 0
	;; [unrolled: 1-line block ×16, first 2 shown]
                                        ; implicit-def: $sgpr10_sgpr11
                                        ; implicit-def: $vgpr61
	s_and_saveexec_b64 s[18:19], vcc
	s_cbranch_execz .LBB43_55
; %bb.38:
	v_cmp_ne_u32_e32 vcc, v11, v12
	v_or_b32_e32 v10, 3, v19
	s_mov_b64 s[22:23], 0
	v_cndmask_b32_e64 v43, 0, 1, vcc
	v_cmp_gt_u32_e32 vcc, s59, v10
	v_mov_b64_e32 v[44:45], 0
	v_mov_b64_e32 v[46:47], 0
	;; [unrolled: 1-line block ×14, first 2 shown]
                                        ; implicit-def: $sgpr10_sgpr11
                                        ; implicit-def: $vgpr61
	s_and_saveexec_b64 s[20:21], vcc
	s_cbranch_execz .LBB43_54
; %bb.39:
	ds_read2_b32 v[44:45], v18 offset0:3 offset1:4
	v_cmp_ne_u32_e32 vcc, v12, v13
	v_add_u32_e32 v11, 4, v19
	s_mov_b64 s[24:25], 0
	v_cndmask_b32_e64 v10, 0, 1, vcc
	v_cmp_gt_u32_e32 vcc, s59, v11
	v_mov_b64_e32 v[46:47], 0
	v_mov_b64_e32 v[48:49], 0
	;; [unrolled: 1-line block ×12, first 2 shown]
                                        ; implicit-def: $sgpr10_sgpr11
                                        ; implicit-def: $vgpr61
	s_and_saveexec_b64 s[22:23], vcc
	s_cbranch_execz .LBB43_53
; %bb.40:
	v_cmp_ne_u32_e32 vcc, v13, v6
	v_add_u32_e32 v11, 5, v19
	s_mov_b64 s[26:27], 0
	v_cndmask_b32_e64 v47, 0, 1, vcc
	v_cmp_gt_u32_e32 vcc, s59, v11
	v_mov_b64_e32 v[48:49], 0
	v_mov_b64_e32 v[50:51], 0
	;; [unrolled: 1-line block ×10, first 2 shown]
                                        ; implicit-def: $sgpr10_sgpr11
                                        ; implicit-def: $vgpr61
	s_and_saveexec_b64 s[24:25], vcc
	s_cbranch_execz .LBB43_52
; %bb.41:
	ds_read2_b32 v[48:49], v18 offset0:5 offset1:6
	v_cmp_ne_u32_e32 vcc, v6, v7
	v_add_u32_e32 v11, 6, v19
	s_mov_b64 s[28:29], 0
	v_cndmask_b32_e64 v6, 0, 1, vcc
	v_cmp_gt_u32_e32 vcc, s59, v11
	v_mov_b64_e32 v[50:51], 0
	v_mov_b64_e32 v[52:53], 0
	v_mov_b64_e32 v[54:55], 0
	v_mov_b64_e32 v[56:57], 0
	v_mov_b64_e32 v[26:27], 0
	v_mov_b64_e32 v[24:25], 0
	v_mov_b64_e32 v[22:23], 0
	v_mov_b64_e32 v[20:21], 0
                                        ; implicit-def: $sgpr10_sgpr11
                                        ; implicit-def: $vgpr61
	s_and_saveexec_b64 s[26:27], vcc
	s_cbranch_execz .LBB43_51
; %bb.42:
	v_cmp_ne_u32_e32 vcc, v7, v8
	v_add_u32_e32 v7, 7, v19
	s_mov_b64 s[36:37], 0
	v_cndmask_b32_e64 v51, 0, 1, vcc
	v_cmp_gt_u32_e32 vcc, s59, v7
	v_mov_b64_e32 v[52:53], 0
	v_mov_b64_e32 v[54:55], 0
	;; [unrolled: 1-line block ×6, first 2 shown]
                                        ; implicit-def: $sgpr10_sgpr11
                                        ; implicit-def: $vgpr61
	s_and_saveexec_b64 s[28:29], vcc
	s_cbranch_execz .LBB43_50
; %bb.43:
	ds_read2_b32 v[52:53], v18 offset0:7 offset1:8
	v_cmp_ne_u32_e32 vcc, v8, v9
	v_add_u32_e32 v8, 8, v19
	s_mov_b64 s[52:53], 0
	v_cndmask_b32_e64 v7, 0, 1, vcc
	v_cmp_gt_u32_e32 vcc, s59, v8
	v_mov_b64_e32 v[54:55], 0
	v_mov_b64_e32 v[56:57], 0
	;; [unrolled: 1-line block ×4, first 2 shown]
                                        ; implicit-def: $sgpr10_sgpr11
                                        ; implicit-def: $vgpr61
	s_and_saveexec_b64 s[36:37], vcc
	s_cbranch_execz .LBB43_49
; %bb.44:
	v_cmp_ne_u32_e32 vcc, v9, v2
	v_add_u32_e32 v8, 9, v19
	s_mov_b64 s[54:55], 0
	v_cndmask_b32_e64 v55, 0, 1, vcc
	v_cmp_gt_u32_e32 vcc, s59, v8
	v_mov_b64_e32 v[56:57], 0
	v_mov_b64_e32 v[20:21], 0
                                        ; implicit-def: $sgpr10_sgpr11
                                        ; implicit-def: $vgpr61
	s_and_saveexec_b64 s[52:53], vcc
	s_cbranch_execz .LBB43_48
; %bb.45:
	ds_read2_b32 v[56:57], v18 offset0:9 offset1:10
	v_cmp_ne_u32_e32 vcc, v2, v3
	v_add_u32_e32 v8, 10, v19
	v_mov_b64_e32 v[20:21], 0
	v_cndmask_b32_e64 v2, 0, 1, vcc
	v_cmp_gt_u32_e32 vcc, s59, v8
                                        ; implicit-def: $sgpr10_sgpr11
                                        ; implicit-def: $vgpr61
	s_and_saveexec_b64 s[56:57], vcc
	s_xor_b64 s[56:57], exec, s[56:57]
	s_cbranch_execz .LBB43_47
; %bb.46:
	ds_read_b32 v61, v18 offset:44
	v_cmp_ne_u32_e32 vcc, v3, v4
	v_add_u32_e32 v3, 11, v19
	v_cmp_ne_u32_e64 s[10:11], v4, v5
	v_cndmask_b32_e64 v21, 0, 1, vcc
	v_cmp_gt_u32_e32 vcc, s59, v3
	s_waitcnt lgkmcnt(1)
	v_mov_b32_e32 v20, v57
	s_and_b64 s[54:55], vcc, exec
.LBB43_47:
	s_or_b64 exec, exec, s[56:57]
	s_waitcnt lgkmcnt(0)
	v_mov_b32_e32 v57, v2
	s_and_b64 s[54:55], s[54:55], exec
.LBB43_48:
	s_or_b64 exec, exec, s[52:53]
	s_waitcnt lgkmcnt(0)
	v_mov_b32_e32 v54, v53
	s_and_b64 s[52:53], s[54:55], exec
	v_mov_b64_e32 v[22:23], v[56:57]
.LBB43_49:
	s_or_b64 exec, exec, s[36:37]
	s_waitcnt lgkmcnt(0)
	v_mov_b32_e32 v53, v7
	s_and_b64 s[36:37], s[52:53], exec
	v_mov_b64_e32 v[24:25], v[54:55]
.LBB43_50:
	s_or_b64 exec, exec, s[28:29]
	s_waitcnt lgkmcnt(0)
	v_mov_b32_e32 v50, v49
	s_and_b64 s[28:29], s[36:37], exec
	v_mov_b64_e32 v[26:27], v[52:53]
.LBB43_51:
	s_or_b64 exec, exec, s[26:27]
	s_waitcnt lgkmcnt(0)
	v_mov_b32_e32 v49, v6
	s_and_b64 s[26:27], s[28:29], exec
	v_mov_b64_e32 v[28:29], v[50:51]
.LBB43_52:
	s_or_b64 exec, exec, s[24:25]
	s_waitcnt lgkmcnt(0)
	v_mov_b32_e32 v46, v45
	s_and_b64 s[24:25], s[26:27], exec
	v_mov_b64_e32 v[30:31], v[48:49]
.LBB43_53:
	s_or_b64 exec, exec, s[22:23]
	s_waitcnt lgkmcnt(0)
	v_mov_b32_e32 v45, v10
	s_and_b64 s[22:23], s[24:25], exec
	v_mov_b64_e32 v[32:33], v[46:47]
.LBB43_54:
	s_or_b64 exec, exec, s[20:21]
	s_waitcnt lgkmcnt(0)
	v_mov_b32_e32 v42, v15
	s_and_b64 s[20:21], s[22:23], exec
	v_mov_b64_e32 v[34:35], v[44:45]
.LBB43_55:
	s_or_b64 exec, exec, s[18:19]
	s_waitcnt lgkmcnt(0)
	v_mov_b32_e32 v15, v1
	s_and_b64 s[18:19], s[20:21], exec
	v_mov_b64_e32 v[36:37], v[42:43]
.LBB43_56:
	s_or_b64 exec, exec, s[16:17]
	s_and_b64 s[16:17], s[18:19], exec
	v_mov_b64_e32 v[38:39], v[14:15]
.LBB43_57:
	s_or_b64 exec, exec, s[14:15]
	s_and_b64 vcc, exec, s[12:13]
	v_lshlrev_b32_e32 v18, 2, v0
	s_cbranch_vccnz .LBB43_59
	s_branch .LBB43_67
.LBB43_58:
                                        ; implicit-def: $sgpr10_sgpr11
                                        ; implicit-def: $vgpr61
                                        ; implicit-def: $vgpr16_vgpr17
                                        ; implicit-def: $vgpr14_vgpr15
                                        ; implicit-def: $vgpr42_vgpr43
                                        ; implicit-def: $vgpr44_vgpr45
                                        ; implicit-def: $vgpr46_vgpr47
                                        ; implicit-def: $vgpr48_vgpr49
                                        ; implicit-def: $vgpr50_vgpr51
                                        ; implicit-def: $vgpr52_vgpr53
                                        ; implicit-def: $vgpr54_vgpr55
                                        ; implicit-def: $vgpr56_vgpr57
                                        ; implicit-def: $vgpr38_vgpr39
                                        ; implicit-def: $vgpr36_vgpr37
                                        ; implicit-def: $vgpr34_vgpr35
                                        ; implicit-def: $vgpr32_vgpr33
                                        ; implicit-def: $vgpr30_vgpr31
                                        ; implicit-def: $vgpr28_vgpr29
                                        ; implicit-def: $vgpr26_vgpr27
                                        ; implicit-def: $vgpr24_vgpr25
                                        ; implicit-def: $vgpr22_vgpr23
                                        ; implicit-def: $vgpr20_vgpr21
	s_and_b64 vcc, exec, s[12:13]
	v_lshlrev_b32_e32 v18, 2, v0
	s_cbranch_vccz .LBB43_67
.LBB43_59:
	v_mov_b32_e32 v19, 0
	v_lshl_add_u64 v[2:3], s[0:1], 0, v[18:19]
	v_add_co_u32_e32 v4, vcc, 0x1000, v2
	global_load_dword v6, v18, s[0:1]
	global_load_dword v7, v18, s[0:1] offset:1024
	global_load_dword v8, v18, s[0:1] offset:2048
	;; [unrolled: 1-line block ×3, first 2 shown]
	v_addc_co_u32_e32 v5, vcc, 0, v3, vcc
	v_add_co_u32_e32 v2, vcc, 0x2000, v2
	s_waitcnt vmcnt(4)
	v_mad_u32_u24 v1, v0, 44, v18
	v_addc_co_u32_e32 v3, vcc, 0, v3, vcc
	global_load_dword v10, v[4:5], off
	global_load_dword v11, v[4:5], off offset:1024
	global_load_dword v12, v[4:5], off offset:2048
	;; [unrolled: 1-line block ×3, first 2 shown]
	global_load_dword v14, v[2:3], off
	global_load_dword v15, v[2:3], off offset:1024
	s_waitcnt lgkmcnt(0)
	global_load_dword v16, v[2:3], off offset:2048
	global_load_dword v17, v[2:3], off offset:3072
	s_cmp_eq_u64 s[8:9], 0
	s_waitcnt vmcnt(10)
	ds_write2st64_b32 v18, v6, v7 offset1:4
	s_waitcnt vmcnt(8)
	ds_write2st64_b32 v18, v8, v9 offset0:8 offset1:12
	s_waitcnt vmcnt(6)
	ds_write2st64_b32 v18, v10, v11 offset0:16 offset1:20
	;; [unrolled: 2-line block ×5, first 2 shown]
	s_waitcnt lgkmcnt(0)
	s_barrier
	ds_read_b128 v[10:13], v1
	ds_read_b128 v[6:9], v1 offset:16
	ds_read_b128 v[2:5], v1 offset:32
	s_cbranch_scc1 .LBB43_64
; %bb.60:
	s_add_u32 s0, s0, -4
	s_addc_u32 s1, s1, -1
	s_andn2_b64 vcc, exec, s[6:7]
	s_cbranch_vccnz .LBB43_62
; %bb.61:
	s_lshl_b64 s[0:1], s[8:9], 2
	s_add_u32 s0, s42, s0
	s_addc_u32 s1, s43, s1
	s_add_u32 s0, s0, -4
	s_addc_u32 s1, s1, -1
	s_mov_b64 s[6:7], 0
	s_branch .LBB43_63
.LBB43_62:
	s_mov_b64 s[6:7], -1
.LBB43_63:
	s_andn2_b64 vcc, exec, s[6:7]
.LBB43_64:
	global_load_dword v14, v19, s[0:1]
	s_movk_i32 s0, 0xffd4
	v_mad_i32_i24 v15, v0, s0, v1
	s_waitcnt lgkmcnt(0)
	ds_write_b32 v15, v5 offset:12288
	s_waitcnt lgkmcnt(0)
	s_barrier
	s_and_saveexec_b64 s[0:1], s[4:5]
	s_cbranch_execz .LBB43_66
; %bb.65:
	s_waitcnt vmcnt(0)
	v_mul_i32_i24_e32 v14, 0xffffffd4, v0
	v_add_u32_e32 v14, v1, v14
	ds_read_b32 v14, v14 offset:12284
.LBB43_66:
	s_or_b64 exec, exec, s[0:1]
	s_waitcnt vmcnt(0) lgkmcnt(0)
	v_cmp_ne_u32_e32 vcc, v14, v10
	v_cmp_ne_u32_e64 s[10:11], v4, v5
	v_mov_b32_e32 v5, s58
	v_cndmask_b32_e64 v17, 0, 1, vcc
	v_cmp_ne_u32_e32 vcc, v10, v11
	s_barrier
	s_nop 0
	v_cndmask_b32_e64 v15, 0, 1, vcc
	v_cmp_ne_u32_e32 vcc, v11, v12
	ds_write2st64_b32 v18, v5, v5 offset1:4
	ds_write2st64_b32 v18, v5, v5 offset0:8 offset1:12
	ds_write2st64_b32 v18, v5, v5 offset0:16 offset1:20
	;; [unrolled: 1-line block ×5, first 2 shown]
	v_cndmask_b32_e64 v43, 0, 1, vcc
	v_cmp_ne_u32_e32 vcc, v12, v13
	s_waitcnt lgkmcnt(0)
	s_barrier
	v_cndmask_b32_e64 v45, 0, 1, vcc
	v_cmp_ne_u32_e32 vcc, v13, v6
	ds_read_b128 v[20:23], v1
	ds_read_b128 v[24:27], v1 offset:16
	ds_read_b128 v[58:61], v1 offset:32
	v_cndmask_b32_e64 v47, 0, 1, vcc
	v_cmp_ne_u32_e32 vcc, v6, v7
	s_waitcnt lgkmcnt(2)
	v_mov_b32_e32 v14, v21
	v_mov_b32_e32 v42, v22
	v_cndmask_b32_e64 v49, 0, 1, vcc
	v_cmp_ne_u32_e32 vcc, v7, v8
	v_mov_b32_e32 v44, v23
	s_waitcnt lgkmcnt(1)
	v_mov_b32_e32 v46, v24
	v_cndmask_b32_e64 v51, 0, 1, vcc
	v_cmp_ne_u32_e32 vcc, v8, v9
	v_mov_b32_e32 v48, v25
	v_mov_b32_e32 v50, v26
	v_cndmask_b32_e64 v53, 0, 1, vcc
	v_cmp_ne_u32_e32 vcc, v9, v2
	v_mov_b32_e32 v52, v27
	s_waitcnt lgkmcnt(0)
	v_mov_b32_e32 v54, v58
	v_cndmask_b32_e64 v55, 0, 1, vcc
	v_cmp_ne_u32_e32 vcc, v2, v3
	v_mov_b32_e32 v56, v59
	v_mov_b32_e32 v16, v20
	v_cndmask_b32_e64 v57, 0, 1, vcc
	v_cmp_ne_u32_e32 vcc, v3, v4
	v_mov_b32_e32 v20, v60
	s_mov_b64 s[16:17], -1
	v_cndmask_b32_e64 v21, 0, 1, vcc
	v_mov_b64_e32 v[38:39], v[14:15]
	v_mov_b64_e32 v[36:37], v[42:43]
	;; [unrolled: 1-line block ×9, first 2 shown]
.LBB43_67:
	v_mov_b64_e32 v[40:41], 0
	s_and_saveexec_b64 s[0:1], s[16:17]
	s_cbranch_execz .LBB43_69
; %bb.68:
	v_cndmask_b32_e64 v41, 0, 1, s[10:11]
	v_mov_b32_e32 v40, v61
	v_mov_b64_e32 v[22:23], v[56:57]
	v_mov_b64_e32 v[24:25], v[54:55]
	;; [unrolled: 1-line block ×9, first 2 shown]
.LBB43_69:
	s_or_b64 exec, exec, s[0:1]
	s_mov_b32 s0, 0
	s_cmp_lg_u32 s47, 0
	v_or_b32_e32 v42, v27, v25
	v_or_b32_e32 v19, v23, v21
	s_waitcnt vmcnt(0)
	v_lshrrev_b32_e32 v1, 2, v0
	v_cmp_gt_u32_e32 vcc, 64, v0
	s_waitcnt lgkmcnt(0)
	s_barrier
	s_cbranch_scc0 .LBB43_99
; %bb.70:
	s_mov_b32 s1, 1
	v_cmp_gt_u64_e64 s[6:7], s[0:1], v[38:39]
	v_cmp_gt_u64_e64 s[8:9], s[0:1], v[36:37]
	v_cmp_gt_u64_e64 s[10:11], s[0:1], v[34:35]
	v_cndmask_b32_e64 v2, 0, v16, s[6:7]
	v_add_u32_e32 v2, v2, v38
	v_cndmask_b32_e64 v2, 0, v2, s[8:9]
	v_add_u32_e32 v2, v2, v36
	v_cndmask_b32_e64 v2, 0, v2, s[10:11]
	v_add_u32_e32 v2, v2, v34
	v_cmp_gt_u64_e64 s[12:13], s[0:1], v[32:33]
	v_cmp_gt_u64_e64 s[14:15], s[0:1], v[30:31]
	v_cmp_gt_u64_e64 s[16:17], s[0:1], v[28:29]
	v_cndmask_b32_e64 v2, 0, v2, s[12:13]
	v_add_u32_e32 v2, v2, v32
	v_cndmask_b32_e64 v2, 0, v2, s[14:15]
	v_add_u32_e32 v2, v2, v30
	v_cndmask_b32_e64 v2, 0, v2, s[16:17]
	v_add_u32_e32 v2, v2, v28
	;; [unrolled: 9-line block ×3, first 2 shown]
	v_cmp_gt_u64_e64 s[24:25], s[0:1], v[20:21]
	v_or3_b32 v3, v42, v29, v31
	v_or3_b32 v3, v3, v33, v35
	v_cndmask_b32_e64 v2, 0, v2, s[24:25]
	v_add_u32_e32 v2, v2, v20
	v_cmp_gt_u64_e64 s[26:27], s[0:1], v[40:41]
	v_or3_b32 v3, v3, v37, v39
	s_nop 0
	v_cndmask_b32_e64 v2, 0, v2, s[26:27]
	v_add_u32_e32 v14, v2, v40
	v_or3_b32 v2, v41, v19, v3
	v_and_b32_e32 v3, 0xff, v2
	v_mov_b32_e32 v2, 0
	v_cmp_eq_u64_e64 s[0:1], 0, v[2:3]
	v_and_b32_e32 v2, 56, v1
	v_lshl_add_u32 v2, v0, 3, v2
	v_cndmask_b32_e64 v15, 1, v17, s[0:1]
	ds_write_b32 v2, v14
	ds_write_b8 v2, v15 offset:4
	s_waitcnt lgkmcnt(0)
	s_barrier
	s_and_saveexec_b64 s[28:29], vcc
	s_cbranch_execz .LBB43_82
; %bb.71:
	v_and_b32_e32 v2, 0xf8, v0
	v_lshlrev_b32_e32 v3, 5, v0
	v_add_u32_e32 v4, v2, v3
	ds_read2_b32 v[6:7], v4 offset0:2 offset1:4
	ds_read_b64 v[2:3], v4
	ds_read_u8 v8, v4 offset:12
	ds_read_u8 v9, v4 offset:20
	ds_read_b32 v10, v4 offset:24
	ds_read_u8 v11, v4 offset:28
	s_waitcnt lgkmcnt(4)
	v_and_b32_e32 v5, 1, v3
	s_waitcnt lgkmcnt(3)
	v_cmp_eq_u16_e64 s[0:1], 0, v8
	s_nop 1
	v_cndmask_b32_e64 v12, 0, v2, s[0:1]
	v_add_u32_e32 v6, v12, v6
	s_waitcnt lgkmcnt(2)
	v_cmp_eq_u16_e64 s[0:1], 0, v9
	s_nop 1
	v_cndmask_b32_e64 v6, 0, v6, s[0:1]
	v_add_u32_e32 v6, v6, v7
	v_or_b32_e32 v7, v9, v8
	v_cmp_eq_u16_e64 s[0:1], 0, v7
	s_nop 1
	v_cndmask_b32_e64 v8, 1, v5, s[0:1]
	s_waitcnt lgkmcnt(0)
	v_cmp_eq_u16_e64 s[0:1], 0, v11
	s_nop 1
	v_cndmask_b32_e64 v6, 0, v6, s[0:1]
	v_add_u32_e32 v7, v6, v10
	v_and_b32_e32 v6, 1, v11
	v_cmp_eq_u32_e64 s[0:1], 1, v6
	v_and_b32_e32 v6, 0xffffff00, v3
	v_mov_b32_dpp v12, v7 row_shr:1 row_mask:0xf bank_mask:0xf
	v_cndmask_b32_e64 v9, v8, 1, s[0:1]
	v_mbcnt_lo_u32_b32 v8, -1, 0
	v_mbcnt_hi_u32_b32 v8, -1, v8
	v_and_b32_e32 v11, 15, v8
	v_or_b32_sdwa v10, v6, v9 dst_sel:DWORD dst_unused:UNUSED_PAD src0_sel:DWORD src1_sel:WORD_0
	v_cmp_ne_u32_e64 s[0:1], 0, v11
	s_nop 0
	v_mov_b32_dpp v13, v10 row_shr:1 row_mask:0xf bank_mask:0xf
	s_and_saveexec_b64 s[36:37], s[0:1]
; %bb.72:
	v_and_b32_e32 v10, 1, v9
	v_and_b32_e32 v13, 1, v13
	v_cmp_eq_u32_e64 s[0:1], 1, v10
	s_nop 1
	v_cndmask_b32_e64 v13, v13, 1, s[0:1]
	v_cmp_eq_u16_e64 s[0:1], 0, v9
	v_or_b32_sdwa v10, v6, v13 dst_sel:DWORD dst_unused:UNUSED_PAD src0_sel:DWORD src1_sel:WORD_0
	s_nop 0
	v_cndmask_b32_e64 v9, 0, v12, s[0:1]
	v_add_u32_e32 v7, v9, v7
	v_mov_b32_e32 v9, v13
; %bb.73:
	s_or_b64 exec, exec, s[36:37]
	v_mov_b32_dpp v12, v7 row_shr:2 row_mask:0xf bank_mask:0xf
	v_mov_b32_dpp v13, v10 row_shr:2 row_mask:0xf bank_mask:0xf
	v_cmp_lt_u32_e64 s[0:1], 1, v11
	s_and_saveexec_b64 s[36:37], s[0:1]
; %bb.74:
	v_and_b32_e32 v10, 1, v9
	v_and_b32_e32 v13, 1, v13
	v_cmp_eq_u32_e64 s[0:1], 1, v10
	s_nop 1
	v_cndmask_b32_e64 v13, v13, 1, s[0:1]
	v_cmp_eq_u16_e64 s[0:1], 0, v9
	v_or_b32_sdwa v10, v6, v13 dst_sel:DWORD dst_unused:UNUSED_PAD src0_sel:DWORD src1_sel:WORD_0
	s_nop 0
	v_cndmask_b32_e64 v9, 0, v12, s[0:1]
	v_add_u32_e32 v7, v9, v7
	v_mov_b32_e32 v9, v13
; %bb.75:
	s_or_b64 exec, exec, s[36:37]
	v_mov_b32_dpp v12, v7 row_shr:4 row_mask:0xf bank_mask:0xf
	v_mov_b32_dpp v13, v10 row_shr:4 row_mask:0xf bank_mask:0xf
	v_cmp_lt_u32_e64 s[0:1], 3, v11
	;; [unrolled: 18-line block ×3, first 2 shown]
	s_and_saveexec_b64 s[36:37], s[0:1]
; %bb.78:
	v_and_b32_e32 v10, 1, v9
	v_and_b32_e32 v11, 1, v13
	v_cmp_eq_u32_e64 s[0:1], 1, v10
	s_nop 1
	v_cndmask_b32_e64 v11, v11, 1, s[0:1]
	v_cmp_eq_u16_e64 s[0:1], 0, v9
	v_or_b32_sdwa v10, v6, v11 dst_sel:DWORD dst_unused:UNUSED_PAD src0_sel:DWORD src1_sel:WORD_0
	s_nop 0
	v_cndmask_b32_e64 v9, 0, v12, s[0:1]
	v_add_u32_e32 v7, v9, v7
	v_mov_b32_e32 v9, v11
; %bb.79:
	s_or_b64 exec, exec, s[36:37]
	v_and_b32_e32 v13, 16, v8
	v_mov_b32_dpp v11, v7 row_bcast:15 row_mask:0xf bank_mask:0xf
	v_mov_b32_dpp v12, v10 row_bcast:15 row_mask:0xf bank_mask:0xf
	v_cmp_ne_u32_e64 s[0:1], 0, v13
	s_and_saveexec_b64 s[36:37], s[0:1]
; %bb.80:
	v_and_b32_e32 v10, 1, v9
	v_and_b32_e32 v12, 1, v12
	v_cmp_eq_u32_e64 s[0:1], 1, v10
	s_nop 1
	v_cndmask_b32_e64 v12, v12, 1, s[0:1]
	v_cmp_eq_u16_e64 s[0:1], 0, v9
	v_or_b32_sdwa v10, v6, v12 dst_sel:DWORD dst_unused:UNUSED_PAD src0_sel:DWORD src1_sel:WORD_0
	s_nop 0
	v_cndmask_b32_e64 v9, 0, v11, s[0:1]
	v_add_u32_e32 v7, v9, v7
	v_mov_b32_e32 v9, v12
; %bb.81:
	s_or_b64 exec, exec, s[36:37]
	v_mov_b32_dpp v10, v10 row_bcast:31 row_mask:0xf bank_mask:0xf
	v_and_b32_e32 v12, 1, v9
	v_and_b32_e32 v10, 1, v10
	v_cmp_eq_u32_e64 s[0:1], 1, v12
	v_mov_b32_e32 v12, 0
	v_cmp_eq_u16_sdwa s[36:37], v9, v12 src0_sel:BYTE_0 src1_sel:DWORD
	v_cndmask_b32_e64 v10, v10, 1, s[0:1]
	v_cmp_lt_u32_e64 s[0:1], 31, v8
	v_mov_b32_dpp v11, v7 row_bcast:31 row_mask:0xf bank_mask:0xf
	s_movk_i32 s42, 0xff
	v_cndmask_b32_e64 v9, v9, v10, s[0:1]
	s_and_b64 s[0:1], s[0:1], s[36:37]
	v_cndmask_b32_e64 v10, 0, v11, s[0:1]
	v_add_u32_e32 v7, v10, v7
	v_add_u32_e32 v10, -1, v8
	v_and_b32_e32 v11, 64, v8
	v_cmp_lt_i32_e64 s[0:1], v10, v11
	v_and_or_b32 v6, v9, s42, v6
	s_nop 0
	v_cndmask_b32_e64 v8, v10, v8, s[0:1]
	v_lshlrev_b32_e32 v8, 2, v8
	ds_bpermute_b32 v7, v8, v7
	ds_bpermute_b32 v6, v8, v6
	v_cmp_eq_u16_sdwa s[0:1], v3, v12 src0_sel:BYTE_0 src1_sel:DWORD
	; wave barrier
	s_waitcnt lgkmcnt(1)
	s_nop 0
	v_cndmask_b32_e64 v3, 0, v7, s[0:1]
	v_add_u32_e32 v2, v3, v2
	s_waitcnt lgkmcnt(0)
	v_and_b32_e32 v3, 1, v6
	v_cmp_eq_u32_e64 s[0:1], 1, v5
	v_cndmask_b32_e64 v5, v2, v14, s[30:31]
	s_nop 0
	v_cndmask_b32_e64 v3, v3, 1, s[0:1]
	v_cndmask_b32_e64 v6, v3, v15, s[30:31]
	ds_write_b32 v4, v5
	ds_write_b8 v4, v6 offset:4
	; wave barrier
	ds_read_u8 v7, v4 offset:12
	ds_read2_b32 v[2:3], v4 offset0:2 offset1:4
	ds_read_u8 v8, v4 offset:20
	ds_read_b32 v9, v4 offset:24
	ds_read_u8 v10, v4 offset:28
	s_waitcnt lgkmcnt(4)
	v_cmp_eq_u16_e64 s[0:1], 0, v7
	s_nop 1
	v_cndmask_b32_e64 v5, 0, v5, s[0:1]
	s_waitcnt lgkmcnt(3)
	v_add_u32_e32 v2, v5, v2
	v_and_b32_e32 v5, 1, v7
	v_cmp_eq_u32_e64 s[0:1], 1, v5
	s_nop 1
	v_cndmask_b32_e64 v5, v6, 1, s[0:1]
	s_waitcnt lgkmcnt(2)
	v_cmp_eq_u16_e64 s[0:1], 0, v8
	ds_write_b8 v4, v5 offset:12
	s_nop 0
	v_cndmask_b32_e64 v6, 0, v2, s[0:1]
	v_add_u32_e32 v3, v6, v3
	v_and_b32_e32 v6, 1, v8
	v_cmp_eq_u32_e64 s[0:1], 1, v6
	s_nop 1
	v_cndmask_b32_e64 v5, v5, 1, s[0:1]
	s_waitcnt lgkmcnt(1)
	v_cmp_eq_u16_e64 s[0:1], 0, v10
	ds_write2_b32 v4, v2, v3 offset0:2 offset1:4
	ds_write_b8 v4, v5 offset:20
	v_cndmask_b32_e64 v2, 0, v3, s[0:1]
	v_and_b32_e32 v3, 1, v10
	v_add_u32_e32 v2, v2, v9
	v_cmp_eq_u32_e64 s[0:1], 1, v3
	s_nop 1
	v_cndmask_b32_e64 v3, v5, 1, s[0:1]
	ds_write_b32 v4, v2 offset:24
	ds_write_b8 v4, v3 offset:28
.LBB43_82:
	s_or_b64 exec, exec, s[28:29]
	s_waitcnt lgkmcnt(0)
	s_barrier
	s_and_saveexec_b64 s[0:1], s[4:5]
	s_cbranch_execz .LBB43_84
; %bb.83:
	v_add_u32_e32 v2, -1, v0
	v_lshrrev_b32_e32 v3, 2, v2
	v_and_b32_e32 v3, 0x3ffffff8, v3
	v_lshl_add_u32 v2, v2, 3, v3
	ds_read_b32 v14, v2
	ds_read_u8 v15, v2 offset:4
.LBB43_84:
	s_or_b64 exec, exec, s[0:1]
	s_and_saveexec_b64 s[36:37], vcc
	s_cbranch_execz .LBB43_104
; %bb.85:
	v_mov_b32_e32 v5, 0
	ds_read_b64 v[2:3], v5 offset:2096
	v_mbcnt_lo_u32_b32 v4, -1, 0
	v_mbcnt_hi_u32_b32 v53, -1, v4
	s_mov_b32 s43, 0
	v_cmp_eq_u32_e64 s[28:29], 0, v53
	s_and_saveexec_b64 s[0:1], s[28:29]
	s_cbranch_execz .LBB43_87
; %bb.86:
	s_add_i32 s42, s47, 64
	s_lshl_b64 s[42:43], s[42:43], 4
	s_add_u32 s42, s44, s42
	s_addc_u32 s43, s45, s43
	v_mov_b32_e32 v4, 1
	v_mov_b64_e32 v[6:7], s[42:43]
	s_waitcnt lgkmcnt(0)
	;;#ASMSTART
	global_store_dwordx4 v[6:7], v[2:5] off sc1	
s_waitcnt vmcnt(0)
	;;#ASMEND
.LBB43_87:
	s_or_b64 exec, exec, s[0:1]
	v_xad_u32 v10, v53, -1, s47
	v_add_u32_e32 v4, 64, v10
	v_lshl_add_u64 v[12:13], v[4:5], 4, s[44:45]
	;;#ASMSTART
	global_load_dwordx4 v[6:9], v[12:13] off sc1	
s_waitcnt vmcnt(0)
	;;#ASMEND
	s_nop 0
	v_and_b32_e32 v7, 0xff, v7
	v_cmp_eq_u16_sdwa s[42:43], v8, v5 src0_sel:BYTE_0 src1_sel:DWORD
	s_and_saveexec_b64 s[0:1], s[42:43]
	s_cbranch_execz .LBB43_91
; %bb.88:
	s_mov_b64 s[42:43], 0
	v_mov_b32_e32 v4, 0
.LBB43_89:                              ; =>This Inner Loop Header: Depth=1
	;;#ASMSTART
	global_load_dwordx4 v[6:9], v[12:13] off sc1	
s_waitcnt vmcnt(0)
	;;#ASMEND
	s_nop 0
	v_cmp_ne_u16_sdwa s[52:53], v8, v4 src0_sel:BYTE_0 src1_sel:DWORD
	s_or_b64 s[42:43], s[52:53], s[42:43]
	s_andn2_b64 exec, exec, s[42:43]
	s_cbranch_execnz .LBB43_89
; %bb.90:
	s_or_b64 exec, exec, s[42:43]
	v_and_b32_e32 v7, 0xff, v7
.LBB43_91:
	s_or_b64 exec, exec, s[0:1]
	v_mov_b32_e32 v43, 2
	v_cmp_eq_u16_sdwa s[0:1], v8, v43 src0_sel:BYTE_0 src1_sel:DWORD
	v_lshlrev_b64 v[4:5], v53, -1
	v_and_b32_e32 v44, 63, v53
	v_and_b32_e32 v9, s1, v5
	v_or_b32_e32 v9, 0x80000000, v9
	v_and_b32_e32 v11, s0, v4
	v_ffbl_b32_e32 v9, v9
	v_add_u32_e32 v9, 32, v9
	v_ffbl_b32_e32 v11, v11
	v_cmp_ne_u32_e32 vcc, 63, v44
	v_min_u32_e32 v9, v11, v9
	s_mov_b32 s42, 0
	v_addc_co_u32_e32 v11, vcc, 0, v53, vcc
	v_lshlrev_b32_e32 v45, 2, v11
	ds_bpermute_b32 v11, v45, v7
	ds_bpermute_b32 v12, v45, v6
	v_and_b32_e32 v13, 1, v7
	s_mov_b32 s43, 1
	v_cmp_eq_u32_e32 vcc, 1, v13
	s_waitcnt lgkmcnt(1)
	v_and_b32_e32 v11, 1, v11
	v_cmp_lt_u32_e64 s[0:1], v44, v9
	v_cndmask_b32_e64 v11, v11, 1, vcc
	v_cmp_gt_u64_e32 vcc, s[42:43], v[6:7]
	s_and_b64 vcc, s[0:1], vcc
	v_and_b32_e32 v13, 0xffff, v11
	v_cndmask_b32_e64 v48, v7, v11, s[0:1]
	s_waitcnt lgkmcnt(0)
	v_cndmask_b32_e32 v11, 0, v12, vcc
	v_cmp_gt_u32_e32 vcc, 62, v44
	v_cndmask_b32_e64 v7, v7, v13, s[0:1]
	v_add_u32_e32 v6, v11, v6
	v_cndmask_b32_e64 v12, 0, 2, vcc
	v_add_lshl_u32 v46, v12, v53, 2
	ds_bpermute_b32 v12, v46, v7
	ds_bpermute_b32 v13, v46, v6
	v_and_b32_e32 v11, 1, v48
	v_cmp_eq_u32_e32 vcc, 1, v11
	v_mov_b32_e32 v11, 0
	s_waitcnt lgkmcnt(1)
	v_and_b32_e32 v12, 1, v12
	v_add_u32_e32 v47, 2, v44
	v_cndmask_b32_e64 v12, v12, 1, vcc
	v_cmp_eq_u16_sdwa vcc, v48, v11 src0_sel:BYTE_0 src1_sel:DWORD
	v_and_b32_e32 v49, 0xffff, v12
	v_add_u32_e32 v57, 32, v44
	s_waitcnt lgkmcnt(0)
	v_cndmask_b32_e32 v13, 0, v13, vcc
	v_cmp_gt_u32_e32 vcc, v47, v9
	s_nop 1
	v_cndmask_b32_e32 v12, v12, v48, vcc
	v_cndmask_b32_e64 v13, v13, 0, vcc
	v_cndmask_b32_e32 v7, v49, v7, vcc
	v_cmp_gt_u32_e32 vcc, 60, v44
	v_add_u32_e32 v6, v13, v6
	v_and_b32_e32 v51, 1, v12
	v_cndmask_b32_e64 v48, 0, 4, vcc
	v_add_lshl_u32 v48, v48, v53, 2
	ds_bpermute_b32 v50, v48, v7
	ds_bpermute_b32 v13, v48, v6
	v_cmp_eq_u32_e32 vcc, 1, v51
	v_add_u32_e32 v49, 4, v44
	s_waitcnt lgkmcnt(1)
	v_and_b32_e32 v50, 1, v50
	v_cndmask_b32_e64 v50, v50, 1, vcc
	v_cmp_eq_u16_sdwa vcc, v12, v11 src0_sel:BYTE_0 src1_sel:DWORD
	v_and_b32_e32 v51, 0xffff, v50
	s_waitcnt lgkmcnt(0)
	v_cndmask_b32_e32 v13, 0, v13, vcc
	v_cmp_gt_u32_e32 vcc, v49, v9
	s_nop 1
	v_cndmask_b32_e32 v12, v50, v12, vcc
	v_cndmask_b32_e64 v13, v13, 0, vcc
	v_cndmask_b32_e32 v7, v51, v7, vcc
	v_cmp_gt_u32_e32 vcc, 56, v44
	v_add_u32_e32 v6, v13, v6
	v_and_b32_e32 v54, 1, v12
	v_cndmask_b32_e64 v50, 0, 8, vcc
	v_add_lshl_u32 v50, v50, v53, 2
	ds_bpermute_b32 v52, v50, v7
	ds_bpermute_b32 v13, v50, v6
	v_cmp_eq_u32_e32 vcc, 1, v54
	v_add_u32_e32 v51, 8, v44
	s_waitcnt lgkmcnt(1)
	v_and_b32_e32 v52, 1, v52
	v_cndmask_b32_e64 v52, v52, 1, vcc
	v_cmp_eq_u16_sdwa vcc, v12, v11 src0_sel:BYTE_0 src1_sel:DWORD
	v_and_b32_e32 v54, 0xffff, v52
	;; [unrolled: 21-line block ×3, first 2 shown]
	s_waitcnt lgkmcnt(0)
	v_cndmask_b32_e32 v13, 0, v13, vcc
	v_cmp_gt_u32_e32 vcc, v54, v9
	s_nop 1
	v_cndmask_b32_e32 v12, v55, v12, vcc
	v_mov_b32_e32 v55, 0x80
	v_cndmask_b32_e32 v7, v56, v7, vcc
	v_lshl_or_b32 v56, v53, 2, v55
	v_cndmask_b32_e64 v13, v13, 0, vcc
	ds_bpermute_b32 v7, v56, v7
	v_add_u32_e32 v6, v13, v6
	ds_bpermute_b32 v13, v56, v6
	v_and_b32_e32 v53, 1, v12
	v_cmp_eq_u32_e32 vcc, 1, v53
	s_waitcnt lgkmcnt(1)
	v_and_b32_e32 v7, 1, v7
	v_cndmask_b32_e64 v7, v7, 1, vcc
	v_cmp_eq_u16_sdwa vcc, v12, v11 src0_sel:BYTE_0 src1_sel:DWORD
	s_waitcnt lgkmcnt(0)
	s_nop 0
	v_cndmask_b32_e32 v13, 0, v13, vcc
	v_cmp_gt_u32_e32 vcc, v57, v9
	s_nop 1
	v_cndmask_b32_e64 v9, v13, 0, vcc
	v_cndmask_b32_e32 v7, v7, v12, vcc
	v_add_u32_e32 v6, v9, v6
	s_branch .LBB43_95
.LBB43_92:                              ;   in Loop: Header=BB43_95 Depth=1
	s_or_b64 exec, exec, s[52:53]
	v_and_b32_e32 v7, 0xff, v7
.LBB43_93:                              ;   in Loop: Header=BB43_95 Depth=1
	s_or_b64 exec, exec, s[0:1]
	v_cmp_eq_u16_sdwa s[0:1], v8, v43 src0_sel:BYTE_0 src1_sel:DWORD
	ds_bpermute_b32 v13, v45, v7
	v_and_b32_e32 v58, 1, v7
	v_and_b32_e32 v9, s1, v5
	v_or_b32_e32 v9, 0x80000000, v9
	v_and_b32_e32 v12, s0, v4
	v_ffbl_b32_e32 v9, v9
	v_add_u32_e32 v9, 32, v9
	v_ffbl_b32_e32 v12, v12
	v_min_u32_e32 v9, v12, v9
	ds_bpermute_b32 v12, v45, v6
	s_waitcnt lgkmcnt(1)
	v_and_b32_e32 v13, 1, v13
	v_cmp_eq_u32_e32 vcc, 1, v58
	v_cmp_lt_u32_e64 s[0:1], v44, v9
	v_subrev_u32_e32 v10, 64, v10
	v_cndmask_b32_e64 v13, v13, 1, vcc
	v_cmp_gt_u64_e32 vcc, s[42:43], v[6:7]
	v_and_b32_e32 v58, 0xffff, v13
	v_cndmask_b32_e64 v13, v7, v13, s[0:1]
	v_cndmask_b32_e64 v7, v7, v58, s[0:1]
	s_and_b64 vcc, s[0:1], vcc
	ds_bpermute_b32 v58, v46, v7
	s_waitcnt lgkmcnt(1)
	v_cndmask_b32_e32 v12, 0, v12, vcc
	v_add_u32_e32 v6, v12, v6
	ds_bpermute_b32 v12, v46, v6
	v_and_b32_e32 v59, 1, v13
	s_waitcnt lgkmcnt(1)
	v_and_b32_e32 v58, 1, v58
	v_cmp_eq_u32_e32 vcc, 1, v59
	s_mov_b64 s[0:1], 0
	s_nop 0
	v_cndmask_b32_e64 v58, v58, 1, vcc
	v_cmp_eq_u16_sdwa vcc, v13, v11 src0_sel:BYTE_0 src1_sel:DWORD
	v_and_b32_e32 v59, 0xffff, v58
	s_waitcnt lgkmcnt(0)
	v_cndmask_b32_e32 v12, 0, v12, vcc
	v_cmp_gt_u32_e32 vcc, v47, v9
	s_nop 1
	v_cndmask_b32_e32 v7, v59, v7, vcc
	v_cndmask_b32_e32 v13, v58, v13, vcc
	ds_bpermute_b32 v58, v48, v7
	v_cndmask_b32_e64 v12, v12, 0, vcc
	v_add_u32_e32 v6, v12, v6
	ds_bpermute_b32 v12, v48, v6
	v_and_b32_e32 v59, 1, v13
	s_waitcnt lgkmcnt(1)
	v_and_b32_e32 v58, 1, v58
	v_cmp_eq_u32_e32 vcc, 1, v59
	s_nop 1
	v_cndmask_b32_e64 v58, v58, 1, vcc
	v_cmp_eq_u16_sdwa vcc, v13, v11 src0_sel:BYTE_0 src1_sel:DWORD
	v_and_b32_e32 v59, 0xffff, v58
	s_waitcnt lgkmcnt(0)
	v_cndmask_b32_e32 v12, 0, v12, vcc
	v_cmp_gt_u32_e32 vcc, v49, v9
	s_nop 1
	v_cndmask_b32_e32 v7, v59, v7, vcc
	v_cndmask_b32_e32 v13, v58, v13, vcc
	ds_bpermute_b32 v58, v50, v7
	v_cndmask_b32_e64 v12, v12, 0, vcc
	v_add_u32_e32 v6, v12, v6
	ds_bpermute_b32 v12, v50, v6
	v_and_b32_e32 v59, 1, v13
	s_waitcnt lgkmcnt(1)
	v_and_b32_e32 v58, 1, v58
	v_cmp_eq_u32_e32 vcc, 1, v59
	;; [unrolled: 18-line block ×3, first 2 shown]
	s_nop 1
	v_cndmask_b32_e64 v58, v58, 1, vcc
	v_cmp_eq_u16_sdwa vcc, v13, v11 src0_sel:BYTE_0 src1_sel:DWORD
	v_and_b32_e32 v59, 0xffff, v58
	s_waitcnt lgkmcnt(0)
	v_cndmask_b32_e32 v12, 0, v12, vcc
	v_cmp_gt_u32_e32 vcc, v54, v9
	s_nop 1
	v_cndmask_b32_e64 v12, v12, 0, vcc
	v_cndmask_b32_e32 v7, v59, v7, vcc
	ds_bpermute_b32 v7, v56, v7
	v_add_u32_e32 v6, v12, v6
	ds_bpermute_b32 v12, v56, v6
	v_cndmask_b32_e32 v13, v58, v13, vcc
	v_and_b32_e32 v58, 1, v13
	v_cmp_eq_u32_e32 vcc, 1, v58
	s_waitcnt lgkmcnt(1)
	s_nop 0
	v_cndmask_b32_e64 v7, v7, 1, vcc
	v_cmp_eq_u16_sdwa vcc, v13, v11 src0_sel:BYTE_0 src1_sel:DWORD
	s_waitcnt lgkmcnt(0)
	s_nop 0
	v_cndmask_b32_e32 v12, 0, v12, vcc
	v_cmp_gt_u32_e32 vcc, v57, v9
	s_nop 1
	v_cndmask_b32_e64 v9, v12, 0, vcc
	v_cndmask_b32_e32 v7, v7, v13, vcc
	v_add_u32_e32 v6, v9, v6
	v_cmp_eq_u16_sdwa vcc, v53, v11 src0_sel:BYTE_0 src1_sel:DWORD
	v_and_b32_e32 v9, 1, v53
	v_and_b32_e32 v7, 1, v7
	v_cndmask_b32_e32 v6, 0, v6, vcc
	v_cmp_eq_u32_e32 vcc, 1, v9
	v_add_u32_e32 v6, v6, v55
	s_nop 0
	v_cndmask_b32_e64 v7, v7, 1, vcc
.LBB43_94:                              ;   in Loop: Header=BB43_95 Depth=1
	s_and_b64 vcc, exec, s[0:1]
	s_cbranch_vccnz .LBB43_100
.LBB43_95:                              ; =>This Loop Header: Depth=1
                                        ;     Child Loop BB43_98 Depth 2
	v_cmp_ne_u16_sdwa s[0:1], v8, v43 src0_sel:BYTE_0 src1_sel:DWORD
	v_mov_b32_e32 v53, v7
	v_mov_b32_e32 v55, v6
	s_cmp_lg_u64 s[0:1], exec
	s_mov_b64 s[0:1], -1
                                        ; implicit-def: $vgpr7
                                        ; implicit-def: $vgpr6
                                        ; implicit-def: $vgpr8
	s_cbranch_scc1 .LBB43_94
; %bb.96:                               ;   in Loop: Header=BB43_95 Depth=1
	v_lshl_add_u64 v[12:13], v[10:11], 4, s[44:45]
	;;#ASMSTART
	global_load_dwordx4 v[6:9], v[12:13] off sc1	
s_waitcnt vmcnt(0)
	;;#ASMEND
	s_nop 0
	v_and_b32_e32 v7, 0xff, v7
	v_cmp_eq_u16_sdwa s[52:53], v8, v11 src0_sel:BYTE_0 src1_sel:DWORD
	s_and_saveexec_b64 s[0:1], s[52:53]
	s_cbranch_execz .LBB43_93
; %bb.97:                               ;   in Loop: Header=BB43_95 Depth=1
	s_mov_b64 s[52:53], 0
.LBB43_98:                              ;   Parent Loop BB43_95 Depth=1
                                        ; =>  This Inner Loop Header: Depth=2
	;;#ASMSTART
	global_load_dwordx4 v[6:9], v[12:13] off sc1	
s_waitcnt vmcnt(0)
	;;#ASMEND
	s_nop 0
	v_cmp_ne_u16_sdwa s[54:55], v8, v11 src0_sel:BYTE_0 src1_sel:DWORD
	s_or_b64 s[52:53], s[54:55], s[52:53]
	s_andn2_b64 exec, exec, s[52:53]
	s_cbranch_execnz .LBB43_98
	s_branch .LBB43_92
.LBB43_99:
                                        ; implicit-def: $vgpr13
                                        ; implicit-def: $vgpr9
                                        ; implicit-def: $vgpr5
                                        ; implicit-def: $vgpr14_vgpr15
	s_cbranch_execnz .LBB43_105
	s_branch .LBB43_124
.LBB43_100:
	s_and_saveexec_b64 s[0:1], s[28:29]
	s_cbranch_execz .LBB43_102
; %bb.101:
	s_mov_b32 s29, 0
	v_mov_b32_e32 v5, 0
	s_add_i32 s28, s47, 64
	v_cmp_eq_u32_sdwa vcc, v3, v5 src0_sel:BYTE_0 src1_sel:DWORD
	s_lshl_b64 s[28:29], s[28:29], 4
	v_and_b32_e32 v3, 1, v3
	v_cndmask_b32_e32 v4, 0, v55, vcc
	s_add_u32 s28, s44, s28
	v_add_u32_e32 v2, v4, v2
	s_addc_u32 s29, s45, s29
	v_and_b32_e32 v4, 1, v53
	v_cmp_eq_u32_e32 vcc, 1, v3
	v_mov_b64_e32 v[6:7], s[28:29]
	s_nop 0
	v_cndmask_b32_e64 v3, v4, 1, vcc
	v_mov_b32_e32 v4, 2
	;;#ASMSTART
	global_store_dwordx4 v[6:7], v[2:5] off sc1	
s_waitcnt vmcnt(0)
	;;#ASMEND
.LBB43_102:
	s_or_b64 exec, exec, s[0:1]
	s_and_b64 exec, exec, s[30:31]
	s_cbranch_execz .LBB43_104
; %bb.103:
	v_mov_b32_e32 v2, 0
	ds_write_b32 v2, v55
	ds_write_b8 v2, v53 offset:4
.LBB43_104:
	s_or_b64 exec, exec, s[36:37]
	s_mov_b32 s0, 0
	v_mov_b32_e32 v2, 0
	s_mov_b32 s1, 1
	s_waitcnt lgkmcnt(0)
	s_barrier
	ds_read_b32 v3, v2
	v_cmp_gt_u64_e32 vcc, s[0:1], v[16:17]
	v_and_b32_e32 v5, 1, v17
	s_nop 0
	v_cndmask_b32_e32 v4, 0, v14, vcc
	v_cmp_eq_u32_e32 vcc, 1, v5
	v_cndmask_b32_e64 v4, v4, 0, s[30:31]
	s_nop 0
	v_cndmask_b32_e64 v5, v15, 1, vcc
	v_cndmask_b32_e64 v5, v5, v17, s[30:31]
	v_cmp_eq_u16_sdwa vcc, v5, v2 src0_sel:BYTE_0 src1_sel:DWORD
	s_waitcnt lgkmcnt(0)
	s_nop 0
	v_cndmask_b32_e32 v2, 0, v3, vcc
	v_add3_u32 v2, v4, v16, v2
	v_cndmask_b32_e64 v3, 0, v2, s[6:7]
	v_add_u32_e32 v3, v3, v38
	v_cndmask_b32_e64 v4, 0, v3, s[8:9]
	v_add_u32_e32 v4, v4, v36
	;; [unrolled: 2-line block ×11, first 2 shown]
	v_mov_b64_e32 v[14:15], v[2:3]
	s_branch .LBB43_124
.LBB43_105:
	s_cmp_lg_u64 s[50:51], 0
	s_cselect_b64 s[0:1], -1, 0
	s_cmp_lg_u64 s[38:39], 0
	s_cselect_b64 s[6:7], -1, 0
	s_and_b64 s[0:1], s[0:1], s[6:7]
	s_and_b64 s[6:7], s[30:31], s[0:1]
	s_and_saveexec_b64 s[0:1], s[6:7]
	s_cbranch_execz .LBB43_107
; %bb.106:
	v_mov_b32_e32 v2, 0
	global_load_dword v4, v2, s[38:39]
	global_load_ubyte v5, v2, s[38:39] offset:4
	s_mov_b32 s6, 0
	s_mov_b32 s7, 1
	v_and_b32_e32 v3, 1, v17
	v_cmp_gt_u64_e32 vcc, s[6:7], v[16:17]
	s_waitcnt vmcnt(0)
	v_and_b32_e32 v5, 1, v5
	v_cndmask_b32_e32 v4, 0, v4, vcc
	v_cmp_eq_u64_e32 vcc, 0, v[2:3]
	v_add_u32_e32 v16, v4, v16
	s_nop 0
	v_cndmask_b32_e32 v17, 1, v5, vcc
.LBB43_107:
	s_or_b64 exec, exec, s[0:1]
	s_mov_b32 s0, 0
	s_mov_b32 s1, 1
	v_cmp_gt_u64_e32 vcc, s[0:1], v[38:39]
	v_cmp_gt_u64_e64 s[6:7], s[0:1], v[36:37]
	v_cmp_gt_u64_e64 s[8:9], s[0:1], v[34:35]
	v_cndmask_b32_e32 v2, 0, v16, vcc
	v_add_u32_e32 v3, v2, v38
	v_cndmask_b32_e64 v2, 0, v3, s[6:7]
	v_add_u32_e32 v4, v2, v36
	v_cndmask_b32_e64 v2, 0, v4, s[8:9]
	v_add_u32_e32 v5, v2, v34
	v_cmp_gt_u64_e64 s[10:11], s[0:1], v[32:33]
	v_cmp_gt_u64_e64 s[12:13], s[0:1], v[30:31]
	;; [unrolled: 1-line block ×3, first 2 shown]
	v_cndmask_b32_e64 v2, 0, v5, s[10:11]
	v_add_u32_e32 v6, v2, v32
	v_cndmask_b32_e64 v2, 0, v6, s[12:13]
	v_add_u32_e32 v7, v2, v30
	;; [unrolled: 2-line block ×3, first 2 shown]
	v_cmp_gt_u64_e64 s[16:17], s[0:1], v[26:27]
	v_cmp_gt_u64_e64 s[18:19], s[0:1], v[24:25]
	v_or3_b32 v10, v42, v29, v31
	v_cndmask_b32_e64 v2, 0, v8, s[16:17]
	v_add_u32_e32 v9, v2, v26
	v_cndmask_b32_e64 v2, 0, v9, s[18:19]
	v_or3_b32 v10, v10, v33, v35
	v_or3_b32 v14, v10, v37, v39
	v_add_u32_e32 v10, v2, v24
	v_cmp_gt_u64_e64 s[20:21], s[0:1], v[22:23]
	v_cmp_gt_u64_e64 s[22:23], s[0:1], v[20:21]
	;; [unrolled: 1-line block ×3, first 2 shown]
	v_cndmask_b32_e64 v2, 0, v10, s[20:21]
	v_add_u32_e32 v11, v2, v22
	v_cndmask_b32_e64 v2, 0, v11, s[22:23]
	v_add_u32_e32 v12, v2, v20
	v_cndmask_b32_e64 v2, 0, v12, s[24:25]
	v_add_u32_e32 v13, v2, v40
	v_or3_b32 v2, v41, v19, v14
	v_and_b32_e32 v15, 0xff, v2
	v_mov_b32_e32 v14, 0
	v_cmp_eq_u64_e64 s[0:1], 0, v[14:15]
	v_and_b32_e32 v1, 56, v1
	v_lshl_add_u32 v1, v0, 3, v1
	v_cndmask_b32_e64 v2, 1, v17, s[0:1]
	v_cmp_gt_u32_e64 s[0:1], 64, v0
	ds_write_b32 v1, v13
	ds_write_b8 v1, v2 offset:4
	s_waitcnt lgkmcnt(0)
	s_barrier
	s_and_saveexec_b64 s[26:27], s[0:1]
	s_cbranch_execz .LBB43_119
; %bb.108:
	v_and_b32_e32 v1, 0xf8, v0
	v_lshlrev_b32_e32 v14, 5, v0
	v_add_u32_e32 v1, v1, v14
	ds_read2_b32 v[42:43], v1 offset0:2 offset1:4
	ds_read_b64 v[14:15], v1
	ds_read_u8 v21, v1 offset:12
	ds_read_u8 v23, v1 offset:20
	ds_read_b32 v25, v1 offset:24
	ds_read_u8 v27, v1 offset:28
	s_waitcnt lgkmcnt(4)
	v_and_b32_e32 v19, 1, v15
	s_waitcnt lgkmcnt(3)
	v_cmp_eq_u16_e64 s[0:1], 0, v21
	s_waitcnt lgkmcnt(2)
	v_or_b32_e32 v21, v23, v21
	v_cndmask_b32_e64 v29, 0, v14, s[0:1]
	v_add_u32_e32 v29, v29, v42
	v_cmp_eq_u16_e64 s[0:1], 0, v23
	s_nop 1
	v_cndmask_b32_e64 v29, 0, v29, s[0:1]
	v_cmp_eq_u16_e64 s[0:1], 0, v21
	v_add_u32_e32 v29, v29, v43
	s_nop 0
	v_cndmask_b32_e64 v21, 1, v19, s[0:1]
	s_waitcnt lgkmcnt(0)
	v_cmp_eq_u16_e64 s[0:1], 0, v27
	s_nop 1
	v_cndmask_b32_e64 v23, 0, v29, s[0:1]
	v_add_u32_e32 v23, v23, v25
	v_and_b32_e32 v25, 1, v27
	v_cmp_eq_u32_e64 s[0:1], 1, v25
	v_mbcnt_lo_u32_b32 v25, -1, 0
	v_mbcnt_hi_u32_b32 v25, -1, v25
	v_cndmask_b32_e64 v27, v21, 1, s[0:1]
	v_and_b32_e32 v21, 0xffffff00, v15
	v_and_b32_e32 v31, 15, v25
	v_or_b32_sdwa v29, v21, v27 dst_sel:DWORD dst_unused:UNUSED_PAD src0_sel:DWORD src1_sel:WORD_0
	v_mov_b32_dpp v33, v23 row_shr:1 row_mask:0xf bank_mask:0xf
	v_cmp_ne_u32_e64 s[0:1], 0, v31
	v_mov_b32_dpp v35, v29 row_shr:1 row_mask:0xf bank_mask:0xf
	s_and_saveexec_b64 s[28:29], s[0:1]
; %bb.109:
	v_and_b32_e32 v29, 1, v27
	v_and_b32_e32 v35, 1, v35
	v_cmp_eq_u32_e64 s[0:1], 1, v29
	s_nop 1
	v_cndmask_b32_e64 v35, v35, 1, s[0:1]
	v_cmp_eq_u16_e64 s[0:1], 0, v27
	v_or_b32_sdwa v29, v21, v35 dst_sel:DWORD dst_unused:UNUSED_PAD src0_sel:DWORD src1_sel:WORD_0
	s_nop 0
	v_cndmask_b32_e64 v27, 0, v33, s[0:1]
	v_add_u32_e32 v23, v27, v23
	v_mov_b32_e32 v27, v35
; %bb.110:
	s_or_b64 exec, exec, s[28:29]
	v_mov_b32_dpp v33, v23 row_shr:2 row_mask:0xf bank_mask:0xf
	v_mov_b32_dpp v35, v29 row_shr:2 row_mask:0xf bank_mask:0xf
	v_cmp_lt_u32_e64 s[0:1], 1, v31
	s_and_saveexec_b64 s[28:29], s[0:1]
; %bb.111:
	v_and_b32_e32 v29, 1, v27
	v_and_b32_e32 v35, 1, v35
	v_cmp_eq_u32_e64 s[0:1], 1, v29
	s_nop 1
	v_cndmask_b32_e64 v35, v35, 1, s[0:1]
	v_cmp_eq_u16_e64 s[0:1], 0, v27
	v_or_b32_sdwa v29, v21, v35 dst_sel:DWORD dst_unused:UNUSED_PAD src0_sel:DWORD src1_sel:WORD_0
	s_nop 0
	v_cndmask_b32_e64 v27, 0, v33, s[0:1]
	v_add_u32_e32 v23, v27, v23
	v_mov_b32_e32 v27, v35
; %bb.112:
	s_or_b64 exec, exec, s[28:29]
	v_mov_b32_dpp v33, v23 row_shr:4 row_mask:0xf bank_mask:0xf
	v_mov_b32_dpp v35, v29 row_shr:4 row_mask:0xf bank_mask:0xf
	v_cmp_lt_u32_e64 s[0:1], 3, v31
	;; [unrolled: 18-line block ×3, first 2 shown]
	s_and_saveexec_b64 s[28:29], s[0:1]
; %bb.115:
	v_and_b32_e32 v29, 1, v27
	v_and_b32_e32 v31, 1, v35
	v_cmp_eq_u32_e64 s[0:1], 1, v29
	s_nop 1
	v_cndmask_b32_e64 v31, v31, 1, s[0:1]
	v_cmp_eq_u16_e64 s[0:1], 0, v27
	v_or_b32_sdwa v29, v21, v31 dst_sel:DWORD dst_unused:UNUSED_PAD src0_sel:DWORD src1_sel:WORD_0
	s_nop 0
	v_cndmask_b32_e64 v27, 0, v33, s[0:1]
	v_add_u32_e32 v23, v27, v23
	v_mov_b32_e32 v27, v31
; %bb.116:
	s_or_b64 exec, exec, s[28:29]
	v_and_b32_e32 v35, 16, v25
	v_mov_b32_dpp v31, v23 row_bcast:15 row_mask:0xf bank_mask:0xf
	v_mov_b32_dpp v33, v29 row_bcast:15 row_mask:0xf bank_mask:0xf
	v_cmp_ne_u32_e64 s[0:1], 0, v35
	s_and_saveexec_b64 s[28:29], s[0:1]
; %bb.117:
	v_and_b32_e32 v29, 1, v27
	v_and_b32_e32 v33, 1, v33
	v_cmp_eq_u32_e64 s[0:1], 1, v29
	s_nop 1
	v_cndmask_b32_e64 v33, v33, 1, s[0:1]
	v_cmp_eq_u16_e64 s[0:1], 0, v27
	v_or_b32_sdwa v29, v21, v33 dst_sel:DWORD dst_unused:UNUSED_PAD src0_sel:DWORD src1_sel:WORD_0
	s_nop 0
	v_cndmask_b32_e64 v27, 0, v31, s[0:1]
	v_add_u32_e32 v23, v27, v23
	v_mov_b32_e32 v27, v33
; %bb.118:
	s_or_b64 exec, exec, s[28:29]
	v_mov_b32_dpp v29, v29 row_bcast:31 row_mask:0xf bank_mask:0xf
	v_and_b32_e32 v33, 1, v27
	v_and_b32_e32 v29, 1, v29
	v_cmp_eq_u32_e64 s[0:1], 1, v33
	v_mov_b32_e32 v33, 0
	v_cmp_eq_u16_sdwa s[28:29], v27, v33 src0_sel:BYTE_0 src1_sel:DWORD
	v_cndmask_b32_e64 v29, v29, 1, s[0:1]
	v_cmp_lt_u32_e64 s[0:1], 31, v25
	v_mov_b32_dpp v31, v23 row_bcast:31 row_mask:0xf bank_mask:0xf
	s_movk_i32 s36, 0xff
	v_cndmask_b32_e64 v27, v27, v29, s[0:1]
	s_and_b64 s[0:1], s[0:1], s[28:29]
	v_cndmask_b32_e64 v29, 0, v31, s[0:1]
	v_add_u32_e32 v23, v29, v23
	v_add_u32_e32 v29, -1, v25
	v_and_b32_e32 v31, 64, v25
	v_cmp_lt_i32_e64 s[0:1], v29, v31
	v_and_or_b32 v21, v27, s36, v21
	s_nop 0
	v_cndmask_b32_e64 v25, v29, v25, s[0:1]
	v_lshlrev_b32_e32 v25, 2, v25
	ds_bpermute_b32 v23, v25, v23
	ds_bpermute_b32 v21, v25, v21
	v_cmp_eq_u16_sdwa s[0:1], v15, v33 src0_sel:BYTE_0 src1_sel:DWORD
	; wave barrier
	s_waitcnt lgkmcnt(1)
	s_nop 0
	v_cndmask_b32_e64 v15, 0, v23, s[0:1]
	v_add_u32_e32 v14, v15, v14
	s_waitcnt lgkmcnt(0)
	v_and_b32_e32 v15, 1, v21
	v_cmp_eq_u32_e64 s[0:1], 1, v19
	v_cndmask_b32_e64 v19, v14, v13, s[30:31]
	s_nop 0
	v_cndmask_b32_e64 v15, v15, 1, s[0:1]
	v_cndmask_b32_e64 v2, v15, v2, s[30:31]
	ds_write_b32 v1, v19
	ds_write_b8 v1, v2 offset:4
	; wave barrier
	ds_read_u8 v21, v1 offset:12
	ds_read2_b32 v[14:15], v1 offset0:2 offset1:4
	ds_read_u8 v23, v1 offset:20
	ds_read_b32 v25, v1 offset:24
	ds_read_u8 v27, v1 offset:28
	s_waitcnt lgkmcnt(4)
	v_cmp_eq_u16_e64 s[0:1], 0, v21
	s_nop 1
	v_cndmask_b32_e64 v19, 0, v19, s[0:1]
	s_waitcnt lgkmcnt(3)
	v_add_u32_e32 v14, v19, v14
	v_and_b32_e32 v19, 1, v21
	v_cmp_eq_u32_e64 s[0:1], 1, v19
	s_nop 1
	v_cndmask_b32_e64 v2, v2, 1, s[0:1]
	s_waitcnt lgkmcnt(2)
	v_cmp_eq_u16_e64 s[0:1], 0, v23
	ds_write_b8 v1, v2 offset:12
	s_nop 0
	v_cndmask_b32_e64 v19, 0, v14, s[0:1]
	v_add_u32_e32 v15, v19, v15
	v_and_b32_e32 v19, 1, v23
	v_cmp_eq_u32_e64 s[0:1], 1, v19
	s_nop 1
	v_cndmask_b32_e64 v2, v2, 1, s[0:1]
	s_waitcnt lgkmcnt(1)
	v_cmp_eq_u16_e64 s[0:1], 0, v27
	ds_write2_b32 v1, v14, v15 offset0:2 offset1:4
	ds_write_b8 v1, v2 offset:20
	v_cndmask_b32_e64 v14, 0, v15, s[0:1]
	v_and_b32_e32 v15, 1, v27
	v_add_u32_e32 v14, v14, v25
	v_cmp_eq_u32_e64 s[0:1], 1, v15
	s_nop 1
	v_cndmask_b32_e64 v2, v2, 1, s[0:1]
	ds_write_b32 v1, v14 offset:24
	ds_write_b8 v1, v2 offset:28
.LBB43_119:
	s_or_b64 exec, exec, s[26:27]
	v_mov_b32_e32 v2, v16
	v_mov_b64_e32 v[14:15], v[2:3]
	s_waitcnt lgkmcnt(0)
	s_barrier
	s_and_saveexec_b64 s[26:27], s[4:5]
	s_cbranch_execz .LBB43_121
; %bb.120:
	v_add_u32_e32 v1, -1, v0
	v_lshrrev_b32_e32 v2, 2, v1
	v_and_b32_e32 v2, 0x3ffffff8, v2
	v_lshl_add_u32 v1, v1, 3, v2
	ds_read_b32 v1, v1
	v_and_b32_e32 v3, 0xff, v17
	v_mov_b32_e32 v2, 0
	v_cmp_eq_u64_e64 s[0:1], 0, v[2:3]
	;;#ASMSTART
	;;#ASMEND
	s_waitcnt lgkmcnt(0)
	s_nop 0
	v_cndmask_b32_e64 v1, 0, v1, s[0:1]
	v_add_u32_e32 v14, v1, v16
	v_cndmask_b32_e32 v1, 0, v14, vcc
	v_add_u32_e32 v15, v1, v38
	v_cndmask_b32_e64 v1, 0, v15, s[6:7]
	v_add_u32_e32 v4, v1, v36
	v_cndmask_b32_e64 v1, 0, v4, s[8:9]
	;; [unrolled: 2-line block ×10, first 2 shown]
	v_add_u32_e32 v13, v1, v40
	v_mov_b32_e32 v16, v14
	v_mov_b32_e32 v3, v15
.LBB43_121:
	s_or_b64 exec, exec, s[26:27]
	s_and_saveexec_b64 s[0:1], s[30:31]
	s_cbranch_execz .LBB43_123
; %bb.122:
	v_mov_b32_e32 v23, 0
	ds_read_b32 v20, v23 offset:2096
	ds_read_u8 v21, v23 offset:2100
	s_add_u32 s4, s44, 0x400
	s_addc_u32 s5, s45, 0
	v_mov_b32_e32 v22, 2
	v_mov_b64_e32 v[24:25], s[4:5]
	s_waitcnt lgkmcnt(0)
	;;#ASMSTART
	global_store_dwordx4 v[24:25], v[20:23] off sc1	
s_waitcnt vmcnt(0)
	;;#ASMEND
.LBB43_123:
	s_or_b64 exec, exec, s[0:1]
	v_mov_b32_e32 v2, v16
.LBB43_124:
	s_add_u32 s0, s34, s48
	s_addc_u32 s1, s35, s49
	s_add_u32 s0, s0, s40
	s_addc_u32 s1, s1, s41
	s_and_b64 vcc, exec, s[2:3]
	s_cbranch_vccz .LBB43_164
; %bb.125:
	s_add_i32 s33, s33, s46
	v_mul_u32_u24_e32 v1, 12, v0
	v_cmp_gt_u32_e32 vcc, s33, v1
	s_and_saveexec_b64 s[2:3], vcc
	s_cbranch_execz .LBB43_141
; %bb.126:
	v_or_b32_e32 v16, 1, v1
	v_cmp_gt_u32_e32 vcc, s33, v16
	s_and_saveexec_b64 s[4:5], vcc
	s_cbranch_execz .LBB43_140
; %bb.127:
	v_or_b32_e32 v16, 2, v1
	v_cmp_gt_u32_e32 vcc, s33, v16
	s_and_saveexec_b64 s[6:7], vcc
	s_cbranch_execz .LBB43_139
; %bb.128:
	v_or_b32_e32 v16, 3, v1
	v_cmp_gt_u32_e32 vcc, s33, v16
	s_and_saveexec_b64 s[8:9], vcc
	s_cbranch_execz .LBB43_138
; %bb.129:
	v_add_u32_e32 v16, 4, v1
	v_cmp_gt_u32_e32 vcc, s33, v16
	s_and_saveexec_b64 s[10:11], vcc
	s_cbranch_execz .LBB43_137
; %bb.130:
	v_add_u32_e32 v16, 5, v1
	;; [unrolled: 5-line block ×4, first 2 shown]
	v_cmp_gt_u32_e32 vcc, s33, v16
	s_and_saveexec_b64 s[16:17], vcc
; %bb.133:
	v_add_u32_e32 v16, 8, v1
	v_cmp_gt_u32_e32 vcc, s33, v16
	s_and_saveexec_b64 s[18:19], vcc
	s_or_b64 exec, exec, s[18:19]
; %bb.134:
	s_or_b64 exec, exec, s[16:17]
.LBB43_135:
	s_or_b64 exec, exec, s[14:15]
.LBB43_136:
	s_or_b64 exec, exec, s[12:13]
.LBB43_137:
	s_or_b64 exec, exec, s[10:11]
.LBB43_138:
	s_or_b64 exec, exec, s[8:9]
.LBB43_139:
	s_or_b64 exec, exec, s[6:7]
.LBB43_140:
	s_or_b64 exec, exec, s[4:5]
.LBB43_141:
	s_or_b64 exec, exec, s[2:3]
	v_lshlrev_b32_e32 v1, 2, v1
	s_movk_i32 s2, 0xffd4
	v_mad_i32_i24 v16, v0, s2, v1
	s_barrier
	ds_write_b128 v1, v[2:5]
	ds_write_b128 v1, v[6:9] offset:16
	ds_write_b128 v1, v[10:13] offset:32
	s_waitcnt lgkmcnt(0)
	s_barrier
	ds_read2st64_b32 v[26:27], v16 offset0:4 offset1:8
	ds_read2st64_b32 v[24:25], v16 offset0:12 offset1:16
	;; [unrolled: 1-line block ×5, first 2 shown]
	ds_read_b32 v29, v16 offset:11264
	v_mov_b32_e32 v19, 0
	v_lshl_add_u64 v[16:17], s[0:1], 0, v[18:19]
	v_cmp_gt_u32_e32 vcc, s33, v0
	s_and_saveexec_b64 s[2:3], vcc
	s_cbranch_execz .LBB43_143
; %bb.142:
	v_mul_i32_i24_e32 v19, 0xffffffd4, v0
	v_add_u32_e32 v1, v1, v19
	ds_read_b32 v1, v1
	s_waitcnt lgkmcnt(0)
	global_store_dword v[16:17], v1, off
.LBB43_143:
	s_or_b64 exec, exec, s[2:3]
	v_or_b32_e32 v1, 0x100, v0
	v_cmp_gt_u32_e32 vcc, s33, v1
	s_and_saveexec_b64 s[2:3], vcc
	s_cbranch_execz .LBB43_145
; %bb.144:
	s_waitcnt lgkmcnt(5)
	global_store_dword v[16:17], v26, off offset:1024
.LBB43_145:
	s_or_b64 exec, exec, s[2:3]
	v_or_b32_e32 v1, 0x200, v0
	v_cmp_gt_u32_e32 vcc, s33, v1
	s_and_saveexec_b64 s[2:3], vcc
	s_cbranch_execz .LBB43_147
; %bb.146:
	s_waitcnt lgkmcnt(5)
	global_store_dword v[16:17], v27, off offset:2048
.LBB43_147:
	;; [unrolled: 9-line block ×3, first 2 shown]
	s_or_b64 exec, exec, s[2:3]
	v_or_b32_e32 v1, 0x400, v0
	v_cmp_gt_u32_e32 vcc, s33, v1
	s_and_saveexec_b64 s[2:3], vcc
	s_cbranch_execz .LBB43_151
; %bb.150:
	s_waitcnt lgkmcnt(5)
	v_add_co_u32_e32 v26, vcc, 0x1000, v16
	s_nop 1
	v_addc_co_u32_e32 v27, vcc, 0, v17, vcc
	s_waitcnt lgkmcnt(4)
	global_store_dword v[26:27], v25, off
.LBB43_151:
	s_or_b64 exec, exec, s[2:3]
	v_or_b32_e32 v1, 0x500, v0
	v_cmp_gt_u32_e32 vcc, s33, v1
	s_and_saveexec_b64 s[2:3], vcc
	s_cbranch_execz .LBB43_153
; %bb.152:
	s_waitcnt lgkmcnt(4)
	v_add_co_u32_e32 v24, vcc, 0x1000, v16
	s_nop 1
	v_addc_co_u32_e32 v25, vcc, 0, v17, vcc
	s_waitcnt lgkmcnt(3)
	global_store_dword v[24:25], v22, off offset:1024
.LBB43_153:
	s_or_b64 exec, exec, s[2:3]
	v_or_b32_e32 v1, 0x600, v0
	v_cmp_gt_u32_e32 vcc, s33, v1
	s_and_saveexec_b64 s[2:3], vcc
	s_cbranch_execz .LBB43_155
; %bb.154:
	s_waitcnt lgkmcnt(4)
	v_add_co_u32_e32 v24, vcc, 0x1000, v16
	s_nop 1
	v_addc_co_u32_e32 v25, vcc, 0, v17, vcc
	s_waitcnt lgkmcnt(3)
	global_store_dword v[24:25], v23, off offset:2048
.LBB43_155:
	;; [unrolled: 13-line block ×3, first 2 shown]
	s_or_b64 exec, exec, s[2:3]
	v_or_b32_e32 v1, 0x800, v0
	v_cmp_gt_u32_e32 vcc, s33, v1
	s_and_saveexec_b64 s[2:3], vcc
	s_cbranch_execz .LBB43_159
; %bb.158:
	s_waitcnt lgkmcnt(3)
	v_add_co_u32_e32 v22, vcc, 0x2000, v16
	s_nop 1
	v_addc_co_u32_e32 v23, vcc, 0, v17, vcc
	s_waitcnt lgkmcnt(2)
	global_store_dword v[22:23], v21, off
.LBB43_159:
	s_or_b64 exec, exec, s[2:3]
	v_or_b32_e32 v1, 0x900, v0
	v_cmp_gt_u32_e32 vcc, s33, v1
	s_and_saveexec_b64 s[2:3], vcc
	s_cbranch_execz .LBB43_161
; %bb.160:
	s_waitcnt lgkmcnt(2)
	v_add_co_u32_e32 v20, vcc, 0x2000, v16
	s_nop 1
	v_addc_co_u32_e32 v21, vcc, 0, v17, vcc
	s_waitcnt lgkmcnt(1)
	global_store_dword v[20:21], v2, off offset:1024
.LBB43_161:
	s_or_b64 exec, exec, s[2:3]
	v_or_b32_e32 v1, 0xa00, v0
	v_cmp_gt_u32_e32 vcc, s33, v1
	s_and_saveexec_b64 s[2:3], vcc
	s_cbranch_execz .LBB43_163
; %bb.162:
	v_add_co_u32_e32 v16, vcc, 0x2000, v16
	s_nop 1
	v_addc_co_u32_e32 v17, vcc, 0, v17, vcc
	s_waitcnt lgkmcnt(1)
	global_store_dword v[16:17], v3, off offset:2048
.LBB43_163:
	s_or_b64 exec, exec, s[2:3]
	v_or_b32_e32 v1, 0xb00, v0
	v_cmp_gt_u32_e64 s[2:3], s33, v1
	s_branch .LBB43_166
.LBB43_164:
	s_mov_b64 s[2:3], 0
                                        ; implicit-def: $vgpr29
	s_cbranch_execz .LBB43_166
; %bb.165:
	v_mul_u32_u24_e32 v1, 48, v0
	v_mov_b32_e32 v16, v4
	v_mov_b32_e32 v17, v5
	s_waitcnt lgkmcnt(0)
	s_barrier
	ds_write_b128 v1, v[14:17]
	ds_write_b128 v1, v[6:9] offset:16
	ds_write_b128 v1, v[10:13] offset:32
	v_mul_i32_i24_e32 v1, 0xffffffd4, v0
	v_mad_u32_u24 v1, v0, 48, v1
	v_mov_b32_e32 v19, 0
	s_waitcnt lgkmcnt(0)
	s_barrier
	ds_read2st64_b32 v[2:3], v1 offset1:4
	ds_read2st64_b32 v[4:5], v1 offset0:8 offset1:12
	ds_read2st64_b32 v[6:7], v1 offset0:16 offset1:20
	;; [unrolled: 1-line block ×5, first 2 shown]
	v_lshl_add_u64 v[12:13], s[0:1], 0, v[18:19]
	s_movk_i32 s4, 0x1000
	s_waitcnt lgkmcnt(5)
	global_store_dword v18, v2, s[0:1]
	global_store_dword v18, v3, s[0:1] offset:1024
	s_waitcnt lgkmcnt(4)
	global_store_dword v18, v4, s[0:1] offset:2048
	global_store_dword v18, v5, s[0:1] offset:3072
	v_add_co_u32_e32 v2, vcc, s4, v12
	s_or_b64 s[2:3], s[2:3], exec
	s_nop 0
	v_addc_co_u32_e32 v3, vcc, 0, v13, vcc
	s_waitcnt lgkmcnt(3)
	global_store_dword v[2:3], v6, off
	global_store_dword v[2:3], v7, off offset:1024
	s_waitcnt lgkmcnt(2)
	global_store_dword v[2:3], v8, off offset:2048
	global_store_dword v[2:3], v9, off offset:3072
	v_add_co_u32_e32 v2, vcc, 0x2000, v12
	s_nop 1
	v_addc_co_u32_e32 v3, vcc, 0, v13, vcc
	s_waitcnt lgkmcnt(1)
	global_store_dword v[2:3], v10, off
	global_store_dword v[2:3], v11, off offset:1024
	s_waitcnt lgkmcnt(0)
	global_store_dword v[2:3], v28, off offset:2048
.LBB43_166:
	s_and_saveexec_b64 s[4:5], s[2:3]
	s_cbranch_execnz .LBB43_168
; %bb.167:
	s_endpgm
.LBB43_168:
	v_lshlrev_b32_e32 v0, 2, v0
	v_mov_b32_e32 v1, 0
	v_lshl_add_u64 v[0:1], s[0:1], 0, v[0:1]
	v_add_co_u32_e32 v0, vcc, 0x2000, v0
	s_nop 1
	v_addc_co_u32_e32 v1, vcc, 0, v1, vcc
	s_waitcnt lgkmcnt(0)
	global_store_dword v[0:1], v29, off offset:3072
	s_endpgm
	.section	.rodata,"a",@progbits
	.p2align	6, 0x0
	.amdhsa_kernel _ZN7rocprim17ROCPRIM_400000_NS6detail17trampoline_kernelINS0_14default_configENS1_27scan_by_key_config_selectorIiiEEZZNS1_16scan_by_key_implILNS1_25lookback_scan_determinismE0ELb0ES3_PKiN6hipcub16HIPCUB_304000_NS21ConstantInputIteratorIilEEPiiNSB_3SumENSB_8EqualityEiEE10hipError_tPvRmT2_T3_T4_T5_mT6_T7_P12ihipStream_tbENKUlT_T0_E_clISt17integral_constantIbLb0EESW_IbLb1EEEEDaSS_ST_EUlSS_E_NS1_11comp_targetILNS1_3genE0ELNS1_11target_archE4294967295ELNS1_3gpuE0ELNS1_3repE0EEENS1_30default_config_static_selectorELNS0_4arch9wavefront6targetE1EEEvT1_
		.amdhsa_group_segment_fixed_size 14336
		.amdhsa_private_segment_fixed_size 0
		.amdhsa_kernarg_size 120
		.amdhsa_user_sgpr_count 2
		.amdhsa_user_sgpr_dispatch_ptr 0
		.amdhsa_user_sgpr_queue_ptr 0
		.amdhsa_user_sgpr_kernarg_segment_ptr 1
		.amdhsa_user_sgpr_dispatch_id 0
		.amdhsa_user_sgpr_kernarg_preload_length 0
		.amdhsa_user_sgpr_kernarg_preload_offset 0
		.amdhsa_user_sgpr_private_segment_size 0
		.amdhsa_uses_dynamic_stack 0
		.amdhsa_enable_private_segment 0
		.amdhsa_system_sgpr_workgroup_id_x 1
		.amdhsa_system_sgpr_workgroup_id_y 0
		.amdhsa_system_sgpr_workgroup_id_z 0
		.amdhsa_system_sgpr_workgroup_info 0
		.amdhsa_system_vgpr_workitem_id 0
		.amdhsa_next_free_vgpr 62
		.amdhsa_next_free_sgpr 60
		.amdhsa_accum_offset 64
		.amdhsa_reserve_vcc 1
		.amdhsa_float_round_mode_32 0
		.amdhsa_float_round_mode_16_64 0
		.amdhsa_float_denorm_mode_32 3
		.amdhsa_float_denorm_mode_16_64 3
		.amdhsa_dx10_clamp 1
		.amdhsa_ieee_mode 1
		.amdhsa_fp16_overflow 0
		.amdhsa_tg_split 0
		.amdhsa_exception_fp_ieee_invalid_op 0
		.amdhsa_exception_fp_denorm_src 0
		.amdhsa_exception_fp_ieee_div_zero 0
		.amdhsa_exception_fp_ieee_overflow 0
		.amdhsa_exception_fp_ieee_underflow 0
		.amdhsa_exception_fp_ieee_inexact 0
		.amdhsa_exception_int_div_zero 0
	.end_amdhsa_kernel
	.section	.text._ZN7rocprim17ROCPRIM_400000_NS6detail17trampoline_kernelINS0_14default_configENS1_27scan_by_key_config_selectorIiiEEZZNS1_16scan_by_key_implILNS1_25lookback_scan_determinismE0ELb0ES3_PKiN6hipcub16HIPCUB_304000_NS21ConstantInputIteratorIilEEPiiNSB_3SumENSB_8EqualityEiEE10hipError_tPvRmT2_T3_T4_T5_mT6_T7_P12ihipStream_tbENKUlT_T0_E_clISt17integral_constantIbLb0EESW_IbLb1EEEEDaSS_ST_EUlSS_E_NS1_11comp_targetILNS1_3genE0ELNS1_11target_archE4294967295ELNS1_3gpuE0ELNS1_3repE0EEENS1_30default_config_static_selectorELNS0_4arch9wavefront6targetE1EEEvT1_,"axG",@progbits,_ZN7rocprim17ROCPRIM_400000_NS6detail17trampoline_kernelINS0_14default_configENS1_27scan_by_key_config_selectorIiiEEZZNS1_16scan_by_key_implILNS1_25lookback_scan_determinismE0ELb0ES3_PKiN6hipcub16HIPCUB_304000_NS21ConstantInputIteratorIilEEPiiNSB_3SumENSB_8EqualityEiEE10hipError_tPvRmT2_T3_T4_T5_mT6_T7_P12ihipStream_tbENKUlT_T0_E_clISt17integral_constantIbLb0EESW_IbLb1EEEEDaSS_ST_EUlSS_E_NS1_11comp_targetILNS1_3genE0ELNS1_11target_archE4294967295ELNS1_3gpuE0ELNS1_3repE0EEENS1_30default_config_static_selectorELNS0_4arch9wavefront6targetE1EEEvT1_,comdat
.Lfunc_end43:
	.size	_ZN7rocprim17ROCPRIM_400000_NS6detail17trampoline_kernelINS0_14default_configENS1_27scan_by_key_config_selectorIiiEEZZNS1_16scan_by_key_implILNS1_25lookback_scan_determinismE0ELb0ES3_PKiN6hipcub16HIPCUB_304000_NS21ConstantInputIteratorIilEEPiiNSB_3SumENSB_8EqualityEiEE10hipError_tPvRmT2_T3_T4_T5_mT6_T7_P12ihipStream_tbENKUlT_T0_E_clISt17integral_constantIbLb0EESW_IbLb1EEEEDaSS_ST_EUlSS_E_NS1_11comp_targetILNS1_3genE0ELNS1_11target_archE4294967295ELNS1_3gpuE0ELNS1_3repE0EEENS1_30default_config_static_selectorELNS0_4arch9wavefront6targetE1EEEvT1_, .Lfunc_end43-_ZN7rocprim17ROCPRIM_400000_NS6detail17trampoline_kernelINS0_14default_configENS1_27scan_by_key_config_selectorIiiEEZZNS1_16scan_by_key_implILNS1_25lookback_scan_determinismE0ELb0ES3_PKiN6hipcub16HIPCUB_304000_NS21ConstantInputIteratorIilEEPiiNSB_3SumENSB_8EqualityEiEE10hipError_tPvRmT2_T3_T4_T5_mT6_T7_P12ihipStream_tbENKUlT_T0_E_clISt17integral_constantIbLb0EESW_IbLb1EEEEDaSS_ST_EUlSS_E_NS1_11comp_targetILNS1_3genE0ELNS1_11target_archE4294967295ELNS1_3gpuE0ELNS1_3repE0EEENS1_30default_config_static_selectorELNS0_4arch9wavefront6targetE1EEEvT1_
                                        ; -- End function
	.set _ZN7rocprim17ROCPRIM_400000_NS6detail17trampoline_kernelINS0_14default_configENS1_27scan_by_key_config_selectorIiiEEZZNS1_16scan_by_key_implILNS1_25lookback_scan_determinismE0ELb0ES3_PKiN6hipcub16HIPCUB_304000_NS21ConstantInputIteratorIilEEPiiNSB_3SumENSB_8EqualityEiEE10hipError_tPvRmT2_T3_T4_T5_mT6_T7_P12ihipStream_tbENKUlT_T0_E_clISt17integral_constantIbLb0EESW_IbLb1EEEEDaSS_ST_EUlSS_E_NS1_11comp_targetILNS1_3genE0ELNS1_11target_archE4294967295ELNS1_3gpuE0ELNS1_3repE0EEENS1_30default_config_static_selectorELNS0_4arch9wavefront6targetE1EEEvT1_.num_vgpr, 62
	.set _ZN7rocprim17ROCPRIM_400000_NS6detail17trampoline_kernelINS0_14default_configENS1_27scan_by_key_config_selectorIiiEEZZNS1_16scan_by_key_implILNS1_25lookback_scan_determinismE0ELb0ES3_PKiN6hipcub16HIPCUB_304000_NS21ConstantInputIteratorIilEEPiiNSB_3SumENSB_8EqualityEiEE10hipError_tPvRmT2_T3_T4_T5_mT6_T7_P12ihipStream_tbENKUlT_T0_E_clISt17integral_constantIbLb0EESW_IbLb1EEEEDaSS_ST_EUlSS_E_NS1_11comp_targetILNS1_3genE0ELNS1_11target_archE4294967295ELNS1_3gpuE0ELNS1_3repE0EEENS1_30default_config_static_selectorELNS0_4arch9wavefront6targetE1EEEvT1_.num_agpr, 0
	.set _ZN7rocprim17ROCPRIM_400000_NS6detail17trampoline_kernelINS0_14default_configENS1_27scan_by_key_config_selectorIiiEEZZNS1_16scan_by_key_implILNS1_25lookback_scan_determinismE0ELb0ES3_PKiN6hipcub16HIPCUB_304000_NS21ConstantInputIteratorIilEEPiiNSB_3SumENSB_8EqualityEiEE10hipError_tPvRmT2_T3_T4_T5_mT6_T7_P12ihipStream_tbENKUlT_T0_E_clISt17integral_constantIbLb0EESW_IbLb1EEEEDaSS_ST_EUlSS_E_NS1_11comp_targetILNS1_3genE0ELNS1_11target_archE4294967295ELNS1_3gpuE0ELNS1_3repE0EEENS1_30default_config_static_selectorELNS0_4arch9wavefront6targetE1EEEvT1_.numbered_sgpr, 60
	.set _ZN7rocprim17ROCPRIM_400000_NS6detail17trampoline_kernelINS0_14default_configENS1_27scan_by_key_config_selectorIiiEEZZNS1_16scan_by_key_implILNS1_25lookback_scan_determinismE0ELb0ES3_PKiN6hipcub16HIPCUB_304000_NS21ConstantInputIteratorIilEEPiiNSB_3SumENSB_8EqualityEiEE10hipError_tPvRmT2_T3_T4_T5_mT6_T7_P12ihipStream_tbENKUlT_T0_E_clISt17integral_constantIbLb0EESW_IbLb1EEEEDaSS_ST_EUlSS_E_NS1_11comp_targetILNS1_3genE0ELNS1_11target_archE4294967295ELNS1_3gpuE0ELNS1_3repE0EEENS1_30default_config_static_selectorELNS0_4arch9wavefront6targetE1EEEvT1_.num_named_barrier, 0
	.set _ZN7rocprim17ROCPRIM_400000_NS6detail17trampoline_kernelINS0_14default_configENS1_27scan_by_key_config_selectorIiiEEZZNS1_16scan_by_key_implILNS1_25lookback_scan_determinismE0ELb0ES3_PKiN6hipcub16HIPCUB_304000_NS21ConstantInputIteratorIilEEPiiNSB_3SumENSB_8EqualityEiEE10hipError_tPvRmT2_T3_T4_T5_mT6_T7_P12ihipStream_tbENKUlT_T0_E_clISt17integral_constantIbLb0EESW_IbLb1EEEEDaSS_ST_EUlSS_E_NS1_11comp_targetILNS1_3genE0ELNS1_11target_archE4294967295ELNS1_3gpuE0ELNS1_3repE0EEENS1_30default_config_static_selectorELNS0_4arch9wavefront6targetE1EEEvT1_.private_seg_size, 0
	.set _ZN7rocprim17ROCPRIM_400000_NS6detail17trampoline_kernelINS0_14default_configENS1_27scan_by_key_config_selectorIiiEEZZNS1_16scan_by_key_implILNS1_25lookback_scan_determinismE0ELb0ES3_PKiN6hipcub16HIPCUB_304000_NS21ConstantInputIteratorIilEEPiiNSB_3SumENSB_8EqualityEiEE10hipError_tPvRmT2_T3_T4_T5_mT6_T7_P12ihipStream_tbENKUlT_T0_E_clISt17integral_constantIbLb0EESW_IbLb1EEEEDaSS_ST_EUlSS_E_NS1_11comp_targetILNS1_3genE0ELNS1_11target_archE4294967295ELNS1_3gpuE0ELNS1_3repE0EEENS1_30default_config_static_selectorELNS0_4arch9wavefront6targetE1EEEvT1_.uses_vcc, 1
	.set _ZN7rocprim17ROCPRIM_400000_NS6detail17trampoline_kernelINS0_14default_configENS1_27scan_by_key_config_selectorIiiEEZZNS1_16scan_by_key_implILNS1_25lookback_scan_determinismE0ELb0ES3_PKiN6hipcub16HIPCUB_304000_NS21ConstantInputIteratorIilEEPiiNSB_3SumENSB_8EqualityEiEE10hipError_tPvRmT2_T3_T4_T5_mT6_T7_P12ihipStream_tbENKUlT_T0_E_clISt17integral_constantIbLb0EESW_IbLb1EEEEDaSS_ST_EUlSS_E_NS1_11comp_targetILNS1_3genE0ELNS1_11target_archE4294967295ELNS1_3gpuE0ELNS1_3repE0EEENS1_30default_config_static_selectorELNS0_4arch9wavefront6targetE1EEEvT1_.uses_flat_scratch, 0
	.set _ZN7rocprim17ROCPRIM_400000_NS6detail17trampoline_kernelINS0_14default_configENS1_27scan_by_key_config_selectorIiiEEZZNS1_16scan_by_key_implILNS1_25lookback_scan_determinismE0ELb0ES3_PKiN6hipcub16HIPCUB_304000_NS21ConstantInputIteratorIilEEPiiNSB_3SumENSB_8EqualityEiEE10hipError_tPvRmT2_T3_T4_T5_mT6_T7_P12ihipStream_tbENKUlT_T0_E_clISt17integral_constantIbLb0EESW_IbLb1EEEEDaSS_ST_EUlSS_E_NS1_11comp_targetILNS1_3genE0ELNS1_11target_archE4294967295ELNS1_3gpuE0ELNS1_3repE0EEENS1_30default_config_static_selectorELNS0_4arch9wavefront6targetE1EEEvT1_.has_dyn_sized_stack, 0
	.set _ZN7rocprim17ROCPRIM_400000_NS6detail17trampoline_kernelINS0_14default_configENS1_27scan_by_key_config_selectorIiiEEZZNS1_16scan_by_key_implILNS1_25lookback_scan_determinismE0ELb0ES3_PKiN6hipcub16HIPCUB_304000_NS21ConstantInputIteratorIilEEPiiNSB_3SumENSB_8EqualityEiEE10hipError_tPvRmT2_T3_T4_T5_mT6_T7_P12ihipStream_tbENKUlT_T0_E_clISt17integral_constantIbLb0EESW_IbLb1EEEEDaSS_ST_EUlSS_E_NS1_11comp_targetILNS1_3genE0ELNS1_11target_archE4294967295ELNS1_3gpuE0ELNS1_3repE0EEENS1_30default_config_static_selectorELNS0_4arch9wavefront6targetE1EEEvT1_.has_recursion, 0
	.set _ZN7rocprim17ROCPRIM_400000_NS6detail17trampoline_kernelINS0_14default_configENS1_27scan_by_key_config_selectorIiiEEZZNS1_16scan_by_key_implILNS1_25lookback_scan_determinismE0ELb0ES3_PKiN6hipcub16HIPCUB_304000_NS21ConstantInputIteratorIilEEPiiNSB_3SumENSB_8EqualityEiEE10hipError_tPvRmT2_T3_T4_T5_mT6_T7_P12ihipStream_tbENKUlT_T0_E_clISt17integral_constantIbLb0EESW_IbLb1EEEEDaSS_ST_EUlSS_E_NS1_11comp_targetILNS1_3genE0ELNS1_11target_archE4294967295ELNS1_3gpuE0ELNS1_3repE0EEENS1_30default_config_static_selectorELNS0_4arch9wavefront6targetE1EEEvT1_.has_indirect_call, 0
	.section	.AMDGPU.csdata,"",@progbits
; Kernel info:
; codeLenInByte = 10052
; TotalNumSgprs: 66
; NumVgprs: 62
; NumAgprs: 0
; TotalNumVgprs: 62
; ScratchSize: 0
; MemoryBound: 0
; FloatMode: 240
; IeeeMode: 1
; LDSByteSize: 14336 bytes/workgroup (compile time only)
; SGPRBlocks: 8
; VGPRBlocks: 7
; NumSGPRsForWavesPerEU: 66
; NumVGPRsForWavesPerEU: 62
; AccumOffset: 64
; Occupancy: 8
; WaveLimiterHint : 1
; COMPUTE_PGM_RSRC2:SCRATCH_EN: 0
; COMPUTE_PGM_RSRC2:USER_SGPR: 2
; COMPUTE_PGM_RSRC2:TRAP_HANDLER: 0
; COMPUTE_PGM_RSRC2:TGID_X_EN: 1
; COMPUTE_PGM_RSRC2:TGID_Y_EN: 0
; COMPUTE_PGM_RSRC2:TGID_Z_EN: 0
; COMPUTE_PGM_RSRC2:TIDIG_COMP_CNT: 0
; COMPUTE_PGM_RSRC3_GFX90A:ACCUM_OFFSET: 15
; COMPUTE_PGM_RSRC3_GFX90A:TG_SPLIT: 0
	.section	.text._ZN7rocprim17ROCPRIM_400000_NS6detail17trampoline_kernelINS0_14default_configENS1_27scan_by_key_config_selectorIiiEEZZNS1_16scan_by_key_implILNS1_25lookback_scan_determinismE0ELb0ES3_PKiN6hipcub16HIPCUB_304000_NS21ConstantInputIteratorIilEEPiiNSB_3SumENSB_8EqualityEiEE10hipError_tPvRmT2_T3_T4_T5_mT6_T7_P12ihipStream_tbENKUlT_T0_E_clISt17integral_constantIbLb0EESW_IbLb1EEEEDaSS_ST_EUlSS_E_NS1_11comp_targetILNS1_3genE10ELNS1_11target_archE1201ELNS1_3gpuE5ELNS1_3repE0EEENS1_30default_config_static_selectorELNS0_4arch9wavefront6targetE1EEEvT1_,"axG",@progbits,_ZN7rocprim17ROCPRIM_400000_NS6detail17trampoline_kernelINS0_14default_configENS1_27scan_by_key_config_selectorIiiEEZZNS1_16scan_by_key_implILNS1_25lookback_scan_determinismE0ELb0ES3_PKiN6hipcub16HIPCUB_304000_NS21ConstantInputIteratorIilEEPiiNSB_3SumENSB_8EqualityEiEE10hipError_tPvRmT2_T3_T4_T5_mT6_T7_P12ihipStream_tbENKUlT_T0_E_clISt17integral_constantIbLb0EESW_IbLb1EEEEDaSS_ST_EUlSS_E_NS1_11comp_targetILNS1_3genE10ELNS1_11target_archE1201ELNS1_3gpuE5ELNS1_3repE0EEENS1_30default_config_static_selectorELNS0_4arch9wavefront6targetE1EEEvT1_,comdat
	.protected	_ZN7rocprim17ROCPRIM_400000_NS6detail17trampoline_kernelINS0_14default_configENS1_27scan_by_key_config_selectorIiiEEZZNS1_16scan_by_key_implILNS1_25lookback_scan_determinismE0ELb0ES3_PKiN6hipcub16HIPCUB_304000_NS21ConstantInputIteratorIilEEPiiNSB_3SumENSB_8EqualityEiEE10hipError_tPvRmT2_T3_T4_T5_mT6_T7_P12ihipStream_tbENKUlT_T0_E_clISt17integral_constantIbLb0EESW_IbLb1EEEEDaSS_ST_EUlSS_E_NS1_11comp_targetILNS1_3genE10ELNS1_11target_archE1201ELNS1_3gpuE5ELNS1_3repE0EEENS1_30default_config_static_selectorELNS0_4arch9wavefront6targetE1EEEvT1_ ; -- Begin function _ZN7rocprim17ROCPRIM_400000_NS6detail17trampoline_kernelINS0_14default_configENS1_27scan_by_key_config_selectorIiiEEZZNS1_16scan_by_key_implILNS1_25lookback_scan_determinismE0ELb0ES3_PKiN6hipcub16HIPCUB_304000_NS21ConstantInputIteratorIilEEPiiNSB_3SumENSB_8EqualityEiEE10hipError_tPvRmT2_T3_T4_T5_mT6_T7_P12ihipStream_tbENKUlT_T0_E_clISt17integral_constantIbLb0EESW_IbLb1EEEEDaSS_ST_EUlSS_E_NS1_11comp_targetILNS1_3genE10ELNS1_11target_archE1201ELNS1_3gpuE5ELNS1_3repE0EEENS1_30default_config_static_selectorELNS0_4arch9wavefront6targetE1EEEvT1_
	.globl	_ZN7rocprim17ROCPRIM_400000_NS6detail17trampoline_kernelINS0_14default_configENS1_27scan_by_key_config_selectorIiiEEZZNS1_16scan_by_key_implILNS1_25lookback_scan_determinismE0ELb0ES3_PKiN6hipcub16HIPCUB_304000_NS21ConstantInputIteratorIilEEPiiNSB_3SumENSB_8EqualityEiEE10hipError_tPvRmT2_T3_T4_T5_mT6_T7_P12ihipStream_tbENKUlT_T0_E_clISt17integral_constantIbLb0EESW_IbLb1EEEEDaSS_ST_EUlSS_E_NS1_11comp_targetILNS1_3genE10ELNS1_11target_archE1201ELNS1_3gpuE5ELNS1_3repE0EEENS1_30default_config_static_selectorELNS0_4arch9wavefront6targetE1EEEvT1_
	.p2align	8
	.type	_ZN7rocprim17ROCPRIM_400000_NS6detail17trampoline_kernelINS0_14default_configENS1_27scan_by_key_config_selectorIiiEEZZNS1_16scan_by_key_implILNS1_25lookback_scan_determinismE0ELb0ES3_PKiN6hipcub16HIPCUB_304000_NS21ConstantInputIteratorIilEEPiiNSB_3SumENSB_8EqualityEiEE10hipError_tPvRmT2_T3_T4_T5_mT6_T7_P12ihipStream_tbENKUlT_T0_E_clISt17integral_constantIbLb0EESW_IbLb1EEEEDaSS_ST_EUlSS_E_NS1_11comp_targetILNS1_3genE10ELNS1_11target_archE1201ELNS1_3gpuE5ELNS1_3repE0EEENS1_30default_config_static_selectorELNS0_4arch9wavefront6targetE1EEEvT1_,@function
_ZN7rocprim17ROCPRIM_400000_NS6detail17trampoline_kernelINS0_14default_configENS1_27scan_by_key_config_selectorIiiEEZZNS1_16scan_by_key_implILNS1_25lookback_scan_determinismE0ELb0ES3_PKiN6hipcub16HIPCUB_304000_NS21ConstantInputIteratorIilEEPiiNSB_3SumENSB_8EqualityEiEE10hipError_tPvRmT2_T3_T4_T5_mT6_T7_P12ihipStream_tbENKUlT_T0_E_clISt17integral_constantIbLb0EESW_IbLb1EEEEDaSS_ST_EUlSS_E_NS1_11comp_targetILNS1_3genE10ELNS1_11target_archE1201ELNS1_3gpuE5ELNS1_3repE0EEENS1_30default_config_static_selectorELNS0_4arch9wavefront6targetE1EEEvT1_: ; @_ZN7rocprim17ROCPRIM_400000_NS6detail17trampoline_kernelINS0_14default_configENS1_27scan_by_key_config_selectorIiiEEZZNS1_16scan_by_key_implILNS1_25lookback_scan_determinismE0ELb0ES3_PKiN6hipcub16HIPCUB_304000_NS21ConstantInputIteratorIilEEPiiNSB_3SumENSB_8EqualityEiEE10hipError_tPvRmT2_T3_T4_T5_mT6_T7_P12ihipStream_tbENKUlT_T0_E_clISt17integral_constantIbLb0EESW_IbLb1EEEEDaSS_ST_EUlSS_E_NS1_11comp_targetILNS1_3genE10ELNS1_11target_archE1201ELNS1_3gpuE5ELNS1_3repE0EEENS1_30default_config_static_selectorELNS0_4arch9wavefront6targetE1EEEvT1_
; %bb.0:
	.section	.rodata,"a",@progbits
	.p2align	6, 0x0
	.amdhsa_kernel _ZN7rocprim17ROCPRIM_400000_NS6detail17trampoline_kernelINS0_14default_configENS1_27scan_by_key_config_selectorIiiEEZZNS1_16scan_by_key_implILNS1_25lookback_scan_determinismE0ELb0ES3_PKiN6hipcub16HIPCUB_304000_NS21ConstantInputIteratorIilEEPiiNSB_3SumENSB_8EqualityEiEE10hipError_tPvRmT2_T3_T4_T5_mT6_T7_P12ihipStream_tbENKUlT_T0_E_clISt17integral_constantIbLb0EESW_IbLb1EEEEDaSS_ST_EUlSS_E_NS1_11comp_targetILNS1_3genE10ELNS1_11target_archE1201ELNS1_3gpuE5ELNS1_3repE0EEENS1_30default_config_static_selectorELNS0_4arch9wavefront6targetE1EEEvT1_
		.amdhsa_group_segment_fixed_size 0
		.amdhsa_private_segment_fixed_size 0
		.amdhsa_kernarg_size 120
		.amdhsa_user_sgpr_count 2
		.amdhsa_user_sgpr_dispatch_ptr 0
		.amdhsa_user_sgpr_queue_ptr 0
		.amdhsa_user_sgpr_kernarg_segment_ptr 1
		.amdhsa_user_sgpr_dispatch_id 0
		.amdhsa_user_sgpr_kernarg_preload_length 0
		.amdhsa_user_sgpr_kernarg_preload_offset 0
		.amdhsa_user_sgpr_private_segment_size 0
		.amdhsa_uses_dynamic_stack 0
		.amdhsa_enable_private_segment 0
		.amdhsa_system_sgpr_workgroup_id_x 1
		.amdhsa_system_sgpr_workgroup_id_y 0
		.amdhsa_system_sgpr_workgroup_id_z 0
		.amdhsa_system_sgpr_workgroup_info 0
		.amdhsa_system_vgpr_workitem_id 0
		.amdhsa_next_free_vgpr 1
		.amdhsa_next_free_sgpr 0
		.amdhsa_accum_offset 4
		.amdhsa_reserve_vcc 0
		.amdhsa_float_round_mode_32 0
		.amdhsa_float_round_mode_16_64 0
		.amdhsa_float_denorm_mode_32 3
		.amdhsa_float_denorm_mode_16_64 3
		.amdhsa_dx10_clamp 1
		.amdhsa_ieee_mode 1
		.amdhsa_fp16_overflow 0
		.amdhsa_tg_split 0
		.amdhsa_exception_fp_ieee_invalid_op 0
		.amdhsa_exception_fp_denorm_src 0
		.amdhsa_exception_fp_ieee_div_zero 0
		.amdhsa_exception_fp_ieee_overflow 0
		.amdhsa_exception_fp_ieee_underflow 0
		.amdhsa_exception_fp_ieee_inexact 0
		.amdhsa_exception_int_div_zero 0
	.end_amdhsa_kernel
	.section	.text._ZN7rocprim17ROCPRIM_400000_NS6detail17trampoline_kernelINS0_14default_configENS1_27scan_by_key_config_selectorIiiEEZZNS1_16scan_by_key_implILNS1_25lookback_scan_determinismE0ELb0ES3_PKiN6hipcub16HIPCUB_304000_NS21ConstantInputIteratorIilEEPiiNSB_3SumENSB_8EqualityEiEE10hipError_tPvRmT2_T3_T4_T5_mT6_T7_P12ihipStream_tbENKUlT_T0_E_clISt17integral_constantIbLb0EESW_IbLb1EEEEDaSS_ST_EUlSS_E_NS1_11comp_targetILNS1_3genE10ELNS1_11target_archE1201ELNS1_3gpuE5ELNS1_3repE0EEENS1_30default_config_static_selectorELNS0_4arch9wavefront6targetE1EEEvT1_,"axG",@progbits,_ZN7rocprim17ROCPRIM_400000_NS6detail17trampoline_kernelINS0_14default_configENS1_27scan_by_key_config_selectorIiiEEZZNS1_16scan_by_key_implILNS1_25lookback_scan_determinismE0ELb0ES3_PKiN6hipcub16HIPCUB_304000_NS21ConstantInputIteratorIilEEPiiNSB_3SumENSB_8EqualityEiEE10hipError_tPvRmT2_T3_T4_T5_mT6_T7_P12ihipStream_tbENKUlT_T0_E_clISt17integral_constantIbLb0EESW_IbLb1EEEEDaSS_ST_EUlSS_E_NS1_11comp_targetILNS1_3genE10ELNS1_11target_archE1201ELNS1_3gpuE5ELNS1_3repE0EEENS1_30default_config_static_selectorELNS0_4arch9wavefront6targetE1EEEvT1_,comdat
.Lfunc_end44:
	.size	_ZN7rocprim17ROCPRIM_400000_NS6detail17trampoline_kernelINS0_14default_configENS1_27scan_by_key_config_selectorIiiEEZZNS1_16scan_by_key_implILNS1_25lookback_scan_determinismE0ELb0ES3_PKiN6hipcub16HIPCUB_304000_NS21ConstantInputIteratorIilEEPiiNSB_3SumENSB_8EqualityEiEE10hipError_tPvRmT2_T3_T4_T5_mT6_T7_P12ihipStream_tbENKUlT_T0_E_clISt17integral_constantIbLb0EESW_IbLb1EEEEDaSS_ST_EUlSS_E_NS1_11comp_targetILNS1_3genE10ELNS1_11target_archE1201ELNS1_3gpuE5ELNS1_3repE0EEENS1_30default_config_static_selectorELNS0_4arch9wavefront6targetE1EEEvT1_, .Lfunc_end44-_ZN7rocprim17ROCPRIM_400000_NS6detail17trampoline_kernelINS0_14default_configENS1_27scan_by_key_config_selectorIiiEEZZNS1_16scan_by_key_implILNS1_25lookback_scan_determinismE0ELb0ES3_PKiN6hipcub16HIPCUB_304000_NS21ConstantInputIteratorIilEEPiiNSB_3SumENSB_8EqualityEiEE10hipError_tPvRmT2_T3_T4_T5_mT6_T7_P12ihipStream_tbENKUlT_T0_E_clISt17integral_constantIbLb0EESW_IbLb1EEEEDaSS_ST_EUlSS_E_NS1_11comp_targetILNS1_3genE10ELNS1_11target_archE1201ELNS1_3gpuE5ELNS1_3repE0EEENS1_30default_config_static_selectorELNS0_4arch9wavefront6targetE1EEEvT1_
                                        ; -- End function
	.set _ZN7rocprim17ROCPRIM_400000_NS6detail17trampoline_kernelINS0_14default_configENS1_27scan_by_key_config_selectorIiiEEZZNS1_16scan_by_key_implILNS1_25lookback_scan_determinismE0ELb0ES3_PKiN6hipcub16HIPCUB_304000_NS21ConstantInputIteratorIilEEPiiNSB_3SumENSB_8EqualityEiEE10hipError_tPvRmT2_T3_T4_T5_mT6_T7_P12ihipStream_tbENKUlT_T0_E_clISt17integral_constantIbLb0EESW_IbLb1EEEEDaSS_ST_EUlSS_E_NS1_11comp_targetILNS1_3genE10ELNS1_11target_archE1201ELNS1_3gpuE5ELNS1_3repE0EEENS1_30default_config_static_selectorELNS0_4arch9wavefront6targetE1EEEvT1_.num_vgpr, 0
	.set _ZN7rocprim17ROCPRIM_400000_NS6detail17trampoline_kernelINS0_14default_configENS1_27scan_by_key_config_selectorIiiEEZZNS1_16scan_by_key_implILNS1_25lookback_scan_determinismE0ELb0ES3_PKiN6hipcub16HIPCUB_304000_NS21ConstantInputIteratorIilEEPiiNSB_3SumENSB_8EqualityEiEE10hipError_tPvRmT2_T3_T4_T5_mT6_T7_P12ihipStream_tbENKUlT_T0_E_clISt17integral_constantIbLb0EESW_IbLb1EEEEDaSS_ST_EUlSS_E_NS1_11comp_targetILNS1_3genE10ELNS1_11target_archE1201ELNS1_3gpuE5ELNS1_3repE0EEENS1_30default_config_static_selectorELNS0_4arch9wavefront6targetE1EEEvT1_.num_agpr, 0
	.set _ZN7rocprim17ROCPRIM_400000_NS6detail17trampoline_kernelINS0_14default_configENS1_27scan_by_key_config_selectorIiiEEZZNS1_16scan_by_key_implILNS1_25lookback_scan_determinismE0ELb0ES3_PKiN6hipcub16HIPCUB_304000_NS21ConstantInputIteratorIilEEPiiNSB_3SumENSB_8EqualityEiEE10hipError_tPvRmT2_T3_T4_T5_mT6_T7_P12ihipStream_tbENKUlT_T0_E_clISt17integral_constantIbLb0EESW_IbLb1EEEEDaSS_ST_EUlSS_E_NS1_11comp_targetILNS1_3genE10ELNS1_11target_archE1201ELNS1_3gpuE5ELNS1_3repE0EEENS1_30default_config_static_selectorELNS0_4arch9wavefront6targetE1EEEvT1_.numbered_sgpr, 0
	.set _ZN7rocprim17ROCPRIM_400000_NS6detail17trampoline_kernelINS0_14default_configENS1_27scan_by_key_config_selectorIiiEEZZNS1_16scan_by_key_implILNS1_25lookback_scan_determinismE0ELb0ES3_PKiN6hipcub16HIPCUB_304000_NS21ConstantInputIteratorIilEEPiiNSB_3SumENSB_8EqualityEiEE10hipError_tPvRmT2_T3_T4_T5_mT6_T7_P12ihipStream_tbENKUlT_T0_E_clISt17integral_constantIbLb0EESW_IbLb1EEEEDaSS_ST_EUlSS_E_NS1_11comp_targetILNS1_3genE10ELNS1_11target_archE1201ELNS1_3gpuE5ELNS1_3repE0EEENS1_30default_config_static_selectorELNS0_4arch9wavefront6targetE1EEEvT1_.num_named_barrier, 0
	.set _ZN7rocprim17ROCPRIM_400000_NS6detail17trampoline_kernelINS0_14default_configENS1_27scan_by_key_config_selectorIiiEEZZNS1_16scan_by_key_implILNS1_25lookback_scan_determinismE0ELb0ES3_PKiN6hipcub16HIPCUB_304000_NS21ConstantInputIteratorIilEEPiiNSB_3SumENSB_8EqualityEiEE10hipError_tPvRmT2_T3_T4_T5_mT6_T7_P12ihipStream_tbENKUlT_T0_E_clISt17integral_constantIbLb0EESW_IbLb1EEEEDaSS_ST_EUlSS_E_NS1_11comp_targetILNS1_3genE10ELNS1_11target_archE1201ELNS1_3gpuE5ELNS1_3repE0EEENS1_30default_config_static_selectorELNS0_4arch9wavefront6targetE1EEEvT1_.private_seg_size, 0
	.set _ZN7rocprim17ROCPRIM_400000_NS6detail17trampoline_kernelINS0_14default_configENS1_27scan_by_key_config_selectorIiiEEZZNS1_16scan_by_key_implILNS1_25lookback_scan_determinismE0ELb0ES3_PKiN6hipcub16HIPCUB_304000_NS21ConstantInputIteratorIilEEPiiNSB_3SumENSB_8EqualityEiEE10hipError_tPvRmT2_T3_T4_T5_mT6_T7_P12ihipStream_tbENKUlT_T0_E_clISt17integral_constantIbLb0EESW_IbLb1EEEEDaSS_ST_EUlSS_E_NS1_11comp_targetILNS1_3genE10ELNS1_11target_archE1201ELNS1_3gpuE5ELNS1_3repE0EEENS1_30default_config_static_selectorELNS0_4arch9wavefront6targetE1EEEvT1_.uses_vcc, 0
	.set _ZN7rocprim17ROCPRIM_400000_NS6detail17trampoline_kernelINS0_14default_configENS1_27scan_by_key_config_selectorIiiEEZZNS1_16scan_by_key_implILNS1_25lookback_scan_determinismE0ELb0ES3_PKiN6hipcub16HIPCUB_304000_NS21ConstantInputIteratorIilEEPiiNSB_3SumENSB_8EqualityEiEE10hipError_tPvRmT2_T3_T4_T5_mT6_T7_P12ihipStream_tbENKUlT_T0_E_clISt17integral_constantIbLb0EESW_IbLb1EEEEDaSS_ST_EUlSS_E_NS1_11comp_targetILNS1_3genE10ELNS1_11target_archE1201ELNS1_3gpuE5ELNS1_3repE0EEENS1_30default_config_static_selectorELNS0_4arch9wavefront6targetE1EEEvT1_.uses_flat_scratch, 0
	.set _ZN7rocprim17ROCPRIM_400000_NS6detail17trampoline_kernelINS0_14default_configENS1_27scan_by_key_config_selectorIiiEEZZNS1_16scan_by_key_implILNS1_25lookback_scan_determinismE0ELb0ES3_PKiN6hipcub16HIPCUB_304000_NS21ConstantInputIteratorIilEEPiiNSB_3SumENSB_8EqualityEiEE10hipError_tPvRmT2_T3_T4_T5_mT6_T7_P12ihipStream_tbENKUlT_T0_E_clISt17integral_constantIbLb0EESW_IbLb1EEEEDaSS_ST_EUlSS_E_NS1_11comp_targetILNS1_3genE10ELNS1_11target_archE1201ELNS1_3gpuE5ELNS1_3repE0EEENS1_30default_config_static_selectorELNS0_4arch9wavefront6targetE1EEEvT1_.has_dyn_sized_stack, 0
	.set _ZN7rocprim17ROCPRIM_400000_NS6detail17trampoline_kernelINS0_14default_configENS1_27scan_by_key_config_selectorIiiEEZZNS1_16scan_by_key_implILNS1_25lookback_scan_determinismE0ELb0ES3_PKiN6hipcub16HIPCUB_304000_NS21ConstantInputIteratorIilEEPiiNSB_3SumENSB_8EqualityEiEE10hipError_tPvRmT2_T3_T4_T5_mT6_T7_P12ihipStream_tbENKUlT_T0_E_clISt17integral_constantIbLb0EESW_IbLb1EEEEDaSS_ST_EUlSS_E_NS1_11comp_targetILNS1_3genE10ELNS1_11target_archE1201ELNS1_3gpuE5ELNS1_3repE0EEENS1_30default_config_static_selectorELNS0_4arch9wavefront6targetE1EEEvT1_.has_recursion, 0
	.set _ZN7rocprim17ROCPRIM_400000_NS6detail17trampoline_kernelINS0_14default_configENS1_27scan_by_key_config_selectorIiiEEZZNS1_16scan_by_key_implILNS1_25lookback_scan_determinismE0ELb0ES3_PKiN6hipcub16HIPCUB_304000_NS21ConstantInputIteratorIilEEPiiNSB_3SumENSB_8EqualityEiEE10hipError_tPvRmT2_T3_T4_T5_mT6_T7_P12ihipStream_tbENKUlT_T0_E_clISt17integral_constantIbLb0EESW_IbLb1EEEEDaSS_ST_EUlSS_E_NS1_11comp_targetILNS1_3genE10ELNS1_11target_archE1201ELNS1_3gpuE5ELNS1_3repE0EEENS1_30default_config_static_selectorELNS0_4arch9wavefront6targetE1EEEvT1_.has_indirect_call, 0
	.section	.AMDGPU.csdata,"",@progbits
; Kernel info:
; codeLenInByte = 0
; TotalNumSgprs: 6
; NumVgprs: 0
; NumAgprs: 0
; TotalNumVgprs: 0
; ScratchSize: 0
; MemoryBound: 0
; FloatMode: 240
; IeeeMode: 1
; LDSByteSize: 0 bytes/workgroup (compile time only)
; SGPRBlocks: 0
; VGPRBlocks: 0
; NumSGPRsForWavesPerEU: 6
; NumVGPRsForWavesPerEU: 1
; AccumOffset: 4
; Occupancy: 8
; WaveLimiterHint : 0
; COMPUTE_PGM_RSRC2:SCRATCH_EN: 0
; COMPUTE_PGM_RSRC2:USER_SGPR: 2
; COMPUTE_PGM_RSRC2:TRAP_HANDLER: 0
; COMPUTE_PGM_RSRC2:TGID_X_EN: 1
; COMPUTE_PGM_RSRC2:TGID_Y_EN: 0
; COMPUTE_PGM_RSRC2:TGID_Z_EN: 0
; COMPUTE_PGM_RSRC2:TIDIG_COMP_CNT: 0
; COMPUTE_PGM_RSRC3_GFX90A:ACCUM_OFFSET: 0
; COMPUTE_PGM_RSRC3_GFX90A:TG_SPLIT: 0
	.section	.text._ZN7rocprim17ROCPRIM_400000_NS6detail17trampoline_kernelINS0_14default_configENS1_27scan_by_key_config_selectorIiiEEZZNS1_16scan_by_key_implILNS1_25lookback_scan_determinismE0ELb0ES3_PKiN6hipcub16HIPCUB_304000_NS21ConstantInputIteratorIilEEPiiNSB_3SumENSB_8EqualityEiEE10hipError_tPvRmT2_T3_T4_T5_mT6_T7_P12ihipStream_tbENKUlT_T0_E_clISt17integral_constantIbLb0EESW_IbLb1EEEEDaSS_ST_EUlSS_E_NS1_11comp_targetILNS1_3genE5ELNS1_11target_archE942ELNS1_3gpuE9ELNS1_3repE0EEENS1_30default_config_static_selectorELNS0_4arch9wavefront6targetE1EEEvT1_,"axG",@progbits,_ZN7rocprim17ROCPRIM_400000_NS6detail17trampoline_kernelINS0_14default_configENS1_27scan_by_key_config_selectorIiiEEZZNS1_16scan_by_key_implILNS1_25lookback_scan_determinismE0ELb0ES3_PKiN6hipcub16HIPCUB_304000_NS21ConstantInputIteratorIilEEPiiNSB_3SumENSB_8EqualityEiEE10hipError_tPvRmT2_T3_T4_T5_mT6_T7_P12ihipStream_tbENKUlT_T0_E_clISt17integral_constantIbLb0EESW_IbLb1EEEEDaSS_ST_EUlSS_E_NS1_11comp_targetILNS1_3genE5ELNS1_11target_archE942ELNS1_3gpuE9ELNS1_3repE0EEENS1_30default_config_static_selectorELNS0_4arch9wavefront6targetE1EEEvT1_,comdat
	.protected	_ZN7rocprim17ROCPRIM_400000_NS6detail17trampoline_kernelINS0_14default_configENS1_27scan_by_key_config_selectorIiiEEZZNS1_16scan_by_key_implILNS1_25lookback_scan_determinismE0ELb0ES3_PKiN6hipcub16HIPCUB_304000_NS21ConstantInputIteratorIilEEPiiNSB_3SumENSB_8EqualityEiEE10hipError_tPvRmT2_T3_T4_T5_mT6_T7_P12ihipStream_tbENKUlT_T0_E_clISt17integral_constantIbLb0EESW_IbLb1EEEEDaSS_ST_EUlSS_E_NS1_11comp_targetILNS1_3genE5ELNS1_11target_archE942ELNS1_3gpuE9ELNS1_3repE0EEENS1_30default_config_static_selectorELNS0_4arch9wavefront6targetE1EEEvT1_ ; -- Begin function _ZN7rocprim17ROCPRIM_400000_NS6detail17trampoline_kernelINS0_14default_configENS1_27scan_by_key_config_selectorIiiEEZZNS1_16scan_by_key_implILNS1_25lookback_scan_determinismE0ELb0ES3_PKiN6hipcub16HIPCUB_304000_NS21ConstantInputIteratorIilEEPiiNSB_3SumENSB_8EqualityEiEE10hipError_tPvRmT2_T3_T4_T5_mT6_T7_P12ihipStream_tbENKUlT_T0_E_clISt17integral_constantIbLb0EESW_IbLb1EEEEDaSS_ST_EUlSS_E_NS1_11comp_targetILNS1_3genE5ELNS1_11target_archE942ELNS1_3gpuE9ELNS1_3repE0EEENS1_30default_config_static_selectorELNS0_4arch9wavefront6targetE1EEEvT1_
	.globl	_ZN7rocprim17ROCPRIM_400000_NS6detail17trampoline_kernelINS0_14default_configENS1_27scan_by_key_config_selectorIiiEEZZNS1_16scan_by_key_implILNS1_25lookback_scan_determinismE0ELb0ES3_PKiN6hipcub16HIPCUB_304000_NS21ConstantInputIteratorIilEEPiiNSB_3SumENSB_8EqualityEiEE10hipError_tPvRmT2_T3_T4_T5_mT6_T7_P12ihipStream_tbENKUlT_T0_E_clISt17integral_constantIbLb0EESW_IbLb1EEEEDaSS_ST_EUlSS_E_NS1_11comp_targetILNS1_3genE5ELNS1_11target_archE942ELNS1_3gpuE9ELNS1_3repE0EEENS1_30default_config_static_selectorELNS0_4arch9wavefront6targetE1EEEvT1_
	.p2align	8
	.type	_ZN7rocprim17ROCPRIM_400000_NS6detail17trampoline_kernelINS0_14default_configENS1_27scan_by_key_config_selectorIiiEEZZNS1_16scan_by_key_implILNS1_25lookback_scan_determinismE0ELb0ES3_PKiN6hipcub16HIPCUB_304000_NS21ConstantInputIteratorIilEEPiiNSB_3SumENSB_8EqualityEiEE10hipError_tPvRmT2_T3_T4_T5_mT6_T7_P12ihipStream_tbENKUlT_T0_E_clISt17integral_constantIbLb0EESW_IbLb1EEEEDaSS_ST_EUlSS_E_NS1_11comp_targetILNS1_3genE5ELNS1_11target_archE942ELNS1_3gpuE9ELNS1_3repE0EEENS1_30default_config_static_selectorELNS0_4arch9wavefront6targetE1EEEvT1_,@function
_ZN7rocprim17ROCPRIM_400000_NS6detail17trampoline_kernelINS0_14default_configENS1_27scan_by_key_config_selectorIiiEEZZNS1_16scan_by_key_implILNS1_25lookback_scan_determinismE0ELb0ES3_PKiN6hipcub16HIPCUB_304000_NS21ConstantInputIteratorIilEEPiiNSB_3SumENSB_8EqualityEiEE10hipError_tPvRmT2_T3_T4_T5_mT6_T7_P12ihipStream_tbENKUlT_T0_E_clISt17integral_constantIbLb0EESW_IbLb1EEEEDaSS_ST_EUlSS_E_NS1_11comp_targetILNS1_3genE5ELNS1_11target_archE942ELNS1_3gpuE9ELNS1_3repE0EEENS1_30default_config_static_selectorELNS0_4arch9wavefront6targetE1EEEvT1_: ; @_ZN7rocprim17ROCPRIM_400000_NS6detail17trampoline_kernelINS0_14default_configENS1_27scan_by_key_config_selectorIiiEEZZNS1_16scan_by_key_implILNS1_25lookback_scan_determinismE0ELb0ES3_PKiN6hipcub16HIPCUB_304000_NS21ConstantInputIteratorIilEEPiiNSB_3SumENSB_8EqualityEiEE10hipError_tPvRmT2_T3_T4_T5_mT6_T7_P12ihipStream_tbENKUlT_T0_E_clISt17integral_constantIbLb0EESW_IbLb1EEEEDaSS_ST_EUlSS_E_NS1_11comp_targetILNS1_3genE5ELNS1_11target_archE942ELNS1_3gpuE9ELNS1_3repE0EEENS1_30default_config_static_selectorELNS0_4arch9wavefront6targetE1EEEvT1_
; %bb.0:
	.section	.rodata,"a",@progbits
	.p2align	6, 0x0
	.amdhsa_kernel _ZN7rocprim17ROCPRIM_400000_NS6detail17trampoline_kernelINS0_14default_configENS1_27scan_by_key_config_selectorIiiEEZZNS1_16scan_by_key_implILNS1_25lookback_scan_determinismE0ELb0ES3_PKiN6hipcub16HIPCUB_304000_NS21ConstantInputIteratorIilEEPiiNSB_3SumENSB_8EqualityEiEE10hipError_tPvRmT2_T3_T4_T5_mT6_T7_P12ihipStream_tbENKUlT_T0_E_clISt17integral_constantIbLb0EESW_IbLb1EEEEDaSS_ST_EUlSS_E_NS1_11comp_targetILNS1_3genE5ELNS1_11target_archE942ELNS1_3gpuE9ELNS1_3repE0EEENS1_30default_config_static_selectorELNS0_4arch9wavefront6targetE1EEEvT1_
		.amdhsa_group_segment_fixed_size 0
		.amdhsa_private_segment_fixed_size 0
		.amdhsa_kernarg_size 120
		.amdhsa_user_sgpr_count 2
		.amdhsa_user_sgpr_dispatch_ptr 0
		.amdhsa_user_sgpr_queue_ptr 0
		.amdhsa_user_sgpr_kernarg_segment_ptr 1
		.amdhsa_user_sgpr_dispatch_id 0
		.amdhsa_user_sgpr_kernarg_preload_length 0
		.amdhsa_user_sgpr_kernarg_preload_offset 0
		.amdhsa_user_sgpr_private_segment_size 0
		.amdhsa_uses_dynamic_stack 0
		.amdhsa_enable_private_segment 0
		.amdhsa_system_sgpr_workgroup_id_x 1
		.amdhsa_system_sgpr_workgroup_id_y 0
		.amdhsa_system_sgpr_workgroup_id_z 0
		.amdhsa_system_sgpr_workgroup_info 0
		.amdhsa_system_vgpr_workitem_id 0
		.amdhsa_next_free_vgpr 1
		.amdhsa_next_free_sgpr 0
		.amdhsa_accum_offset 4
		.amdhsa_reserve_vcc 0
		.amdhsa_float_round_mode_32 0
		.amdhsa_float_round_mode_16_64 0
		.amdhsa_float_denorm_mode_32 3
		.amdhsa_float_denorm_mode_16_64 3
		.amdhsa_dx10_clamp 1
		.amdhsa_ieee_mode 1
		.amdhsa_fp16_overflow 0
		.amdhsa_tg_split 0
		.amdhsa_exception_fp_ieee_invalid_op 0
		.amdhsa_exception_fp_denorm_src 0
		.amdhsa_exception_fp_ieee_div_zero 0
		.amdhsa_exception_fp_ieee_overflow 0
		.amdhsa_exception_fp_ieee_underflow 0
		.amdhsa_exception_fp_ieee_inexact 0
		.amdhsa_exception_int_div_zero 0
	.end_amdhsa_kernel
	.section	.text._ZN7rocprim17ROCPRIM_400000_NS6detail17trampoline_kernelINS0_14default_configENS1_27scan_by_key_config_selectorIiiEEZZNS1_16scan_by_key_implILNS1_25lookback_scan_determinismE0ELb0ES3_PKiN6hipcub16HIPCUB_304000_NS21ConstantInputIteratorIilEEPiiNSB_3SumENSB_8EqualityEiEE10hipError_tPvRmT2_T3_T4_T5_mT6_T7_P12ihipStream_tbENKUlT_T0_E_clISt17integral_constantIbLb0EESW_IbLb1EEEEDaSS_ST_EUlSS_E_NS1_11comp_targetILNS1_3genE5ELNS1_11target_archE942ELNS1_3gpuE9ELNS1_3repE0EEENS1_30default_config_static_selectorELNS0_4arch9wavefront6targetE1EEEvT1_,"axG",@progbits,_ZN7rocprim17ROCPRIM_400000_NS6detail17trampoline_kernelINS0_14default_configENS1_27scan_by_key_config_selectorIiiEEZZNS1_16scan_by_key_implILNS1_25lookback_scan_determinismE0ELb0ES3_PKiN6hipcub16HIPCUB_304000_NS21ConstantInputIteratorIilEEPiiNSB_3SumENSB_8EqualityEiEE10hipError_tPvRmT2_T3_T4_T5_mT6_T7_P12ihipStream_tbENKUlT_T0_E_clISt17integral_constantIbLb0EESW_IbLb1EEEEDaSS_ST_EUlSS_E_NS1_11comp_targetILNS1_3genE5ELNS1_11target_archE942ELNS1_3gpuE9ELNS1_3repE0EEENS1_30default_config_static_selectorELNS0_4arch9wavefront6targetE1EEEvT1_,comdat
.Lfunc_end45:
	.size	_ZN7rocprim17ROCPRIM_400000_NS6detail17trampoline_kernelINS0_14default_configENS1_27scan_by_key_config_selectorIiiEEZZNS1_16scan_by_key_implILNS1_25lookback_scan_determinismE0ELb0ES3_PKiN6hipcub16HIPCUB_304000_NS21ConstantInputIteratorIilEEPiiNSB_3SumENSB_8EqualityEiEE10hipError_tPvRmT2_T3_T4_T5_mT6_T7_P12ihipStream_tbENKUlT_T0_E_clISt17integral_constantIbLb0EESW_IbLb1EEEEDaSS_ST_EUlSS_E_NS1_11comp_targetILNS1_3genE5ELNS1_11target_archE942ELNS1_3gpuE9ELNS1_3repE0EEENS1_30default_config_static_selectorELNS0_4arch9wavefront6targetE1EEEvT1_, .Lfunc_end45-_ZN7rocprim17ROCPRIM_400000_NS6detail17trampoline_kernelINS0_14default_configENS1_27scan_by_key_config_selectorIiiEEZZNS1_16scan_by_key_implILNS1_25lookback_scan_determinismE0ELb0ES3_PKiN6hipcub16HIPCUB_304000_NS21ConstantInputIteratorIilEEPiiNSB_3SumENSB_8EqualityEiEE10hipError_tPvRmT2_T3_T4_T5_mT6_T7_P12ihipStream_tbENKUlT_T0_E_clISt17integral_constantIbLb0EESW_IbLb1EEEEDaSS_ST_EUlSS_E_NS1_11comp_targetILNS1_3genE5ELNS1_11target_archE942ELNS1_3gpuE9ELNS1_3repE0EEENS1_30default_config_static_selectorELNS0_4arch9wavefront6targetE1EEEvT1_
                                        ; -- End function
	.set _ZN7rocprim17ROCPRIM_400000_NS6detail17trampoline_kernelINS0_14default_configENS1_27scan_by_key_config_selectorIiiEEZZNS1_16scan_by_key_implILNS1_25lookback_scan_determinismE0ELb0ES3_PKiN6hipcub16HIPCUB_304000_NS21ConstantInputIteratorIilEEPiiNSB_3SumENSB_8EqualityEiEE10hipError_tPvRmT2_T3_T4_T5_mT6_T7_P12ihipStream_tbENKUlT_T0_E_clISt17integral_constantIbLb0EESW_IbLb1EEEEDaSS_ST_EUlSS_E_NS1_11comp_targetILNS1_3genE5ELNS1_11target_archE942ELNS1_3gpuE9ELNS1_3repE0EEENS1_30default_config_static_selectorELNS0_4arch9wavefront6targetE1EEEvT1_.num_vgpr, 0
	.set _ZN7rocprim17ROCPRIM_400000_NS6detail17trampoline_kernelINS0_14default_configENS1_27scan_by_key_config_selectorIiiEEZZNS1_16scan_by_key_implILNS1_25lookback_scan_determinismE0ELb0ES3_PKiN6hipcub16HIPCUB_304000_NS21ConstantInputIteratorIilEEPiiNSB_3SumENSB_8EqualityEiEE10hipError_tPvRmT2_T3_T4_T5_mT6_T7_P12ihipStream_tbENKUlT_T0_E_clISt17integral_constantIbLb0EESW_IbLb1EEEEDaSS_ST_EUlSS_E_NS1_11comp_targetILNS1_3genE5ELNS1_11target_archE942ELNS1_3gpuE9ELNS1_3repE0EEENS1_30default_config_static_selectorELNS0_4arch9wavefront6targetE1EEEvT1_.num_agpr, 0
	.set _ZN7rocprim17ROCPRIM_400000_NS6detail17trampoline_kernelINS0_14default_configENS1_27scan_by_key_config_selectorIiiEEZZNS1_16scan_by_key_implILNS1_25lookback_scan_determinismE0ELb0ES3_PKiN6hipcub16HIPCUB_304000_NS21ConstantInputIteratorIilEEPiiNSB_3SumENSB_8EqualityEiEE10hipError_tPvRmT2_T3_T4_T5_mT6_T7_P12ihipStream_tbENKUlT_T0_E_clISt17integral_constantIbLb0EESW_IbLb1EEEEDaSS_ST_EUlSS_E_NS1_11comp_targetILNS1_3genE5ELNS1_11target_archE942ELNS1_3gpuE9ELNS1_3repE0EEENS1_30default_config_static_selectorELNS0_4arch9wavefront6targetE1EEEvT1_.numbered_sgpr, 0
	.set _ZN7rocprim17ROCPRIM_400000_NS6detail17trampoline_kernelINS0_14default_configENS1_27scan_by_key_config_selectorIiiEEZZNS1_16scan_by_key_implILNS1_25lookback_scan_determinismE0ELb0ES3_PKiN6hipcub16HIPCUB_304000_NS21ConstantInputIteratorIilEEPiiNSB_3SumENSB_8EqualityEiEE10hipError_tPvRmT2_T3_T4_T5_mT6_T7_P12ihipStream_tbENKUlT_T0_E_clISt17integral_constantIbLb0EESW_IbLb1EEEEDaSS_ST_EUlSS_E_NS1_11comp_targetILNS1_3genE5ELNS1_11target_archE942ELNS1_3gpuE9ELNS1_3repE0EEENS1_30default_config_static_selectorELNS0_4arch9wavefront6targetE1EEEvT1_.num_named_barrier, 0
	.set _ZN7rocprim17ROCPRIM_400000_NS6detail17trampoline_kernelINS0_14default_configENS1_27scan_by_key_config_selectorIiiEEZZNS1_16scan_by_key_implILNS1_25lookback_scan_determinismE0ELb0ES3_PKiN6hipcub16HIPCUB_304000_NS21ConstantInputIteratorIilEEPiiNSB_3SumENSB_8EqualityEiEE10hipError_tPvRmT2_T3_T4_T5_mT6_T7_P12ihipStream_tbENKUlT_T0_E_clISt17integral_constantIbLb0EESW_IbLb1EEEEDaSS_ST_EUlSS_E_NS1_11comp_targetILNS1_3genE5ELNS1_11target_archE942ELNS1_3gpuE9ELNS1_3repE0EEENS1_30default_config_static_selectorELNS0_4arch9wavefront6targetE1EEEvT1_.private_seg_size, 0
	.set _ZN7rocprim17ROCPRIM_400000_NS6detail17trampoline_kernelINS0_14default_configENS1_27scan_by_key_config_selectorIiiEEZZNS1_16scan_by_key_implILNS1_25lookback_scan_determinismE0ELb0ES3_PKiN6hipcub16HIPCUB_304000_NS21ConstantInputIteratorIilEEPiiNSB_3SumENSB_8EqualityEiEE10hipError_tPvRmT2_T3_T4_T5_mT6_T7_P12ihipStream_tbENKUlT_T0_E_clISt17integral_constantIbLb0EESW_IbLb1EEEEDaSS_ST_EUlSS_E_NS1_11comp_targetILNS1_3genE5ELNS1_11target_archE942ELNS1_3gpuE9ELNS1_3repE0EEENS1_30default_config_static_selectorELNS0_4arch9wavefront6targetE1EEEvT1_.uses_vcc, 0
	.set _ZN7rocprim17ROCPRIM_400000_NS6detail17trampoline_kernelINS0_14default_configENS1_27scan_by_key_config_selectorIiiEEZZNS1_16scan_by_key_implILNS1_25lookback_scan_determinismE0ELb0ES3_PKiN6hipcub16HIPCUB_304000_NS21ConstantInputIteratorIilEEPiiNSB_3SumENSB_8EqualityEiEE10hipError_tPvRmT2_T3_T4_T5_mT6_T7_P12ihipStream_tbENKUlT_T0_E_clISt17integral_constantIbLb0EESW_IbLb1EEEEDaSS_ST_EUlSS_E_NS1_11comp_targetILNS1_3genE5ELNS1_11target_archE942ELNS1_3gpuE9ELNS1_3repE0EEENS1_30default_config_static_selectorELNS0_4arch9wavefront6targetE1EEEvT1_.uses_flat_scratch, 0
	.set _ZN7rocprim17ROCPRIM_400000_NS6detail17trampoline_kernelINS0_14default_configENS1_27scan_by_key_config_selectorIiiEEZZNS1_16scan_by_key_implILNS1_25lookback_scan_determinismE0ELb0ES3_PKiN6hipcub16HIPCUB_304000_NS21ConstantInputIteratorIilEEPiiNSB_3SumENSB_8EqualityEiEE10hipError_tPvRmT2_T3_T4_T5_mT6_T7_P12ihipStream_tbENKUlT_T0_E_clISt17integral_constantIbLb0EESW_IbLb1EEEEDaSS_ST_EUlSS_E_NS1_11comp_targetILNS1_3genE5ELNS1_11target_archE942ELNS1_3gpuE9ELNS1_3repE0EEENS1_30default_config_static_selectorELNS0_4arch9wavefront6targetE1EEEvT1_.has_dyn_sized_stack, 0
	.set _ZN7rocprim17ROCPRIM_400000_NS6detail17trampoline_kernelINS0_14default_configENS1_27scan_by_key_config_selectorIiiEEZZNS1_16scan_by_key_implILNS1_25lookback_scan_determinismE0ELb0ES3_PKiN6hipcub16HIPCUB_304000_NS21ConstantInputIteratorIilEEPiiNSB_3SumENSB_8EqualityEiEE10hipError_tPvRmT2_T3_T4_T5_mT6_T7_P12ihipStream_tbENKUlT_T0_E_clISt17integral_constantIbLb0EESW_IbLb1EEEEDaSS_ST_EUlSS_E_NS1_11comp_targetILNS1_3genE5ELNS1_11target_archE942ELNS1_3gpuE9ELNS1_3repE0EEENS1_30default_config_static_selectorELNS0_4arch9wavefront6targetE1EEEvT1_.has_recursion, 0
	.set _ZN7rocprim17ROCPRIM_400000_NS6detail17trampoline_kernelINS0_14default_configENS1_27scan_by_key_config_selectorIiiEEZZNS1_16scan_by_key_implILNS1_25lookback_scan_determinismE0ELb0ES3_PKiN6hipcub16HIPCUB_304000_NS21ConstantInputIteratorIilEEPiiNSB_3SumENSB_8EqualityEiEE10hipError_tPvRmT2_T3_T4_T5_mT6_T7_P12ihipStream_tbENKUlT_T0_E_clISt17integral_constantIbLb0EESW_IbLb1EEEEDaSS_ST_EUlSS_E_NS1_11comp_targetILNS1_3genE5ELNS1_11target_archE942ELNS1_3gpuE9ELNS1_3repE0EEENS1_30default_config_static_selectorELNS0_4arch9wavefront6targetE1EEEvT1_.has_indirect_call, 0
	.section	.AMDGPU.csdata,"",@progbits
; Kernel info:
; codeLenInByte = 0
; TotalNumSgprs: 6
; NumVgprs: 0
; NumAgprs: 0
; TotalNumVgprs: 0
; ScratchSize: 0
; MemoryBound: 0
; FloatMode: 240
; IeeeMode: 1
; LDSByteSize: 0 bytes/workgroup (compile time only)
; SGPRBlocks: 0
; VGPRBlocks: 0
; NumSGPRsForWavesPerEU: 6
; NumVGPRsForWavesPerEU: 1
; AccumOffset: 4
; Occupancy: 8
; WaveLimiterHint : 0
; COMPUTE_PGM_RSRC2:SCRATCH_EN: 0
; COMPUTE_PGM_RSRC2:USER_SGPR: 2
; COMPUTE_PGM_RSRC2:TRAP_HANDLER: 0
; COMPUTE_PGM_RSRC2:TGID_X_EN: 1
; COMPUTE_PGM_RSRC2:TGID_Y_EN: 0
; COMPUTE_PGM_RSRC2:TGID_Z_EN: 0
; COMPUTE_PGM_RSRC2:TIDIG_COMP_CNT: 0
; COMPUTE_PGM_RSRC3_GFX90A:ACCUM_OFFSET: 0
; COMPUTE_PGM_RSRC3_GFX90A:TG_SPLIT: 0
	.section	.text._ZN7rocprim17ROCPRIM_400000_NS6detail17trampoline_kernelINS0_14default_configENS1_27scan_by_key_config_selectorIiiEEZZNS1_16scan_by_key_implILNS1_25lookback_scan_determinismE0ELb0ES3_PKiN6hipcub16HIPCUB_304000_NS21ConstantInputIteratorIilEEPiiNSB_3SumENSB_8EqualityEiEE10hipError_tPvRmT2_T3_T4_T5_mT6_T7_P12ihipStream_tbENKUlT_T0_E_clISt17integral_constantIbLb0EESW_IbLb1EEEEDaSS_ST_EUlSS_E_NS1_11comp_targetILNS1_3genE4ELNS1_11target_archE910ELNS1_3gpuE8ELNS1_3repE0EEENS1_30default_config_static_selectorELNS0_4arch9wavefront6targetE1EEEvT1_,"axG",@progbits,_ZN7rocprim17ROCPRIM_400000_NS6detail17trampoline_kernelINS0_14default_configENS1_27scan_by_key_config_selectorIiiEEZZNS1_16scan_by_key_implILNS1_25lookback_scan_determinismE0ELb0ES3_PKiN6hipcub16HIPCUB_304000_NS21ConstantInputIteratorIilEEPiiNSB_3SumENSB_8EqualityEiEE10hipError_tPvRmT2_T3_T4_T5_mT6_T7_P12ihipStream_tbENKUlT_T0_E_clISt17integral_constantIbLb0EESW_IbLb1EEEEDaSS_ST_EUlSS_E_NS1_11comp_targetILNS1_3genE4ELNS1_11target_archE910ELNS1_3gpuE8ELNS1_3repE0EEENS1_30default_config_static_selectorELNS0_4arch9wavefront6targetE1EEEvT1_,comdat
	.protected	_ZN7rocprim17ROCPRIM_400000_NS6detail17trampoline_kernelINS0_14default_configENS1_27scan_by_key_config_selectorIiiEEZZNS1_16scan_by_key_implILNS1_25lookback_scan_determinismE0ELb0ES3_PKiN6hipcub16HIPCUB_304000_NS21ConstantInputIteratorIilEEPiiNSB_3SumENSB_8EqualityEiEE10hipError_tPvRmT2_T3_T4_T5_mT6_T7_P12ihipStream_tbENKUlT_T0_E_clISt17integral_constantIbLb0EESW_IbLb1EEEEDaSS_ST_EUlSS_E_NS1_11comp_targetILNS1_3genE4ELNS1_11target_archE910ELNS1_3gpuE8ELNS1_3repE0EEENS1_30default_config_static_selectorELNS0_4arch9wavefront6targetE1EEEvT1_ ; -- Begin function _ZN7rocprim17ROCPRIM_400000_NS6detail17trampoline_kernelINS0_14default_configENS1_27scan_by_key_config_selectorIiiEEZZNS1_16scan_by_key_implILNS1_25lookback_scan_determinismE0ELb0ES3_PKiN6hipcub16HIPCUB_304000_NS21ConstantInputIteratorIilEEPiiNSB_3SumENSB_8EqualityEiEE10hipError_tPvRmT2_T3_T4_T5_mT6_T7_P12ihipStream_tbENKUlT_T0_E_clISt17integral_constantIbLb0EESW_IbLb1EEEEDaSS_ST_EUlSS_E_NS1_11comp_targetILNS1_3genE4ELNS1_11target_archE910ELNS1_3gpuE8ELNS1_3repE0EEENS1_30default_config_static_selectorELNS0_4arch9wavefront6targetE1EEEvT1_
	.globl	_ZN7rocprim17ROCPRIM_400000_NS6detail17trampoline_kernelINS0_14default_configENS1_27scan_by_key_config_selectorIiiEEZZNS1_16scan_by_key_implILNS1_25lookback_scan_determinismE0ELb0ES3_PKiN6hipcub16HIPCUB_304000_NS21ConstantInputIteratorIilEEPiiNSB_3SumENSB_8EqualityEiEE10hipError_tPvRmT2_T3_T4_T5_mT6_T7_P12ihipStream_tbENKUlT_T0_E_clISt17integral_constantIbLb0EESW_IbLb1EEEEDaSS_ST_EUlSS_E_NS1_11comp_targetILNS1_3genE4ELNS1_11target_archE910ELNS1_3gpuE8ELNS1_3repE0EEENS1_30default_config_static_selectorELNS0_4arch9wavefront6targetE1EEEvT1_
	.p2align	8
	.type	_ZN7rocprim17ROCPRIM_400000_NS6detail17trampoline_kernelINS0_14default_configENS1_27scan_by_key_config_selectorIiiEEZZNS1_16scan_by_key_implILNS1_25lookback_scan_determinismE0ELb0ES3_PKiN6hipcub16HIPCUB_304000_NS21ConstantInputIteratorIilEEPiiNSB_3SumENSB_8EqualityEiEE10hipError_tPvRmT2_T3_T4_T5_mT6_T7_P12ihipStream_tbENKUlT_T0_E_clISt17integral_constantIbLb0EESW_IbLb1EEEEDaSS_ST_EUlSS_E_NS1_11comp_targetILNS1_3genE4ELNS1_11target_archE910ELNS1_3gpuE8ELNS1_3repE0EEENS1_30default_config_static_selectorELNS0_4arch9wavefront6targetE1EEEvT1_,@function
_ZN7rocprim17ROCPRIM_400000_NS6detail17trampoline_kernelINS0_14default_configENS1_27scan_by_key_config_selectorIiiEEZZNS1_16scan_by_key_implILNS1_25lookback_scan_determinismE0ELb0ES3_PKiN6hipcub16HIPCUB_304000_NS21ConstantInputIteratorIilEEPiiNSB_3SumENSB_8EqualityEiEE10hipError_tPvRmT2_T3_T4_T5_mT6_T7_P12ihipStream_tbENKUlT_T0_E_clISt17integral_constantIbLb0EESW_IbLb1EEEEDaSS_ST_EUlSS_E_NS1_11comp_targetILNS1_3genE4ELNS1_11target_archE910ELNS1_3gpuE8ELNS1_3repE0EEENS1_30default_config_static_selectorELNS0_4arch9wavefront6targetE1EEEvT1_: ; @_ZN7rocprim17ROCPRIM_400000_NS6detail17trampoline_kernelINS0_14default_configENS1_27scan_by_key_config_selectorIiiEEZZNS1_16scan_by_key_implILNS1_25lookback_scan_determinismE0ELb0ES3_PKiN6hipcub16HIPCUB_304000_NS21ConstantInputIteratorIilEEPiiNSB_3SumENSB_8EqualityEiEE10hipError_tPvRmT2_T3_T4_T5_mT6_T7_P12ihipStream_tbENKUlT_T0_E_clISt17integral_constantIbLb0EESW_IbLb1EEEEDaSS_ST_EUlSS_E_NS1_11comp_targetILNS1_3genE4ELNS1_11target_archE910ELNS1_3gpuE8ELNS1_3repE0EEENS1_30default_config_static_selectorELNS0_4arch9wavefront6targetE1EEEvT1_
; %bb.0:
	.section	.rodata,"a",@progbits
	.p2align	6, 0x0
	.amdhsa_kernel _ZN7rocprim17ROCPRIM_400000_NS6detail17trampoline_kernelINS0_14default_configENS1_27scan_by_key_config_selectorIiiEEZZNS1_16scan_by_key_implILNS1_25lookback_scan_determinismE0ELb0ES3_PKiN6hipcub16HIPCUB_304000_NS21ConstantInputIteratorIilEEPiiNSB_3SumENSB_8EqualityEiEE10hipError_tPvRmT2_T3_T4_T5_mT6_T7_P12ihipStream_tbENKUlT_T0_E_clISt17integral_constantIbLb0EESW_IbLb1EEEEDaSS_ST_EUlSS_E_NS1_11comp_targetILNS1_3genE4ELNS1_11target_archE910ELNS1_3gpuE8ELNS1_3repE0EEENS1_30default_config_static_selectorELNS0_4arch9wavefront6targetE1EEEvT1_
		.amdhsa_group_segment_fixed_size 0
		.amdhsa_private_segment_fixed_size 0
		.amdhsa_kernarg_size 120
		.amdhsa_user_sgpr_count 2
		.amdhsa_user_sgpr_dispatch_ptr 0
		.amdhsa_user_sgpr_queue_ptr 0
		.amdhsa_user_sgpr_kernarg_segment_ptr 1
		.amdhsa_user_sgpr_dispatch_id 0
		.amdhsa_user_sgpr_kernarg_preload_length 0
		.amdhsa_user_sgpr_kernarg_preload_offset 0
		.amdhsa_user_sgpr_private_segment_size 0
		.amdhsa_uses_dynamic_stack 0
		.amdhsa_enable_private_segment 0
		.amdhsa_system_sgpr_workgroup_id_x 1
		.amdhsa_system_sgpr_workgroup_id_y 0
		.amdhsa_system_sgpr_workgroup_id_z 0
		.amdhsa_system_sgpr_workgroup_info 0
		.amdhsa_system_vgpr_workitem_id 0
		.amdhsa_next_free_vgpr 1
		.amdhsa_next_free_sgpr 0
		.amdhsa_accum_offset 4
		.amdhsa_reserve_vcc 0
		.amdhsa_float_round_mode_32 0
		.amdhsa_float_round_mode_16_64 0
		.amdhsa_float_denorm_mode_32 3
		.amdhsa_float_denorm_mode_16_64 3
		.amdhsa_dx10_clamp 1
		.amdhsa_ieee_mode 1
		.amdhsa_fp16_overflow 0
		.amdhsa_tg_split 0
		.amdhsa_exception_fp_ieee_invalid_op 0
		.amdhsa_exception_fp_denorm_src 0
		.amdhsa_exception_fp_ieee_div_zero 0
		.amdhsa_exception_fp_ieee_overflow 0
		.amdhsa_exception_fp_ieee_underflow 0
		.amdhsa_exception_fp_ieee_inexact 0
		.amdhsa_exception_int_div_zero 0
	.end_amdhsa_kernel
	.section	.text._ZN7rocprim17ROCPRIM_400000_NS6detail17trampoline_kernelINS0_14default_configENS1_27scan_by_key_config_selectorIiiEEZZNS1_16scan_by_key_implILNS1_25lookback_scan_determinismE0ELb0ES3_PKiN6hipcub16HIPCUB_304000_NS21ConstantInputIteratorIilEEPiiNSB_3SumENSB_8EqualityEiEE10hipError_tPvRmT2_T3_T4_T5_mT6_T7_P12ihipStream_tbENKUlT_T0_E_clISt17integral_constantIbLb0EESW_IbLb1EEEEDaSS_ST_EUlSS_E_NS1_11comp_targetILNS1_3genE4ELNS1_11target_archE910ELNS1_3gpuE8ELNS1_3repE0EEENS1_30default_config_static_selectorELNS0_4arch9wavefront6targetE1EEEvT1_,"axG",@progbits,_ZN7rocprim17ROCPRIM_400000_NS6detail17trampoline_kernelINS0_14default_configENS1_27scan_by_key_config_selectorIiiEEZZNS1_16scan_by_key_implILNS1_25lookback_scan_determinismE0ELb0ES3_PKiN6hipcub16HIPCUB_304000_NS21ConstantInputIteratorIilEEPiiNSB_3SumENSB_8EqualityEiEE10hipError_tPvRmT2_T3_T4_T5_mT6_T7_P12ihipStream_tbENKUlT_T0_E_clISt17integral_constantIbLb0EESW_IbLb1EEEEDaSS_ST_EUlSS_E_NS1_11comp_targetILNS1_3genE4ELNS1_11target_archE910ELNS1_3gpuE8ELNS1_3repE0EEENS1_30default_config_static_selectorELNS0_4arch9wavefront6targetE1EEEvT1_,comdat
.Lfunc_end46:
	.size	_ZN7rocprim17ROCPRIM_400000_NS6detail17trampoline_kernelINS0_14default_configENS1_27scan_by_key_config_selectorIiiEEZZNS1_16scan_by_key_implILNS1_25lookback_scan_determinismE0ELb0ES3_PKiN6hipcub16HIPCUB_304000_NS21ConstantInputIteratorIilEEPiiNSB_3SumENSB_8EqualityEiEE10hipError_tPvRmT2_T3_T4_T5_mT6_T7_P12ihipStream_tbENKUlT_T0_E_clISt17integral_constantIbLb0EESW_IbLb1EEEEDaSS_ST_EUlSS_E_NS1_11comp_targetILNS1_3genE4ELNS1_11target_archE910ELNS1_3gpuE8ELNS1_3repE0EEENS1_30default_config_static_selectorELNS0_4arch9wavefront6targetE1EEEvT1_, .Lfunc_end46-_ZN7rocprim17ROCPRIM_400000_NS6detail17trampoline_kernelINS0_14default_configENS1_27scan_by_key_config_selectorIiiEEZZNS1_16scan_by_key_implILNS1_25lookback_scan_determinismE0ELb0ES3_PKiN6hipcub16HIPCUB_304000_NS21ConstantInputIteratorIilEEPiiNSB_3SumENSB_8EqualityEiEE10hipError_tPvRmT2_T3_T4_T5_mT6_T7_P12ihipStream_tbENKUlT_T0_E_clISt17integral_constantIbLb0EESW_IbLb1EEEEDaSS_ST_EUlSS_E_NS1_11comp_targetILNS1_3genE4ELNS1_11target_archE910ELNS1_3gpuE8ELNS1_3repE0EEENS1_30default_config_static_selectorELNS0_4arch9wavefront6targetE1EEEvT1_
                                        ; -- End function
	.set _ZN7rocprim17ROCPRIM_400000_NS6detail17trampoline_kernelINS0_14default_configENS1_27scan_by_key_config_selectorIiiEEZZNS1_16scan_by_key_implILNS1_25lookback_scan_determinismE0ELb0ES3_PKiN6hipcub16HIPCUB_304000_NS21ConstantInputIteratorIilEEPiiNSB_3SumENSB_8EqualityEiEE10hipError_tPvRmT2_T3_T4_T5_mT6_T7_P12ihipStream_tbENKUlT_T0_E_clISt17integral_constantIbLb0EESW_IbLb1EEEEDaSS_ST_EUlSS_E_NS1_11comp_targetILNS1_3genE4ELNS1_11target_archE910ELNS1_3gpuE8ELNS1_3repE0EEENS1_30default_config_static_selectorELNS0_4arch9wavefront6targetE1EEEvT1_.num_vgpr, 0
	.set _ZN7rocprim17ROCPRIM_400000_NS6detail17trampoline_kernelINS0_14default_configENS1_27scan_by_key_config_selectorIiiEEZZNS1_16scan_by_key_implILNS1_25lookback_scan_determinismE0ELb0ES3_PKiN6hipcub16HIPCUB_304000_NS21ConstantInputIteratorIilEEPiiNSB_3SumENSB_8EqualityEiEE10hipError_tPvRmT2_T3_T4_T5_mT6_T7_P12ihipStream_tbENKUlT_T0_E_clISt17integral_constantIbLb0EESW_IbLb1EEEEDaSS_ST_EUlSS_E_NS1_11comp_targetILNS1_3genE4ELNS1_11target_archE910ELNS1_3gpuE8ELNS1_3repE0EEENS1_30default_config_static_selectorELNS0_4arch9wavefront6targetE1EEEvT1_.num_agpr, 0
	.set _ZN7rocprim17ROCPRIM_400000_NS6detail17trampoline_kernelINS0_14default_configENS1_27scan_by_key_config_selectorIiiEEZZNS1_16scan_by_key_implILNS1_25lookback_scan_determinismE0ELb0ES3_PKiN6hipcub16HIPCUB_304000_NS21ConstantInputIteratorIilEEPiiNSB_3SumENSB_8EqualityEiEE10hipError_tPvRmT2_T3_T4_T5_mT6_T7_P12ihipStream_tbENKUlT_T0_E_clISt17integral_constantIbLb0EESW_IbLb1EEEEDaSS_ST_EUlSS_E_NS1_11comp_targetILNS1_3genE4ELNS1_11target_archE910ELNS1_3gpuE8ELNS1_3repE0EEENS1_30default_config_static_selectorELNS0_4arch9wavefront6targetE1EEEvT1_.numbered_sgpr, 0
	.set _ZN7rocprim17ROCPRIM_400000_NS6detail17trampoline_kernelINS0_14default_configENS1_27scan_by_key_config_selectorIiiEEZZNS1_16scan_by_key_implILNS1_25lookback_scan_determinismE0ELb0ES3_PKiN6hipcub16HIPCUB_304000_NS21ConstantInputIteratorIilEEPiiNSB_3SumENSB_8EqualityEiEE10hipError_tPvRmT2_T3_T4_T5_mT6_T7_P12ihipStream_tbENKUlT_T0_E_clISt17integral_constantIbLb0EESW_IbLb1EEEEDaSS_ST_EUlSS_E_NS1_11comp_targetILNS1_3genE4ELNS1_11target_archE910ELNS1_3gpuE8ELNS1_3repE0EEENS1_30default_config_static_selectorELNS0_4arch9wavefront6targetE1EEEvT1_.num_named_barrier, 0
	.set _ZN7rocprim17ROCPRIM_400000_NS6detail17trampoline_kernelINS0_14default_configENS1_27scan_by_key_config_selectorIiiEEZZNS1_16scan_by_key_implILNS1_25lookback_scan_determinismE0ELb0ES3_PKiN6hipcub16HIPCUB_304000_NS21ConstantInputIteratorIilEEPiiNSB_3SumENSB_8EqualityEiEE10hipError_tPvRmT2_T3_T4_T5_mT6_T7_P12ihipStream_tbENKUlT_T0_E_clISt17integral_constantIbLb0EESW_IbLb1EEEEDaSS_ST_EUlSS_E_NS1_11comp_targetILNS1_3genE4ELNS1_11target_archE910ELNS1_3gpuE8ELNS1_3repE0EEENS1_30default_config_static_selectorELNS0_4arch9wavefront6targetE1EEEvT1_.private_seg_size, 0
	.set _ZN7rocprim17ROCPRIM_400000_NS6detail17trampoline_kernelINS0_14default_configENS1_27scan_by_key_config_selectorIiiEEZZNS1_16scan_by_key_implILNS1_25lookback_scan_determinismE0ELb0ES3_PKiN6hipcub16HIPCUB_304000_NS21ConstantInputIteratorIilEEPiiNSB_3SumENSB_8EqualityEiEE10hipError_tPvRmT2_T3_T4_T5_mT6_T7_P12ihipStream_tbENKUlT_T0_E_clISt17integral_constantIbLb0EESW_IbLb1EEEEDaSS_ST_EUlSS_E_NS1_11comp_targetILNS1_3genE4ELNS1_11target_archE910ELNS1_3gpuE8ELNS1_3repE0EEENS1_30default_config_static_selectorELNS0_4arch9wavefront6targetE1EEEvT1_.uses_vcc, 0
	.set _ZN7rocprim17ROCPRIM_400000_NS6detail17trampoline_kernelINS0_14default_configENS1_27scan_by_key_config_selectorIiiEEZZNS1_16scan_by_key_implILNS1_25lookback_scan_determinismE0ELb0ES3_PKiN6hipcub16HIPCUB_304000_NS21ConstantInputIteratorIilEEPiiNSB_3SumENSB_8EqualityEiEE10hipError_tPvRmT2_T3_T4_T5_mT6_T7_P12ihipStream_tbENKUlT_T0_E_clISt17integral_constantIbLb0EESW_IbLb1EEEEDaSS_ST_EUlSS_E_NS1_11comp_targetILNS1_3genE4ELNS1_11target_archE910ELNS1_3gpuE8ELNS1_3repE0EEENS1_30default_config_static_selectorELNS0_4arch9wavefront6targetE1EEEvT1_.uses_flat_scratch, 0
	.set _ZN7rocprim17ROCPRIM_400000_NS6detail17trampoline_kernelINS0_14default_configENS1_27scan_by_key_config_selectorIiiEEZZNS1_16scan_by_key_implILNS1_25lookback_scan_determinismE0ELb0ES3_PKiN6hipcub16HIPCUB_304000_NS21ConstantInputIteratorIilEEPiiNSB_3SumENSB_8EqualityEiEE10hipError_tPvRmT2_T3_T4_T5_mT6_T7_P12ihipStream_tbENKUlT_T0_E_clISt17integral_constantIbLb0EESW_IbLb1EEEEDaSS_ST_EUlSS_E_NS1_11comp_targetILNS1_3genE4ELNS1_11target_archE910ELNS1_3gpuE8ELNS1_3repE0EEENS1_30default_config_static_selectorELNS0_4arch9wavefront6targetE1EEEvT1_.has_dyn_sized_stack, 0
	.set _ZN7rocprim17ROCPRIM_400000_NS6detail17trampoline_kernelINS0_14default_configENS1_27scan_by_key_config_selectorIiiEEZZNS1_16scan_by_key_implILNS1_25lookback_scan_determinismE0ELb0ES3_PKiN6hipcub16HIPCUB_304000_NS21ConstantInputIteratorIilEEPiiNSB_3SumENSB_8EqualityEiEE10hipError_tPvRmT2_T3_T4_T5_mT6_T7_P12ihipStream_tbENKUlT_T0_E_clISt17integral_constantIbLb0EESW_IbLb1EEEEDaSS_ST_EUlSS_E_NS1_11comp_targetILNS1_3genE4ELNS1_11target_archE910ELNS1_3gpuE8ELNS1_3repE0EEENS1_30default_config_static_selectorELNS0_4arch9wavefront6targetE1EEEvT1_.has_recursion, 0
	.set _ZN7rocprim17ROCPRIM_400000_NS6detail17trampoline_kernelINS0_14default_configENS1_27scan_by_key_config_selectorIiiEEZZNS1_16scan_by_key_implILNS1_25lookback_scan_determinismE0ELb0ES3_PKiN6hipcub16HIPCUB_304000_NS21ConstantInputIteratorIilEEPiiNSB_3SumENSB_8EqualityEiEE10hipError_tPvRmT2_T3_T4_T5_mT6_T7_P12ihipStream_tbENKUlT_T0_E_clISt17integral_constantIbLb0EESW_IbLb1EEEEDaSS_ST_EUlSS_E_NS1_11comp_targetILNS1_3genE4ELNS1_11target_archE910ELNS1_3gpuE8ELNS1_3repE0EEENS1_30default_config_static_selectorELNS0_4arch9wavefront6targetE1EEEvT1_.has_indirect_call, 0
	.section	.AMDGPU.csdata,"",@progbits
; Kernel info:
; codeLenInByte = 0
; TotalNumSgprs: 6
; NumVgprs: 0
; NumAgprs: 0
; TotalNumVgprs: 0
; ScratchSize: 0
; MemoryBound: 0
; FloatMode: 240
; IeeeMode: 1
; LDSByteSize: 0 bytes/workgroup (compile time only)
; SGPRBlocks: 0
; VGPRBlocks: 0
; NumSGPRsForWavesPerEU: 6
; NumVGPRsForWavesPerEU: 1
; AccumOffset: 4
; Occupancy: 8
; WaveLimiterHint : 0
; COMPUTE_PGM_RSRC2:SCRATCH_EN: 0
; COMPUTE_PGM_RSRC2:USER_SGPR: 2
; COMPUTE_PGM_RSRC2:TRAP_HANDLER: 0
; COMPUTE_PGM_RSRC2:TGID_X_EN: 1
; COMPUTE_PGM_RSRC2:TGID_Y_EN: 0
; COMPUTE_PGM_RSRC2:TGID_Z_EN: 0
; COMPUTE_PGM_RSRC2:TIDIG_COMP_CNT: 0
; COMPUTE_PGM_RSRC3_GFX90A:ACCUM_OFFSET: 0
; COMPUTE_PGM_RSRC3_GFX90A:TG_SPLIT: 0
	.section	.text._ZN7rocprim17ROCPRIM_400000_NS6detail17trampoline_kernelINS0_14default_configENS1_27scan_by_key_config_selectorIiiEEZZNS1_16scan_by_key_implILNS1_25lookback_scan_determinismE0ELb0ES3_PKiN6hipcub16HIPCUB_304000_NS21ConstantInputIteratorIilEEPiiNSB_3SumENSB_8EqualityEiEE10hipError_tPvRmT2_T3_T4_T5_mT6_T7_P12ihipStream_tbENKUlT_T0_E_clISt17integral_constantIbLb0EESW_IbLb1EEEEDaSS_ST_EUlSS_E_NS1_11comp_targetILNS1_3genE3ELNS1_11target_archE908ELNS1_3gpuE7ELNS1_3repE0EEENS1_30default_config_static_selectorELNS0_4arch9wavefront6targetE1EEEvT1_,"axG",@progbits,_ZN7rocprim17ROCPRIM_400000_NS6detail17trampoline_kernelINS0_14default_configENS1_27scan_by_key_config_selectorIiiEEZZNS1_16scan_by_key_implILNS1_25lookback_scan_determinismE0ELb0ES3_PKiN6hipcub16HIPCUB_304000_NS21ConstantInputIteratorIilEEPiiNSB_3SumENSB_8EqualityEiEE10hipError_tPvRmT2_T3_T4_T5_mT6_T7_P12ihipStream_tbENKUlT_T0_E_clISt17integral_constantIbLb0EESW_IbLb1EEEEDaSS_ST_EUlSS_E_NS1_11comp_targetILNS1_3genE3ELNS1_11target_archE908ELNS1_3gpuE7ELNS1_3repE0EEENS1_30default_config_static_selectorELNS0_4arch9wavefront6targetE1EEEvT1_,comdat
	.protected	_ZN7rocprim17ROCPRIM_400000_NS6detail17trampoline_kernelINS0_14default_configENS1_27scan_by_key_config_selectorIiiEEZZNS1_16scan_by_key_implILNS1_25lookback_scan_determinismE0ELb0ES3_PKiN6hipcub16HIPCUB_304000_NS21ConstantInputIteratorIilEEPiiNSB_3SumENSB_8EqualityEiEE10hipError_tPvRmT2_T3_T4_T5_mT6_T7_P12ihipStream_tbENKUlT_T0_E_clISt17integral_constantIbLb0EESW_IbLb1EEEEDaSS_ST_EUlSS_E_NS1_11comp_targetILNS1_3genE3ELNS1_11target_archE908ELNS1_3gpuE7ELNS1_3repE0EEENS1_30default_config_static_selectorELNS0_4arch9wavefront6targetE1EEEvT1_ ; -- Begin function _ZN7rocprim17ROCPRIM_400000_NS6detail17trampoline_kernelINS0_14default_configENS1_27scan_by_key_config_selectorIiiEEZZNS1_16scan_by_key_implILNS1_25lookback_scan_determinismE0ELb0ES3_PKiN6hipcub16HIPCUB_304000_NS21ConstantInputIteratorIilEEPiiNSB_3SumENSB_8EqualityEiEE10hipError_tPvRmT2_T3_T4_T5_mT6_T7_P12ihipStream_tbENKUlT_T0_E_clISt17integral_constantIbLb0EESW_IbLb1EEEEDaSS_ST_EUlSS_E_NS1_11comp_targetILNS1_3genE3ELNS1_11target_archE908ELNS1_3gpuE7ELNS1_3repE0EEENS1_30default_config_static_selectorELNS0_4arch9wavefront6targetE1EEEvT1_
	.globl	_ZN7rocprim17ROCPRIM_400000_NS6detail17trampoline_kernelINS0_14default_configENS1_27scan_by_key_config_selectorIiiEEZZNS1_16scan_by_key_implILNS1_25lookback_scan_determinismE0ELb0ES3_PKiN6hipcub16HIPCUB_304000_NS21ConstantInputIteratorIilEEPiiNSB_3SumENSB_8EqualityEiEE10hipError_tPvRmT2_T3_T4_T5_mT6_T7_P12ihipStream_tbENKUlT_T0_E_clISt17integral_constantIbLb0EESW_IbLb1EEEEDaSS_ST_EUlSS_E_NS1_11comp_targetILNS1_3genE3ELNS1_11target_archE908ELNS1_3gpuE7ELNS1_3repE0EEENS1_30default_config_static_selectorELNS0_4arch9wavefront6targetE1EEEvT1_
	.p2align	8
	.type	_ZN7rocprim17ROCPRIM_400000_NS6detail17trampoline_kernelINS0_14default_configENS1_27scan_by_key_config_selectorIiiEEZZNS1_16scan_by_key_implILNS1_25lookback_scan_determinismE0ELb0ES3_PKiN6hipcub16HIPCUB_304000_NS21ConstantInputIteratorIilEEPiiNSB_3SumENSB_8EqualityEiEE10hipError_tPvRmT2_T3_T4_T5_mT6_T7_P12ihipStream_tbENKUlT_T0_E_clISt17integral_constantIbLb0EESW_IbLb1EEEEDaSS_ST_EUlSS_E_NS1_11comp_targetILNS1_3genE3ELNS1_11target_archE908ELNS1_3gpuE7ELNS1_3repE0EEENS1_30default_config_static_selectorELNS0_4arch9wavefront6targetE1EEEvT1_,@function
_ZN7rocprim17ROCPRIM_400000_NS6detail17trampoline_kernelINS0_14default_configENS1_27scan_by_key_config_selectorIiiEEZZNS1_16scan_by_key_implILNS1_25lookback_scan_determinismE0ELb0ES3_PKiN6hipcub16HIPCUB_304000_NS21ConstantInputIteratorIilEEPiiNSB_3SumENSB_8EqualityEiEE10hipError_tPvRmT2_T3_T4_T5_mT6_T7_P12ihipStream_tbENKUlT_T0_E_clISt17integral_constantIbLb0EESW_IbLb1EEEEDaSS_ST_EUlSS_E_NS1_11comp_targetILNS1_3genE3ELNS1_11target_archE908ELNS1_3gpuE7ELNS1_3repE0EEENS1_30default_config_static_selectorELNS0_4arch9wavefront6targetE1EEEvT1_: ; @_ZN7rocprim17ROCPRIM_400000_NS6detail17trampoline_kernelINS0_14default_configENS1_27scan_by_key_config_selectorIiiEEZZNS1_16scan_by_key_implILNS1_25lookback_scan_determinismE0ELb0ES3_PKiN6hipcub16HIPCUB_304000_NS21ConstantInputIteratorIilEEPiiNSB_3SumENSB_8EqualityEiEE10hipError_tPvRmT2_T3_T4_T5_mT6_T7_P12ihipStream_tbENKUlT_T0_E_clISt17integral_constantIbLb0EESW_IbLb1EEEEDaSS_ST_EUlSS_E_NS1_11comp_targetILNS1_3genE3ELNS1_11target_archE908ELNS1_3gpuE7ELNS1_3repE0EEENS1_30default_config_static_selectorELNS0_4arch9wavefront6targetE1EEEvT1_
; %bb.0:
	.section	.rodata,"a",@progbits
	.p2align	6, 0x0
	.amdhsa_kernel _ZN7rocprim17ROCPRIM_400000_NS6detail17trampoline_kernelINS0_14default_configENS1_27scan_by_key_config_selectorIiiEEZZNS1_16scan_by_key_implILNS1_25lookback_scan_determinismE0ELb0ES3_PKiN6hipcub16HIPCUB_304000_NS21ConstantInputIteratorIilEEPiiNSB_3SumENSB_8EqualityEiEE10hipError_tPvRmT2_T3_T4_T5_mT6_T7_P12ihipStream_tbENKUlT_T0_E_clISt17integral_constantIbLb0EESW_IbLb1EEEEDaSS_ST_EUlSS_E_NS1_11comp_targetILNS1_3genE3ELNS1_11target_archE908ELNS1_3gpuE7ELNS1_3repE0EEENS1_30default_config_static_selectorELNS0_4arch9wavefront6targetE1EEEvT1_
		.amdhsa_group_segment_fixed_size 0
		.amdhsa_private_segment_fixed_size 0
		.amdhsa_kernarg_size 120
		.amdhsa_user_sgpr_count 2
		.amdhsa_user_sgpr_dispatch_ptr 0
		.amdhsa_user_sgpr_queue_ptr 0
		.amdhsa_user_sgpr_kernarg_segment_ptr 1
		.amdhsa_user_sgpr_dispatch_id 0
		.amdhsa_user_sgpr_kernarg_preload_length 0
		.amdhsa_user_sgpr_kernarg_preload_offset 0
		.amdhsa_user_sgpr_private_segment_size 0
		.amdhsa_uses_dynamic_stack 0
		.amdhsa_enable_private_segment 0
		.amdhsa_system_sgpr_workgroup_id_x 1
		.amdhsa_system_sgpr_workgroup_id_y 0
		.amdhsa_system_sgpr_workgroup_id_z 0
		.amdhsa_system_sgpr_workgroup_info 0
		.amdhsa_system_vgpr_workitem_id 0
		.amdhsa_next_free_vgpr 1
		.amdhsa_next_free_sgpr 0
		.amdhsa_accum_offset 4
		.amdhsa_reserve_vcc 0
		.amdhsa_float_round_mode_32 0
		.amdhsa_float_round_mode_16_64 0
		.amdhsa_float_denorm_mode_32 3
		.amdhsa_float_denorm_mode_16_64 3
		.amdhsa_dx10_clamp 1
		.amdhsa_ieee_mode 1
		.amdhsa_fp16_overflow 0
		.amdhsa_tg_split 0
		.amdhsa_exception_fp_ieee_invalid_op 0
		.amdhsa_exception_fp_denorm_src 0
		.amdhsa_exception_fp_ieee_div_zero 0
		.amdhsa_exception_fp_ieee_overflow 0
		.amdhsa_exception_fp_ieee_underflow 0
		.amdhsa_exception_fp_ieee_inexact 0
		.amdhsa_exception_int_div_zero 0
	.end_amdhsa_kernel
	.section	.text._ZN7rocprim17ROCPRIM_400000_NS6detail17trampoline_kernelINS0_14default_configENS1_27scan_by_key_config_selectorIiiEEZZNS1_16scan_by_key_implILNS1_25lookback_scan_determinismE0ELb0ES3_PKiN6hipcub16HIPCUB_304000_NS21ConstantInputIteratorIilEEPiiNSB_3SumENSB_8EqualityEiEE10hipError_tPvRmT2_T3_T4_T5_mT6_T7_P12ihipStream_tbENKUlT_T0_E_clISt17integral_constantIbLb0EESW_IbLb1EEEEDaSS_ST_EUlSS_E_NS1_11comp_targetILNS1_3genE3ELNS1_11target_archE908ELNS1_3gpuE7ELNS1_3repE0EEENS1_30default_config_static_selectorELNS0_4arch9wavefront6targetE1EEEvT1_,"axG",@progbits,_ZN7rocprim17ROCPRIM_400000_NS6detail17trampoline_kernelINS0_14default_configENS1_27scan_by_key_config_selectorIiiEEZZNS1_16scan_by_key_implILNS1_25lookback_scan_determinismE0ELb0ES3_PKiN6hipcub16HIPCUB_304000_NS21ConstantInputIteratorIilEEPiiNSB_3SumENSB_8EqualityEiEE10hipError_tPvRmT2_T3_T4_T5_mT6_T7_P12ihipStream_tbENKUlT_T0_E_clISt17integral_constantIbLb0EESW_IbLb1EEEEDaSS_ST_EUlSS_E_NS1_11comp_targetILNS1_3genE3ELNS1_11target_archE908ELNS1_3gpuE7ELNS1_3repE0EEENS1_30default_config_static_selectorELNS0_4arch9wavefront6targetE1EEEvT1_,comdat
.Lfunc_end47:
	.size	_ZN7rocprim17ROCPRIM_400000_NS6detail17trampoline_kernelINS0_14default_configENS1_27scan_by_key_config_selectorIiiEEZZNS1_16scan_by_key_implILNS1_25lookback_scan_determinismE0ELb0ES3_PKiN6hipcub16HIPCUB_304000_NS21ConstantInputIteratorIilEEPiiNSB_3SumENSB_8EqualityEiEE10hipError_tPvRmT2_T3_T4_T5_mT6_T7_P12ihipStream_tbENKUlT_T0_E_clISt17integral_constantIbLb0EESW_IbLb1EEEEDaSS_ST_EUlSS_E_NS1_11comp_targetILNS1_3genE3ELNS1_11target_archE908ELNS1_3gpuE7ELNS1_3repE0EEENS1_30default_config_static_selectorELNS0_4arch9wavefront6targetE1EEEvT1_, .Lfunc_end47-_ZN7rocprim17ROCPRIM_400000_NS6detail17trampoline_kernelINS0_14default_configENS1_27scan_by_key_config_selectorIiiEEZZNS1_16scan_by_key_implILNS1_25lookback_scan_determinismE0ELb0ES3_PKiN6hipcub16HIPCUB_304000_NS21ConstantInputIteratorIilEEPiiNSB_3SumENSB_8EqualityEiEE10hipError_tPvRmT2_T3_T4_T5_mT6_T7_P12ihipStream_tbENKUlT_T0_E_clISt17integral_constantIbLb0EESW_IbLb1EEEEDaSS_ST_EUlSS_E_NS1_11comp_targetILNS1_3genE3ELNS1_11target_archE908ELNS1_3gpuE7ELNS1_3repE0EEENS1_30default_config_static_selectorELNS0_4arch9wavefront6targetE1EEEvT1_
                                        ; -- End function
	.set _ZN7rocprim17ROCPRIM_400000_NS6detail17trampoline_kernelINS0_14default_configENS1_27scan_by_key_config_selectorIiiEEZZNS1_16scan_by_key_implILNS1_25lookback_scan_determinismE0ELb0ES3_PKiN6hipcub16HIPCUB_304000_NS21ConstantInputIteratorIilEEPiiNSB_3SumENSB_8EqualityEiEE10hipError_tPvRmT2_T3_T4_T5_mT6_T7_P12ihipStream_tbENKUlT_T0_E_clISt17integral_constantIbLb0EESW_IbLb1EEEEDaSS_ST_EUlSS_E_NS1_11comp_targetILNS1_3genE3ELNS1_11target_archE908ELNS1_3gpuE7ELNS1_3repE0EEENS1_30default_config_static_selectorELNS0_4arch9wavefront6targetE1EEEvT1_.num_vgpr, 0
	.set _ZN7rocprim17ROCPRIM_400000_NS6detail17trampoline_kernelINS0_14default_configENS1_27scan_by_key_config_selectorIiiEEZZNS1_16scan_by_key_implILNS1_25lookback_scan_determinismE0ELb0ES3_PKiN6hipcub16HIPCUB_304000_NS21ConstantInputIteratorIilEEPiiNSB_3SumENSB_8EqualityEiEE10hipError_tPvRmT2_T3_T4_T5_mT6_T7_P12ihipStream_tbENKUlT_T0_E_clISt17integral_constantIbLb0EESW_IbLb1EEEEDaSS_ST_EUlSS_E_NS1_11comp_targetILNS1_3genE3ELNS1_11target_archE908ELNS1_3gpuE7ELNS1_3repE0EEENS1_30default_config_static_selectorELNS0_4arch9wavefront6targetE1EEEvT1_.num_agpr, 0
	.set _ZN7rocprim17ROCPRIM_400000_NS6detail17trampoline_kernelINS0_14default_configENS1_27scan_by_key_config_selectorIiiEEZZNS1_16scan_by_key_implILNS1_25lookback_scan_determinismE0ELb0ES3_PKiN6hipcub16HIPCUB_304000_NS21ConstantInputIteratorIilEEPiiNSB_3SumENSB_8EqualityEiEE10hipError_tPvRmT2_T3_T4_T5_mT6_T7_P12ihipStream_tbENKUlT_T0_E_clISt17integral_constantIbLb0EESW_IbLb1EEEEDaSS_ST_EUlSS_E_NS1_11comp_targetILNS1_3genE3ELNS1_11target_archE908ELNS1_3gpuE7ELNS1_3repE0EEENS1_30default_config_static_selectorELNS0_4arch9wavefront6targetE1EEEvT1_.numbered_sgpr, 0
	.set _ZN7rocprim17ROCPRIM_400000_NS6detail17trampoline_kernelINS0_14default_configENS1_27scan_by_key_config_selectorIiiEEZZNS1_16scan_by_key_implILNS1_25lookback_scan_determinismE0ELb0ES3_PKiN6hipcub16HIPCUB_304000_NS21ConstantInputIteratorIilEEPiiNSB_3SumENSB_8EqualityEiEE10hipError_tPvRmT2_T3_T4_T5_mT6_T7_P12ihipStream_tbENKUlT_T0_E_clISt17integral_constantIbLb0EESW_IbLb1EEEEDaSS_ST_EUlSS_E_NS1_11comp_targetILNS1_3genE3ELNS1_11target_archE908ELNS1_3gpuE7ELNS1_3repE0EEENS1_30default_config_static_selectorELNS0_4arch9wavefront6targetE1EEEvT1_.num_named_barrier, 0
	.set _ZN7rocprim17ROCPRIM_400000_NS6detail17trampoline_kernelINS0_14default_configENS1_27scan_by_key_config_selectorIiiEEZZNS1_16scan_by_key_implILNS1_25lookback_scan_determinismE0ELb0ES3_PKiN6hipcub16HIPCUB_304000_NS21ConstantInputIteratorIilEEPiiNSB_3SumENSB_8EqualityEiEE10hipError_tPvRmT2_T3_T4_T5_mT6_T7_P12ihipStream_tbENKUlT_T0_E_clISt17integral_constantIbLb0EESW_IbLb1EEEEDaSS_ST_EUlSS_E_NS1_11comp_targetILNS1_3genE3ELNS1_11target_archE908ELNS1_3gpuE7ELNS1_3repE0EEENS1_30default_config_static_selectorELNS0_4arch9wavefront6targetE1EEEvT1_.private_seg_size, 0
	.set _ZN7rocprim17ROCPRIM_400000_NS6detail17trampoline_kernelINS0_14default_configENS1_27scan_by_key_config_selectorIiiEEZZNS1_16scan_by_key_implILNS1_25lookback_scan_determinismE0ELb0ES3_PKiN6hipcub16HIPCUB_304000_NS21ConstantInputIteratorIilEEPiiNSB_3SumENSB_8EqualityEiEE10hipError_tPvRmT2_T3_T4_T5_mT6_T7_P12ihipStream_tbENKUlT_T0_E_clISt17integral_constantIbLb0EESW_IbLb1EEEEDaSS_ST_EUlSS_E_NS1_11comp_targetILNS1_3genE3ELNS1_11target_archE908ELNS1_3gpuE7ELNS1_3repE0EEENS1_30default_config_static_selectorELNS0_4arch9wavefront6targetE1EEEvT1_.uses_vcc, 0
	.set _ZN7rocprim17ROCPRIM_400000_NS6detail17trampoline_kernelINS0_14default_configENS1_27scan_by_key_config_selectorIiiEEZZNS1_16scan_by_key_implILNS1_25lookback_scan_determinismE0ELb0ES3_PKiN6hipcub16HIPCUB_304000_NS21ConstantInputIteratorIilEEPiiNSB_3SumENSB_8EqualityEiEE10hipError_tPvRmT2_T3_T4_T5_mT6_T7_P12ihipStream_tbENKUlT_T0_E_clISt17integral_constantIbLb0EESW_IbLb1EEEEDaSS_ST_EUlSS_E_NS1_11comp_targetILNS1_3genE3ELNS1_11target_archE908ELNS1_3gpuE7ELNS1_3repE0EEENS1_30default_config_static_selectorELNS0_4arch9wavefront6targetE1EEEvT1_.uses_flat_scratch, 0
	.set _ZN7rocprim17ROCPRIM_400000_NS6detail17trampoline_kernelINS0_14default_configENS1_27scan_by_key_config_selectorIiiEEZZNS1_16scan_by_key_implILNS1_25lookback_scan_determinismE0ELb0ES3_PKiN6hipcub16HIPCUB_304000_NS21ConstantInputIteratorIilEEPiiNSB_3SumENSB_8EqualityEiEE10hipError_tPvRmT2_T3_T4_T5_mT6_T7_P12ihipStream_tbENKUlT_T0_E_clISt17integral_constantIbLb0EESW_IbLb1EEEEDaSS_ST_EUlSS_E_NS1_11comp_targetILNS1_3genE3ELNS1_11target_archE908ELNS1_3gpuE7ELNS1_3repE0EEENS1_30default_config_static_selectorELNS0_4arch9wavefront6targetE1EEEvT1_.has_dyn_sized_stack, 0
	.set _ZN7rocprim17ROCPRIM_400000_NS6detail17trampoline_kernelINS0_14default_configENS1_27scan_by_key_config_selectorIiiEEZZNS1_16scan_by_key_implILNS1_25lookback_scan_determinismE0ELb0ES3_PKiN6hipcub16HIPCUB_304000_NS21ConstantInputIteratorIilEEPiiNSB_3SumENSB_8EqualityEiEE10hipError_tPvRmT2_T3_T4_T5_mT6_T7_P12ihipStream_tbENKUlT_T0_E_clISt17integral_constantIbLb0EESW_IbLb1EEEEDaSS_ST_EUlSS_E_NS1_11comp_targetILNS1_3genE3ELNS1_11target_archE908ELNS1_3gpuE7ELNS1_3repE0EEENS1_30default_config_static_selectorELNS0_4arch9wavefront6targetE1EEEvT1_.has_recursion, 0
	.set _ZN7rocprim17ROCPRIM_400000_NS6detail17trampoline_kernelINS0_14default_configENS1_27scan_by_key_config_selectorIiiEEZZNS1_16scan_by_key_implILNS1_25lookback_scan_determinismE0ELb0ES3_PKiN6hipcub16HIPCUB_304000_NS21ConstantInputIteratorIilEEPiiNSB_3SumENSB_8EqualityEiEE10hipError_tPvRmT2_T3_T4_T5_mT6_T7_P12ihipStream_tbENKUlT_T0_E_clISt17integral_constantIbLb0EESW_IbLb1EEEEDaSS_ST_EUlSS_E_NS1_11comp_targetILNS1_3genE3ELNS1_11target_archE908ELNS1_3gpuE7ELNS1_3repE0EEENS1_30default_config_static_selectorELNS0_4arch9wavefront6targetE1EEEvT1_.has_indirect_call, 0
	.section	.AMDGPU.csdata,"",@progbits
; Kernel info:
; codeLenInByte = 0
; TotalNumSgprs: 6
; NumVgprs: 0
; NumAgprs: 0
; TotalNumVgprs: 0
; ScratchSize: 0
; MemoryBound: 0
; FloatMode: 240
; IeeeMode: 1
; LDSByteSize: 0 bytes/workgroup (compile time only)
; SGPRBlocks: 0
; VGPRBlocks: 0
; NumSGPRsForWavesPerEU: 6
; NumVGPRsForWavesPerEU: 1
; AccumOffset: 4
; Occupancy: 8
; WaveLimiterHint : 0
; COMPUTE_PGM_RSRC2:SCRATCH_EN: 0
; COMPUTE_PGM_RSRC2:USER_SGPR: 2
; COMPUTE_PGM_RSRC2:TRAP_HANDLER: 0
; COMPUTE_PGM_RSRC2:TGID_X_EN: 1
; COMPUTE_PGM_RSRC2:TGID_Y_EN: 0
; COMPUTE_PGM_RSRC2:TGID_Z_EN: 0
; COMPUTE_PGM_RSRC2:TIDIG_COMP_CNT: 0
; COMPUTE_PGM_RSRC3_GFX90A:ACCUM_OFFSET: 0
; COMPUTE_PGM_RSRC3_GFX90A:TG_SPLIT: 0
	.section	.text._ZN7rocprim17ROCPRIM_400000_NS6detail17trampoline_kernelINS0_14default_configENS1_27scan_by_key_config_selectorIiiEEZZNS1_16scan_by_key_implILNS1_25lookback_scan_determinismE0ELb0ES3_PKiN6hipcub16HIPCUB_304000_NS21ConstantInputIteratorIilEEPiiNSB_3SumENSB_8EqualityEiEE10hipError_tPvRmT2_T3_T4_T5_mT6_T7_P12ihipStream_tbENKUlT_T0_E_clISt17integral_constantIbLb0EESW_IbLb1EEEEDaSS_ST_EUlSS_E_NS1_11comp_targetILNS1_3genE2ELNS1_11target_archE906ELNS1_3gpuE6ELNS1_3repE0EEENS1_30default_config_static_selectorELNS0_4arch9wavefront6targetE1EEEvT1_,"axG",@progbits,_ZN7rocprim17ROCPRIM_400000_NS6detail17trampoline_kernelINS0_14default_configENS1_27scan_by_key_config_selectorIiiEEZZNS1_16scan_by_key_implILNS1_25lookback_scan_determinismE0ELb0ES3_PKiN6hipcub16HIPCUB_304000_NS21ConstantInputIteratorIilEEPiiNSB_3SumENSB_8EqualityEiEE10hipError_tPvRmT2_T3_T4_T5_mT6_T7_P12ihipStream_tbENKUlT_T0_E_clISt17integral_constantIbLb0EESW_IbLb1EEEEDaSS_ST_EUlSS_E_NS1_11comp_targetILNS1_3genE2ELNS1_11target_archE906ELNS1_3gpuE6ELNS1_3repE0EEENS1_30default_config_static_selectorELNS0_4arch9wavefront6targetE1EEEvT1_,comdat
	.protected	_ZN7rocprim17ROCPRIM_400000_NS6detail17trampoline_kernelINS0_14default_configENS1_27scan_by_key_config_selectorIiiEEZZNS1_16scan_by_key_implILNS1_25lookback_scan_determinismE0ELb0ES3_PKiN6hipcub16HIPCUB_304000_NS21ConstantInputIteratorIilEEPiiNSB_3SumENSB_8EqualityEiEE10hipError_tPvRmT2_T3_T4_T5_mT6_T7_P12ihipStream_tbENKUlT_T0_E_clISt17integral_constantIbLb0EESW_IbLb1EEEEDaSS_ST_EUlSS_E_NS1_11comp_targetILNS1_3genE2ELNS1_11target_archE906ELNS1_3gpuE6ELNS1_3repE0EEENS1_30default_config_static_selectorELNS0_4arch9wavefront6targetE1EEEvT1_ ; -- Begin function _ZN7rocprim17ROCPRIM_400000_NS6detail17trampoline_kernelINS0_14default_configENS1_27scan_by_key_config_selectorIiiEEZZNS1_16scan_by_key_implILNS1_25lookback_scan_determinismE0ELb0ES3_PKiN6hipcub16HIPCUB_304000_NS21ConstantInputIteratorIilEEPiiNSB_3SumENSB_8EqualityEiEE10hipError_tPvRmT2_T3_T4_T5_mT6_T7_P12ihipStream_tbENKUlT_T0_E_clISt17integral_constantIbLb0EESW_IbLb1EEEEDaSS_ST_EUlSS_E_NS1_11comp_targetILNS1_3genE2ELNS1_11target_archE906ELNS1_3gpuE6ELNS1_3repE0EEENS1_30default_config_static_selectorELNS0_4arch9wavefront6targetE1EEEvT1_
	.globl	_ZN7rocprim17ROCPRIM_400000_NS6detail17trampoline_kernelINS0_14default_configENS1_27scan_by_key_config_selectorIiiEEZZNS1_16scan_by_key_implILNS1_25lookback_scan_determinismE0ELb0ES3_PKiN6hipcub16HIPCUB_304000_NS21ConstantInputIteratorIilEEPiiNSB_3SumENSB_8EqualityEiEE10hipError_tPvRmT2_T3_T4_T5_mT6_T7_P12ihipStream_tbENKUlT_T0_E_clISt17integral_constantIbLb0EESW_IbLb1EEEEDaSS_ST_EUlSS_E_NS1_11comp_targetILNS1_3genE2ELNS1_11target_archE906ELNS1_3gpuE6ELNS1_3repE0EEENS1_30default_config_static_selectorELNS0_4arch9wavefront6targetE1EEEvT1_
	.p2align	8
	.type	_ZN7rocprim17ROCPRIM_400000_NS6detail17trampoline_kernelINS0_14default_configENS1_27scan_by_key_config_selectorIiiEEZZNS1_16scan_by_key_implILNS1_25lookback_scan_determinismE0ELb0ES3_PKiN6hipcub16HIPCUB_304000_NS21ConstantInputIteratorIilEEPiiNSB_3SumENSB_8EqualityEiEE10hipError_tPvRmT2_T3_T4_T5_mT6_T7_P12ihipStream_tbENKUlT_T0_E_clISt17integral_constantIbLb0EESW_IbLb1EEEEDaSS_ST_EUlSS_E_NS1_11comp_targetILNS1_3genE2ELNS1_11target_archE906ELNS1_3gpuE6ELNS1_3repE0EEENS1_30default_config_static_selectorELNS0_4arch9wavefront6targetE1EEEvT1_,@function
_ZN7rocprim17ROCPRIM_400000_NS6detail17trampoline_kernelINS0_14default_configENS1_27scan_by_key_config_selectorIiiEEZZNS1_16scan_by_key_implILNS1_25lookback_scan_determinismE0ELb0ES3_PKiN6hipcub16HIPCUB_304000_NS21ConstantInputIteratorIilEEPiiNSB_3SumENSB_8EqualityEiEE10hipError_tPvRmT2_T3_T4_T5_mT6_T7_P12ihipStream_tbENKUlT_T0_E_clISt17integral_constantIbLb0EESW_IbLb1EEEEDaSS_ST_EUlSS_E_NS1_11comp_targetILNS1_3genE2ELNS1_11target_archE906ELNS1_3gpuE6ELNS1_3repE0EEENS1_30default_config_static_selectorELNS0_4arch9wavefront6targetE1EEEvT1_: ; @_ZN7rocprim17ROCPRIM_400000_NS6detail17trampoline_kernelINS0_14default_configENS1_27scan_by_key_config_selectorIiiEEZZNS1_16scan_by_key_implILNS1_25lookback_scan_determinismE0ELb0ES3_PKiN6hipcub16HIPCUB_304000_NS21ConstantInputIteratorIilEEPiiNSB_3SumENSB_8EqualityEiEE10hipError_tPvRmT2_T3_T4_T5_mT6_T7_P12ihipStream_tbENKUlT_T0_E_clISt17integral_constantIbLb0EESW_IbLb1EEEEDaSS_ST_EUlSS_E_NS1_11comp_targetILNS1_3genE2ELNS1_11target_archE906ELNS1_3gpuE6ELNS1_3repE0EEENS1_30default_config_static_selectorELNS0_4arch9wavefront6targetE1EEEvT1_
; %bb.0:
	.section	.rodata,"a",@progbits
	.p2align	6, 0x0
	.amdhsa_kernel _ZN7rocprim17ROCPRIM_400000_NS6detail17trampoline_kernelINS0_14default_configENS1_27scan_by_key_config_selectorIiiEEZZNS1_16scan_by_key_implILNS1_25lookback_scan_determinismE0ELb0ES3_PKiN6hipcub16HIPCUB_304000_NS21ConstantInputIteratorIilEEPiiNSB_3SumENSB_8EqualityEiEE10hipError_tPvRmT2_T3_T4_T5_mT6_T7_P12ihipStream_tbENKUlT_T0_E_clISt17integral_constantIbLb0EESW_IbLb1EEEEDaSS_ST_EUlSS_E_NS1_11comp_targetILNS1_3genE2ELNS1_11target_archE906ELNS1_3gpuE6ELNS1_3repE0EEENS1_30default_config_static_selectorELNS0_4arch9wavefront6targetE1EEEvT1_
		.amdhsa_group_segment_fixed_size 0
		.amdhsa_private_segment_fixed_size 0
		.amdhsa_kernarg_size 120
		.amdhsa_user_sgpr_count 2
		.amdhsa_user_sgpr_dispatch_ptr 0
		.amdhsa_user_sgpr_queue_ptr 0
		.amdhsa_user_sgpr_kernarg_segment_ptr 1
		.amdhsa_user_sgpr_dispatch_id 0
		.amdhsa_user_sgpr_kernarg_preload_length 0
		.amdhsa_user_sgpr_kernarg_preload_offset 0
		.amdhsa_user_sgpr_private_segment_size 0
		.amdhsa_uses_dynamic_stack 0
		.amdhsa_enable_private_segment 0
		.amdhsa_system_sgpr_workgroup_id_x 1
		.amdhsa_system_sgpr_workgroup_id_y 0
		.amdhsa_system_sgpr_workgroup_id_z 0
		.amdhsa_system_sgpr_workgroup_info 0
		.amdhsa_system_vgpr_workitem_id 0
		.amdhsa_next_free_vgpr 1
		.amdhsa_next_free_sgpr 0
		.amdhsa_accum_offset 4
		.amdhsa_reserve_vcc 0
		.amdhsa_float_round_mode_32 0
		.amdhsa_float_round_mode_16_64 0
		.amdhsa_float_denorm_mode_32 3
		.amdhsa_float_denorm_mode_16_64 3
		.amdhsa_dx10_clamp 1
		.amdhsa_ieee_mode 1
		.amdhsa_fp16_overflow 0
		.amdhsa_tg_split 0
		.amdhsa_exception_fp_ieee_invalid_op 0
		.amdhsa_exception_fp_denorm_src 0
		.amdhsa_exception_fp_ieee_div_zero 0
		.amdhsa_exception_fp_ieee_overflow 0
		.amdhsa_exception_fp_ieee_underflow 0
		.amdhsa_exception_fp_ieee_inexact 0
		.amdhsa_exception_int_div_zero 0
	.end_amdhsa_kernel
	.section	.text._ZN7rocprim17ROCPRIM_400000_NS6detail17trampoline_kernelINS0_14default_configENS1_27scan_by_key_config_selectorIiiEEZZNS1_16scan_by_key_implILNS1_25lookback_scan_determinismE0ELb0ES3_PKiN6hipcub16HIPCUB_304000_NS21ConstantInputIteratorIilEEPiiNSB_3SumENSB_8EqualityEiEE10hipError_tPvRmT2_T3_T4_T5_mT6_T7_P12ihipStream_tbENKUlT_T0_E_clISt17integral_constantIbLb0EESW_IbLb1EEEEDaSS_ST_EUlSS_E_NS1_11comp_targetILNS1_3genE2ELNS1_11target_archE906ELNS1_3gpuE6ELNS1_3repE0EEENS1_30default_config_static_selectorELNS0_4arch9wavefront6targetE1EEEvT1_,"axG",@progbits,_ZN7rocprim17ROCPRIM_400000_NS6detail17trampoline_kernelINS0_14default_configENS1_27scan_by_key_config_selectorIiiEEZZNS1_16scan_by_key_implILNS1_25lookback_scan_determinismE0ELb0ES3_PKiN6hipcub16HIPCUB_304000_NS21ConstantInputIteratorIilEEPiiNSB_3SumENSB_8EqualityEiEE10hipError_tPvRmT2_T3_T4_T5_mT6_T7_P12ihipStream_tbENKUlT_T0_E_clISt17integral_constantIbLb0EESW_IbLb1EEEEDaSS_ST_EUlSS_E_NS1_11comp_targetILNS1_3genE2ELNS1_11target_archE906ELNS1_3gpuE6ELNS1_3repE0EEENS1_30default_config_static_selectorELNS0_4arch9wavefront6targetE1EEEvT1_,comdat
.Lfunc_end48:
	.size	_ZN7rocprim17ROCPRIM_400000_NS6detail17trampoline_kernelINS0_14default_configENS1_27scan_by_key_config_selectorIiiEEZZNS1_16scan_by_key_implILNS1_25lookback_scan_determinismE0ELb0ES3_PKiN6hipcub16HIPCUB_304000_NS21ConstantInputIteratorIilEEPiiNSB_3SumENSB_8EqualityEiEE10hipError_tPvRmT2_T3_T4_T5_mT6_T7_P12ihipStream_tbENKUlT_T0_E_clISt17integral_constantIbLb0EESW_IbLb1EEEEDaSS_ST_EUlSS_E_NS1_11comp_targetILNS1_3genE2ELNS1_11target_archE906ELNS1_3gpuE6ELNS1_3repE0EEENS1_30default_config_static_selectorELNS0_4arch9wavefront6targetE1EEEvT1_, .Lfunc_end48-_ZN7rocprim17ROCPRIM_400000_NS6detail17trampoline_kernelINS0_14default_configENS1_27scan_by_key_config_selectorIiiEEZZNS1_16scan_by_key_implILNS1_25lookback_scan_determinismE0ELb0ES3_PKiN6hipcub16HIPCUB_304000_NS21ConstantInputIteratorIilEEPiiNSB_3SumENSB_8EqualityEiEE10hipError_tPvRmT2_T3_T4_T5_mT6_T7_P12ihipStream_tbENKUlT_T0_E_clISt17integral_constantIbLb0EESW_IbLb1EEEEDaSS_ST_EUlSS_E_NS1_11comp_targetILNS1_3genE2ELNS1_11target_archE906ELNS1_3gpuE6ELNS1_3repE0EEENS1_30default_config_static_selectorELNS0_4arch9wavefront6targetE1EEEvT1_
                                        ; -- End function
	.set _ZN7rocprim17ROCPRIM_400000_NS6detail17trampoline_kernelINS0_14default_configENS1_27scan_by_key_config_selectorIiiEEZZNS1_16scan_by_key_implILNS1_25lookback_scan_determinismE0ELb0ES3_PKiN6hipcub16HIPCUB_304000_NS21ConstantInputIteratorIilEEPiiNSB_3SumENSB_8EqualityEiEE10hipError_tPvRmT2_T3_T4_T5_mT6_T7_P12ihipStream_tbENKUlT_T0_E_clISt17integral_constantIbLb0EESW_IbLb1EEEEDaSS_ST_EUlSS_E_NS1_11comp_targetILNS1_3genE2ELNS1_11target_archE906ELNS1_3gpuE6ELNS1_3repE0EEENS1_30default_config_static_selectorELNS0_4arch9wavefront6targetE1EEEvT1_.num_vgpr, 0
	.set _ZN7rocprim17ROCPRIM_400000_NS6detail17trampoline_kernelINS0_14default_configENS1_27scan_by_key_config_selectorIiiEEZZNS1_16scan_by_key_implILNS1_25lookback_scan_determinismE0ELb0ES3_PKiN6hipcub16HIPCUB_304000_NS21ConstantInputIteratorIilEEPiiNSB_3SumENSB_8EqualityEiEE10hipError_tPvRmT2_T3_T4_T5_mT6_T7_P12ihipStream_tbENKUlT_T0_E_clISt17integral_constantIbLb0EESW_IbLb1EEEEDaSS_ST_EUlSS_E_NS1_11comp_targetILNS1_3genE2ELNS1_11target_archE906ELNS1_3gpuE6ELNS1_3repE0EEENS1_30default_config_static_selectorELNS0_4arch9wavefront6targetE1EEEvT1_.num_agpr, 0
	.set _ZN7rocprim17ROCPRIM_400000_NS6detail17trampoline_kernelINS0_14default_configENS1_27scan_by_key_config_selectorIiiEEZZNS1_16scan_by_key_implILNS1_25lookback_scan_determinismE0ELb0ES3_PKiN6hipcub16HIPCUB_304000_NS21ConstantInputIteratorIilEEPiiNSB_3SumENSB_8EqualityEiEE10hipError_tPvRmT2_T3_T4_T5_mT6_T7_P12ihipStream_tbENKUlT_T0_E_clISt17integral_constantIbLb0EESW_IbLb1EEEEDaSS_ST_EUlSS_E_NS1_11comp_targetILNS1_3genE2ELNS1_11target_archE906ELNS1_3gpuE6ELNS1_3repE0EEENS1_30default_config_static_selectorELNS0_4arch9wavefront6targetE1EEEvT1_.numbered_sgpr, 0
	.set _ZN7rocprim17ROCPRIM_400000_NS6detail17trampoline_kernelINS0_14default_configENS1_27scan_by_key_config_selectorIiiEEZZNS1_16scan_by_key_implILNS1_25lookback_scan_determinismE0ELb0ES3_PKiN6hipcub16HIPCUB_304000_NS21ConstantInputIteratorIilEEPiiNSB_3SumENSB_8EqualityEiEE10hipError_tPvRmT2_T3_T4_T5_mT6_T7_P12ihipStream_tbENKUlT_T0_E_clISt17integral_constantIbLb0EESW_IbLb1EEEEDaSS_ST_EUlSS_E_NS1_11comp_targetILNS1_3genE2ELNS1_11target_archE906ELNS1_3gpuE6ELNS1_3repE0EEENS1_30default_config_static_selectorELNS0_4arch9wavefront6targetE1EEEvT1_.num_named_barrier, 0
	.set _ZN7rocprim17ROCPRIM_400000_NS6detail17trampoline_kernelINS0_14default_configENS1_27scan_by_key_config_selectorIiiEEZZNS1_16scan_by_key_implILNS1_25lookback_scan_determinismE0ELb0ES3_PKiN6hipcub16HIPCUB_304000_NS21ConstantInputIteratorIilEEPiiNSB_3SumENSB_8EqualityEiEE10hipError_tPvRmT2_T3_T4_T5_mT6_T7_P12ihipStream_tbENKUlT_T0_E_clISt17integral_constantIbLb0EESW_IbLb1EEEEDaSS_ST_EUlSS_E_NS1_11comp_targetILNS1_3genE2ELNS1_11target_archE906ELNS1_3gpuE6ELNS1_3repE0EEENS1_30default_config_static_selectorELNS0_4arch9wavefront6targetE1EEEvT1_.private_seg_size, 0
	.set _ZN7rocprim17ROCPRIM_400000_NS6detail17trampoline_kernelINS0_14default_configENS1_27scan_by_key_config_selectorIiiEEZZNS1_16scan_by_key_implILNS1_25lookback_scan_determinismE0ELb0ES3_PKiN6hipcub16HIPCUB_304000_NS21ConstantInputIteratorIilEEPiiNSB_3SumENSB_8EqualityEiEE10hipError_tPvRmT2_T3_T4_T5_mT6_T7_P12ihipStream_tbENKUlT_T0_E_clISt17integral_constantIbLb0EESW_IbLb1EEEEDaSS_ST_EUlSS_E_NS1_11comp_targetILNS1_3genE2ELNS1_11target_archE906ELNS1_3gpuE6ELNS1_3repE0EEENS1_30default_config_static_selectorELNS0_4arch9wavefront6targetE1EEEvT1_.uses_vcc, 0
	.set _ZN7rocprim17ROCPRIM_400000_NS6detail17trampoline_kernelINS0_14default_configENS1_27scan_by_key_config_selectorIiiEEZZNS1_16scan_by_key_implILNS1_25lookback_scan_determinismE0ELb0ES3_PKiN6hipcub16HIPCUB_304000_NS21ConstantInputIteratorIilEEPiiNSB_3SumENSB_8EqualityEiEE10hipError_tPvRmT2_T3_T4_T5_mT6_T7_P12ihipStream_tbENKUlT_T0_E_clISt17integral_constantIbLb0EESW_IbLb1EEEEDaSS_ST_EUlSS_E_NS1_11comp_targetILNS1_3genE2ELNS1_11target_archE906ELNS1_3gpuE6ELNS1_3repE0EEENS1_30default_config_static_selectorELNS0_4arch9wavefront6targetE1EEEvT1_.uses_flat_scratch, 0
	.set _ZN7rocprim17ROCPRIM_400000_NS6detail17trampoline_kernelINS0_14default_configENS1_27scan_by_key_config_selectorIiiEEZZNS1_16scan_by_key_implILNS1_25lookback_scan_determinismE0ELb0ES3_PKiN6hipcub16HIPCUB_304000_NS21ConstantInputIteratorIilEEPiiNSB_3SumENSB_8EqualityEiEE10hipError_tPvRmT2_T3_T4_T5_mT6_T7_P12ihipStream_tbENKUlT_T0_E_clISt17integral_constantIbLb0EESW_IbLb1EEEEDaSS_ST_EUlSS_E_NS1_11comp_targetILNS1_3genE2ELNS1_11target_archE906ELNS1_3gpuE6ELNS1_3repE0EEENS1_30default_config_static_selectorELNS0_4arch9wavefront6targetE1EEEvT1_.has_dyn_sized_stack, 0
	.set _ZN7rocprim17ROCPRIM_400000_NS6detail17trampoline_kernelINS0_14default_configENS1_27scan_by_key_config_selectorIiiEEZZNS1_16scan_by_key_implILNS1_25lookback_scan_determinismE0ELb0ES3_PKiN6hipcub16HIPCUB_304000_NS21ConstantInputIteratorIilEEPiiNSB_3SumENSB_8EqualityEiEE10hipError_tPvRmT2_T3_T4_T5_mT6_T7_P12ihipStream_tbENKUlT_T0_E_clISt17integral_constantIbLb0EESW_IbLb1EEEEDaSS_ST_EUlSS_E_NS1_11comp_targetILNS1_3genE2ELNS1_11target_archE906ELNS1_3gpuE6ELNS1_3repE0EEENS1_30default_config_static_selectorELNS0_4arch9wavefront6targetE1EEEvT1_.has_recursion, 0
	.set _ZN7rocprim17ROCPRIM_400000_NS6detail17trampoline_kernelINS0_14default_configENS1_27scan_by_key_config_selectorIiiEEZZNS1_16scan_by_key_implILNS1_25lookback_scan_determinismE0ELb0ES3_PKiN6hipcub16HIPCUB_304000_NS21ConstantInputIteratorIilEEPiiNSB_3SumENSB_8EqualityEiEE10hipError_tPvRmT2_T3_T4_T5_mT6_T7_P12ihipStream_tbENKUlT_T0_E_clISt17integral_constantIbLb0EESW_IbLb1EEEEDaSS_ST_EUlSS_E_NS1_11comp_targetILNS1_3genE2ELNS1_11target_archE906ELNS1_3gpuE6ELNS1_3repE0EEENS1_30default_config_static_selectorELNS0_4arch9wavefront6targetE1EEEvT1_.has_indirect_call, 0
	.section	.AMDGPU.csdata,"",@progbits
; Kernel info:
; codeLenInByte = 0
; TotalNumSgprs: 6
; NumVgprs: 0
; NumAgprs: 0
; TotalNumVgprs: 0
; ScratchSize: 0
; MemoryBound: 0
; FloatMode: 240
; IeeeMode: 1
; LDSByteSize: 0 bytes/workgroup (compile time only)
; SGPRBlocks: 0
; VGPRBlocks: 0
; NumSGPRsForWavesPerEU: 6
; NumVGPRsForWavesPerEU: 1
; AccumOffset: 4
; Occupancy: 8
; WaveLimiterHint : 0
; COMPUTE_PGM_RSRC2:SCRATCH_EN: 0
; COMPUTE_PGM_RSRC2:USER_SGPR: 2
; COMPUTE_PGM_RSRC2:TRAP_HANDLER: 0
; COMPUTE_PGM_RSRC2:TGID_X_EN: 1
; COMPUTE_PGM_RSRC2:TGID_Y_EN: 0
; COMPUTE_PGM_RSRC2:TGID_Z_EN: 0
; COMPUTE_PGM_RSRC2:TIDIG_COMP_CNT: 0
; COMPUTE_PGM_RSRC3_GFX90A:ACCUM_OFFSET: 0
; COMPUTE_PGM_RSRC3_GFX90A:TG_SPLIT: 0
	.section	.text._ZN7rocprim17ROCPRIM_400000_NS6detail17trampoline_kernelINS0_14default_configENS1_27scan_by_key_config_selectorIiiEEZZNS1_16scan_by_key_implILNS1_25lookback_scan_determinismE0ELb0ES3_PKiN6hipcub16HIPCUB_304000_NS21ConstantInputIteratorIilEEPiiNSB_3SumENSB_8EqualityEiEE10hipError_tPvRmT2_T3_T4_T5_mT6_T7_P12ihipStream_tbENKUlT_T0_E_clISt17integral_constantIbLb0EESW_IbLb1EEEEDaSS_ST_EUlSS_E_NS1_11comp_targetILNS1_3genE10ELNS1_11target_archE1200ELNS1_3gpuE4ELNS1_3repE0EEENS1_30default_config_static_selectorELNS0_4arch9wavefront6targetE1EEEvT1_,"axG",@progbits,_ZN7rocprim17ROCPRIM_400000_NS6detail17trampoline_kernelINS0_14default_configENS1_27scan_by_key_config_selectorIiiEEZZNS1_16scan_by_key_implILNS1_25lookback_scan_determinismE0ELb0ES3_PKiN6hipcub16HIPCUB_304000_NS21ConstantInputIteratorIilEEPiiNSB_3SumENSB_8EqualityEiEE10hipError_tPvRmT2_T3_T4_T5_mT6_T7_P12ihipStream_tbENKUlT_T0_E_clISt17integral_constantIbLb0EESW_IbLb1EEEEDaSS_ST_EUlSS_E_NS1_11comp_targetILNS1_3genE10ELNS1_11target_archE1200ELNS1_3gpuE4ELNS1_3repE0EEENS1_30default_config_static_selectorELNS0_4arch9wavefront6targetE1EEEvT1_,comdat
	.protected	_ZN7rocprim17ROCPRIM_400000_NS6detail17trampoline_kernelINS0_14default_configENS1_27scan_by_key_config_selectorIiiEEZZNS1_16scan_by_key_implILNS1_25lookback_scan_determinismE0ELb0ES3_PKiN6hipcub16HIPCUB_304000_NS21ConstantInputIteratorIilEEPiiNSB_3SumENSB_8EqualityEiEE10hipError_tPvRmT2_T3_T4_T5_mT6_T7_P12ihipStream_tbENKUlT_T0_E_clISt17integral_constantIbLb0EESW_IbLb1EEEEDaSS_ST_EUlSS_E_NS1_11comp_targetILNS1_3genE10ELNS1_11target_archE1200ELNS1_3gpuE4ELNS1_3repE0EEENS1_30default_config_static_selectorELNS0_4arch9wavefront6targetE1EEEvT1_ ; -- Begin function _ZN7rocprim17ROCPRIM_400000_NS6detail17trampoline_kernelINS0_14default_configENS1_27scan_by_key_config_selectorIiiEEZZNS1_16scan_by_key_implILNS1_25lookback_scan_determinismE0ELb0ES3_PKiN6hipcub16HIPCUB_304000_NS21ConstantInputIteratorIilEEPiiNSB_3SumENSB_8EqualityEiEE10hipError_tPvRmT2_T3_T4_T5_mT6_T7_P12ihipStream_tbENKUlT_T0_E_clISt17integral_constantIbLb0EESW_IbLb1EEEEDaSS_ST_EUlSS_E_NS1_11comp_targetILNS1_3genE10ELNS1_11target_archE1200ELNS1_3gpuE4ELNS1_3repE0EEENS1_30default_config_static_selectorELNS0_4arch9wavefront6targetE1EEEvT1_
	.globl	_ZN7rocprim17ROCPRIM_400000_NS6detail17trampoline_kernelINS0_14default_configENS1_27scan_by_key_config_selectorIiiEEZZNS1_16scan_by_key_implILNS1_25lookback_scan_determinismE0ELb0ES3_PKiN6hipcub16HIPCUB_304000_NS21ConstantInputIteratorIilEEPiiNSB_3SumENSB_8EqualityEiEE10hipError_tPvRmT2_T3_T4_T5_mT6_T7_P12ihipStream_tbENKUlT_T0_E_clISt17integral_constantIbLb0EESW_IbLb1EEEEDaSS_ST_EUlSS_E_NS1_11comp_targetILNS1_3genE10ELNS1_11target_archE1200ELNS1_3gpuE4ELNS1_3repE0EEENS1_30default_config_static_selectorELNS0_4arch9wavefront6targetE1EEEvT1_
	.p2align	8
	.type	_ZN7rocprim17ROCPRIM_400000_NS6detail17trampoline_kernelINS0_14default_configENS1_27scan_by_key_config_selectorIiiEEZZNS1_16scan_by_key_implILNS1_25lookback_scan_determinismE0ELb0ES3_PKiN6hipcub16HIPCUB_304000_NS21ConstantInputIteratorIilEEPiiNSB_3SumENSB_8EqualityEiEE10hipError_tPvRmT2_T3_T4_T5_mT6_T7_P12ihipStream_tbENKUlT_T0_E_clISt17integral_constantIbLb0EESW_IbLb1EEEEDaSS_ST_EUlSS_E_NS1_11comp_targetILNS1_3genE10ELNS1_11target_archE1200ELNS1_3gpuE4ELNS1_3repE0EEENS1_30default_config_static_selectorELNS0_4arch9wavefront6targetE1EEEvT1_,@function
_ZN7rocprim17ROCPRIM_400000_NS6detail17trampoline_kernelINS0_14default_configENS1_27scan_by_key_config_selectorIiiEEZZNS1_16scan_by_key_implILNS1_25lookback_scan_determinismE0ELb0ES3_PKiN6hipcub16HIPCUB_304000_NS21ConstantInputIteratorIilEEPiiNSB_3SumENSB_8EqualityEiEE10hipError_tPvRmT2_T3_T4_T5_mT6_T7_P12ihipStream_tbENKUlT_T0_E_clISt17integral_constantIbLb0EESW_IbLb1EEEEDaSS_ST_EUlSS_E_NS1_11comp_targetILNS1_3genE10ELNS1_11target_archE1200ELNS1_3gpuE4ELNS1_3repE0EEENS1_30default_config_static_selectorELNS0_4arch9wavefront6targetE1EEEvT1_: ; @_ZN7rocprim17ROCPRIM_400000_NS6detail17trampoline_kernelINS0_14default_configENS1_27scan_by_key_config_selectorIiiEEZZNS1_16scan_by_key_implILNS1_25lookback_scan_determinismE0ELb0ES3_PKiN6hipcub16HIPCUB_304000_NS21ConstantInputIteratorIilEEPiiNSB_3SumENSB_8EqualityEiEE10hipError_tPvRmT2_T3_T4_T5_mT6_T7_P12ihipStream_tbENKUlT_T0_E_clISt17integral_constantIbLb0EESW_IbLb1EEEEDaSS_ST_EUlSS_E_NS1_11comp_targetILNS1_3genE10ELNS1_11target_archE1200ELNS1_3gpuE4ELNS1_3repE0EEENS1_30default_config_static_selectorELNS0_4arch9wavefront6targetE1EEEvT1_
; %bb.0:
	.section	.rodata,"a",@progbits
	.p2align	6, 0x0
	.amdhsa_kernel _ZN7rocprim17ROCPRIM_400000_NS6detail17trampoline_kernelINS0_14default_configENS1_27scan_by_key_config_selectorIiiEEZZNS1_16scan_by_key_implILNS1_25lookback_scan_determinismE0ELb0ES3_PKiN6hipcub16HIPCUB_304000_NS21ConstantInputIteratorIilEEPiiNSB_3SumENSB_8EqualityEiEE10hipError_tPvRmT2_T3_T4_T5_mT6_T7_P12ihipStream_tbENKUlT_T0_E_clISt17integral_constantIbLb0EESW_IbLb1EEEEDaSS_ST_EUlSS_E_NS1_11comp_targetILNS1_3genE10ELNS1_11target_archE1200ELNS1_3gpuE4ELNS1_3repE0EEENS1_30default_config_static_selectorELNS0_4arch9wavefront6targetE1EEEvT1_
		.amdhsa_group_segment_fixed_size 0
		.amdhsa_private_segment_fixed_size 0
		.amdhsa_kernarg_size 120
		.amdhsa_user_sgpr_count 2
		.amdhsa_user_sgpr_dispatch_ptr 0
		.amdhsa_user_sgpr_queue_ptr 0
		.amdhsa_user_sgpr_kernarg_segment_ptr 1
		.amdhsa_user_sgpr_dispatch_id 0
		.amdhsa_user_sgpr_kernarg_preload_length 0
		.amdhsa_user_sgpr_kernarg_preload_offset 0
		.amdhsa_user_sgpr_private_segment_size 0
		.amdhsa_uses_dynamic_stack 0
		.amdhsa_enable_private_segment 0
		.amdhsa_system_sgpr_workgroup_id_x 1
		.amdhsa_system_sgpr_workgroup_id_y 0
		.amdhsa_system_sgpr_workgroup_id_z 0
		.amdhsa_system_sgpr_workgroup_info 0
		.amdhsa_system_vgpr_workitem_id 0
		.amdhsa_next_free_vgpr 1
		.amdhsa_next_free_sgpr 0
		.amdhsa_accum_offset 4
		.amdhsa_reserve_vcc 0
		.amdhsa_float_round_mode_32 0
		.amdhsa_float_round_mode_16_64 0
		.amdhsa_float_denorm_mode_32 3
		.amdhsa_float_denorm_mode_16_64 3
		.amdhsa_dx10_clamp 1
		.amdhsa_ieee_mode 1
		.amdhsa_fp16_overflow 0
		.amdhsa_tg_split 0
		.amdhsa_exception_fp_ieee_invalid_op 0
		.amdhsa_exception_fp_denorm_src 0
		.amdhsa_exception_fp_ieee_div_zero 0
		.amdhsa_exception_fp_ieee_overflow 0
		.amdhsa_exception_fp_ieee_underflow 0
		.amdhsa_exception_fp_ieee_inexact 0
		.amdhsa_exception_int_div_zero 0
	.end_amdhsa_kernel
	.section	.text._ZN7rocprim17ROCPRIM_400000_NS6detail17trampoline_kernelINS0_14default_configENS1_27scan_by_key_config_selectorIiiEEZZNS1_16scan_by_key_implILNS1_25lookback_scan_determinismE0ELb0ES3_PKiN6hipcub16HIPCUB_304000_NS21ConstantInputIteratorIilEEPiiNSB_3SumENSB_8EqualityEiEE10hipError_tPvRmT2_T3_T4_T5_mT6_T7_P12ihipStream_tbENKUlT_T0_E_clISt17integral_constantIbLb0EESW_IbLb1EEEEDaSS_ST_EUlSS_E_NS1_11comp_targetILNS1_3genE10ELNS1_11target_archE1200ELNS1_3gpuE4ELNS1_3repE0EEENS1_30default_config_static_selectorELNS0_4arch9wavefront6targetE1EEEvT1_,"axG",@progbits,_ZN7rocprim17ROCPRIM_400000_NS6detail17trampoline_kernelINS0_14default_configENS1_27scan_by_key_config_selectorIiiEEZZNS1_16scan_by_key_implILNS1_25lookback_scan_determinismE0ELb0ES3_PKiN6hipcub16HIPCUB_304000_NS21ConstantInputIteratorIilEEPiiNSB_3SumENSB_8EqualityEiEE10hipError_tPvRmT2_T3_T4_T5_mT6_T7_P12ihipStream_tbENKUlT_T0_E_clISt17integral_constantIbLb0EESW_IbLb1EEEEDaSS_ST_EUlSS_E_NS1_11comp_targetILNS1_3genE10ELNS1_11target_archE1200ELNS1_3gpuE4ELNS1_3repE0EEENS1_30default_config_static_selectorELNS0_4arch9wavefront6targetE1EEEvT1_,comdat
.Lfunc_end49:
	.size	_ZN7rocprim17ROCPRIM_400000_NS6detail17trampoline_kernelINS0_14default_configENS1_27scan_by_key_config_selectorIiiEEZZNS1_16scan_by_key_implILNS1_25lookback_scan_determinismE0ELb0ES3_PKiN6hipcub16HIPCUB_304000_NS21ConstantInputIteratorIilEEPiiNSB_3SumENSB_8EqualityEiEE10hipError_tPvRmT2_T3_T4_T5_mT6_T7_P12ihipStream_tbENKUlT_T0_E_clISt17integral_constantIbLb0EESW_IbLb1EEEEDaSS_ST_EUlSS_E_NS1_11comp_targetILNS1_3genE10ELNS1_11target_archE1200ELNS1_3gpuE4ELNS1_3repE0EEENS1_30default_config_static_selectorELNS0_4arch9wavefront6targetE1EEEvT1_, .Lfunc_end49-_ZN7rocprim17ROCPRIM_400000_NS6detail17trampoline_kernelINS0_14default_configENS1_27scan_by_key_config_selectorIiiEEZZNS1_16scan_by_key_implILNS1_25lookback_scan_determinismE0ELb0ES3_PKiN6hipcub16HIPCUB_304000_NS21ConstantInputIteratorIilEEPiiNSB_3SumENSB_8EqualityEiEE10hipError_tPvRmT2_T3_T4_T5_mT6_T7_P12ihipStream_tbENKUlT_T0_E_clISt17integral_constantIbLb0EESW_IbLb1EEEEDaSS_ST_EUlSS_E_NS1_11comp_targetILNS1_3genE10ELNS1_11target_archE1200ELNS1_3gpuE4ELNS1_3repE0EEENS1_30default_config_static_selectorELNS0_4arch9wavefront6targetE1EEEvT1_
                                        ; -- End function
	.set _ZN7rocprim17ROCPRIM_400000_NS6detail17trampoline_kernelINS0_14default_configENS1_27scan_by_key_config_selectorIiiEEZZNS1_16scan_by_key_implILNS1_25lookback_scan_determinismE0ELb0ES3_PKiN6hipcub16HIPCUB_304000_NS21ConstantInputIteratorIilEEPiiNSB_3SumENSB_8EqualityEiEE10hipError_tPvRmT2_T3_T4_T5_mT6_T7_P12ihipStream_tbENKUlT_T0_E_clISt17integral_constantIbLb0EESW_IbLb1EEEEDaSS_ST_EUlSS_E_NS1_11comp_targetILNS1_3genE10ELNS1_11target_archE1200ELNS1_3gpuE4ELNS1_3repE0EEENS1_30default_config_static_selectorELNS0_4arch9wavefront6targetE1EEEvT1_.num_vgpr, 0
	.set _ZN7rocprim17ROCPRIM_400000_NS6detail17trampoline_kernelINS0_14default_configENS1_27scan_by_key_config_selectorIiiEEZZNS1_16scan_by_key_implILNS1_25lookback_scan_determinismE0ELb0ES3_PKiN6hipcub16HIPCUB_304000_NS21ConstantInputIteratorIilEEPiiNSB_3SumENSB_8EqualityEiEE10hipError_tPvRmT2_T3_T4_T5_mT6_T7_P12ihipStream_tbENKUlT_T0_E_clISt17integral_constantIbLb0EESW_IbLb1EEEEDaSS_ST_EUlSS_E_NS1_11comp_targetILNS1_3genE10ELNS1_11target_archE1200ELNS1_3gpuE4ELNS1_3repE0EEENS1_30default_config_static_selectorELNS0_4arch9wavefront6targetE1EEEvT1_.num_agpr, 0
	.set _ZN7rocprim17ROCPRIM_400000_NS6detail17trampoline_kernelINS0_14default_configENS1_27scan_by_key_config_selectorIiiEEZZNS1_16scan_by_key_implILNS1_25lookback_scan_determinismE0ELb0ES3_PKiN6hipcub16HIPCUB_304000_NS21ConstantInputIteratorIilEEPiiNSB_3SumENSB_8EqualityEiEE10hipError_tPvRmT2_T3_T4_T5_mT6_T7_P12ihipStream_tbENKUlT_T0_E_clISt17integral_constantIbLb0EESW_IbLb1EEEEDaSS_ST_EUlSS_E_NS1_11comp_targetILNS1_3genE10ELNS1_11target_archE1200ELNS1_3gpuE4ELNS1_3repE0EEENS1_30default_config_static_selectorELNS0_4arch9wavefront6targetE1EEEvT1_.numbered_sgpr, 0
	.set _ZN7rocprim17ROCPRIM_400000_NS6detail17trampoline_kernelINS0_14default_configENS1_27scan_by_key_config_selectorIiiEEZZNS1_16scan_by_key_implILNS1_25lookback_scan_determinismE0ELb0ES3_PKiN6hipcub16HIPCUB_304000_NS21ConstantInputIteratorIilEEPiiNSB_3SumENSB_8EqualityEiEE10hipError_tPvRmT2_T3_T4_T5_mT6_T7_P12ihipStream_tbENKUlT_T0_E_clISt17integral_constantIbLb0EESW_IbLb1EEEEDaSS_ST_EUlSS_E_NS1_11comp_targetILNS1_3genE10ELNS1_11target_archE1200ELNS1_3gpuE4ELNS1_3repE0EEENS1_30default_config_static_selectorELNS0_4arch9wavefront6targetE1EEEvT1_.num_named_barrier, 0
	.set _ZN7rocprim17ROCPRIM_400000_NS6detail17trampoline_kernelINS0_14default_configENS1_27scan_by_key_config_selectorIiiEEZZNS1_16scan_by_key_implILNS1_25lookback_scan_determinismE0ELb0ES3_PKiN6hipcub16HIPCUB_304000_NS21ConstantInputIteratorIilEEPiiNSB_3SumENSB_8EqualityEiEE10hipError_tPvRmT2_T3_T4_T5_mT6_T7_P12ihipStream_tbENKUlT_T0_E_clISt17integral_constantIbLb0EESW_IbLb1EEEEDaSS_ST_EUlSS_E_NS1_11comp_targetILNS1_3genE10ELNS1_11target_archE1200ELNS1_3gpuE4ELNS1_3repE0EEENS1_30default_config_static_selectorELNS0_4arch9wavefront6targetE1EEEvT1_.private_seg_size, 0
	.set _ZN7rocprim17ROCPRIM_400000_NS6detail17trampoline_kernelINS0_14default_configENS1_27scan_by_key_config_selectorIiiEEZZNS1_16scan_by_key_implILNS1_25lookback_scan_determinismE0ELb0ES3_PKiN6hipcub16HIPCUB_304000_NS21ConstantInputIteratorIilEEPiiNSB_3SumENSB_8EqualityEiEE10hipError_tPvRmT2_T3_T4_T5_mT6_T7_P12ihipStream_tbENKUlT_T0_E_clISt17integral_constantIbLb0EESW_IbLb1EEEEDaSS_ST_EUlSS_E_NS1_11comp_targetILNS1_3genE10ELNS1_11target_archE1200ELNS1_3gpuE4ELNS1_3repE0EEENS1_30default_config_static_selectorELNS0_4arch9wavefront6targetE1EEEvT1_.uses_vcc, 0
	.set _ZN7rocprim17ROCPRIM_400000_NS6detail17trampoline_kernelINS0_14default_configENS1_27scan_by_key_config_selectorIiiEEZZNS1_16scan_by_key_implILNS1_25lookback_scan_determinismE0ELb0ES3_PKiN6hipcub16HIPCUB_304000_NS21ConstantInputIteratorIilEEPiiNSB_3SumENSB_8EqualityEiEE10hipError_tPvRmT2_T3_T4_T5_mT6_T7_P12ihipStream_tbENKUlT_T0_E_clISt17integral_constantIbLb0EESW_IbLb1EEEEDaSS_ST_EUlSS_E_NS1_11comp_targetILNS1_3genE10ELNS1_11target_archE1200ELNS1_3gpuE4ELNS1_3repE0EEENS1_30default_config_static_selectorELNS0_4arch9wavefront6targetE1EEEvT1_.uses_flat_scratch, 0
	.set _ZN7rocprim17ROCPRIM_400000_NS6detail17trampoline_kernelINS0_14default_configENS1_27scan_by_key_config_selectorIiiEEZZNS1_16scan_by_key_implILNS1_25lookback_scan_determinismE0ELb0ES3_PKiN6hipcub16HIPCUB_304000_NS21ConstantInputIteratorIilEEPiiNSB_3SumENSB_8EqualityEiEE10hipError_tPvRmT2_T3_T4_T5_mT6_T7_P12ihipStream_tbENKUlT_T0_E_clISt17integral_constantIbLb0EESW_IbLb1EEEEDaSS_ST_EUlSS_E_NS1_11comp_targetILNS1_3genE10ELNS1_11target_archE1200ELNS1_3gpuE4ELNS1_3repE0EEENS1_30default_config_static_selectorELNS0_4arch9wavefront6targetE1EEEvT1_.has_dyn_sized_stack, 0
	.set _ZN7rocprim17ROCPRIM_400000_NS6detail17trampoline_kernelINS0_14default_configENS1_27scan_by_key_config_selectorIiiEEZZNS1_16scan_by_key_implILNS1_25lookback_scan_determinismE0ELb0ES3_PKiN6hipcub16HIPCUB_304000_NS21ConstantInputIteratorIilEEPiiNSB_3SumENSB_8EqualityEiEE10hipError_tPvRmT2_T3_T4_T5_mT6_T7_P12ihipStream_tbENKUlT_T0_E_clISt17integral_constantIbLb0EESW_IbLb1EEEEDaSS_ST_EUlSS_E_NS1_11comp_targetILNS1_3genE10ELNS1_11target_archE1200ELNS1_3gpuE4ELNS1_3repE0EEENS1_30default_config_static_selectorELNS0_4arch9wavefront6targetE1EEEvT1_.has_recursion, 0
	.set _ZN7rocprim17ROCPRIM_400000_NS6detail17trampoline_kernelINS0_14default_configENS1_27scan_by_key_config_selectorIiiEEZZNS1_16scan_by_key_implILNS1_25lookback_scan_determinismE0ELb0ES3_PKiN6hipcub16HIPCUB_304000_NS21ConstantInputIteratorIilEEPiiNSB_3SumENSB_8EqualityEiEE10hipError_tPvRmT2_T3_T4_T5_mT6_T7_P12ihipStream_tbENKUlT_T0_E_clISt17integral_constantIbLb0EESW_IbLb1EEEEDaSS_ST_EUlSS_E_NS1_11comp_targetILNS1_3genE10ELNS1_11target_archE1200ELNS1_3gpuE4ELNS1_3repE0EEENS1_30default_config_static_selectorELNS0_4arch9wavefront6targetE1EEEvT1_.has_indirect_call, 0
	.section	.AMDGPU.csdata,"",@progbits
; Kernel info:
; codeLenInByte = 0
; TotalNumSgprs: 6
; NumVgprs: 0
; NumAgprs: 0
; TotalNumVgprs: 0
; ScratchSize: 0
; MemoryBound: 0
; FloatMode: 240
; IeeeMode: 1
; LDSByteSize: 0 bytes/workgroup (compile time only)
; SGPRBlocks: 0
; VGPRBlocks: 0
; NumSGPRsForWavesPerEU: 6
; NumVGPRsForWavesPerEU: 1
; AccumOffset: 4
; Occupancy: 8
; WaveLimiterHint : 0
; COMPUTE_PGM_RSRC2:SCRATCH_EN: 0
; COMPUTE_PGM_RSRC2:USER_SGPR: 2
; COMPUTE_PGM_RSRC2:TRAP_HANDLER: 0
; COMPUTE_PGM_RSRC2:TGID_X_EN: 1
; COMPUTE_PGM_RSRC2:TGID_Y_EN: 0
; COMPUTE_PGM_RSRC2:TGID_Z_EN: 0
; COMPUTE_PGM_RSRC2:TIDIG_COMP_CNT: 0
; COMPUTE_PGM_RSRC3_GFX90A:ACCUM_OFFSET: 0
; COMPUTE_PGM_RSRC3_GFX90A:TG_SPLIT: 0
	.section	.text._ZN7rocprim17ROCPRIM_400000_NS6detail17trampoline_kernelINS0_14default_configENS1_27scan_by_key_config_selectorIiiEEZZNS1_16scan_by_key_implILNS1_25lookback_scan_determinismE0ELb0ES3_PKiN6hipcub16HIPCUB_304000_NS21ConstantInputIteratorIilEEPiiNSB_3SumENSB_8EqualityEiEE10hipError_tPvRmT2_T3_T4_T5_mT6_T7_P12ihipStream_tbENKUlT_T0_E_clISt17integral_constantIbLb0EESW_IbLb1EEEEDaSS_ST_EUlSS_E_NS1_11comp_targetILNS1_3genE9ELNS1_11target_archE1100ELNS1_3gpuE3ELNS1_3repE0EEENS1_30default_config_static_selectorELNS0_4arch9wavefront6targetE1EEEvT1_,"axG",@progbits,_ZN7rocprim17ROCPRIM_400000_NS6detail17trampoline_kernelINS0_14default_configENS1_27scan_by_key_config_selectorIiiEEZZNS1_16scan_by_key_implILNS1_25lookback_scan_determinismE0ELb0ES3_PKiN6hipcub16HIPCUB_304000_NS21ConstantInputIteratorIilEEPiiNSB_3SumENSB_8EqualityEiEE10hipError_tPvRmT2_T3_T4_T5_mT6_T7_P12ihipStream_tbENKUlT_T0_E_clISt17integral_constantIbLb0EESW_IbLb1EEEEDaSS_ST_EUlSS_E_NS1_11comp_targetILNS1_3genE9ELNS1_11target_archE1100ELNS1_3gpuE3ELNS1_3repE0EEENS1_30default_config_static_selectorELNS0_4arch9wavefront6targetE1EEEvT1_,comdat
	.protected	_ZN7rocprim17ROCPRIM_400000_NS6detail17trampoline_kernelINS0_14default_configENS1_27scan_by_key_config_selectorIiiEEZZNS1_16scan_by_key_implILNS1_25lookback_scan_determinismE0ELb0ES3_PKiN6hipcub16HIPCUB_304000_NS21ConstantInputIteratorIilEEPiiNSB_3SumENSB_8EqualityEiEE10hipError_tPvRmT2_T3_T4_T5_mT6_T7_P12ihipStream_tbENKUlT_T0_E_clISt17integral_constantIbLb0EESW_IbLb1EEEEDaSS_ST_EUlSS_E_NS1_11comp_targetILNS1_3genE9ELNS1_11target_archE1100ELNS1_3gpuE3ELNS1_3repE0EEENS1_30default_config_static_selectorELNS0_4arch9wavefront6targetE1EEEvT1_ ; -- Begin function _ZN7rocprim17ROCPRIM_400000_NS6detail17trampoline_kernelINS0_14default_configENS1_27scan_by_key_config_selectorIiiEEZZNS1_16scan_by_key_implILNS1_25lookback_scan_determinismE0ELb0ES3_PKiN6hipcub16HIPCUB_304000_NS21ConstantInputIteratorIilEEPiiNSB_3SumENSB_8EqualityEiEE10hipError_tPvRmT2_T3_T4_T5_mT6_T7_P12ihipStream_tbENKUlT_T0_E_clISt17integral_constantIbLb0EESW_IbLb1EEEEDaSS_ST_EUlSS_E_NS1_11comp_targetILNS1_3genE9ELNS1_11target_archE1100ELNS1_3gpuE3ELNS1_3repE0EEENS1_30default_config_static_selectorELNS0_4arch9wavefront6targetE1EEEvT1_
	.globl	_ZN7rocprim17ROCPRIM_400000_NS6detail17trampoline_kernelINS0_14default_configENS1_27scan_by_key_config_selectorIiiEEZZNS1_16scan_by_key_implILNS1_25lookback_scan_determinismE0ELb0ES3_PKiN6hipcub16HIPCUB_304000_NS21ConstantInputIteratorIilEEPiiNSB_3SumENSB_8EqualityEiEE10hipError_tPvRmT2_T3_T4_T5_mT6_T7_P12ihipStream_tbENKUlT_T0_E_clISt17integral_constantIbLb0EESW_IbLb1EEEEDaSS_ST_EUlSS_E_NS1_11comp_targetILNS1_3genE9ELNS1_11target_archE1100ELNS1_3gpuE3ELNS1_3repE0EEENS1_30default_config_static_selectorELNS0_4arch9wavefront6targetE1EEEvT1_
	.p2align	8
	.type	_ZN7rocprim17ROCPRIM_400000_NS6detail17trampoline_kernelINS0_14default_configENS1_27scan_by_key_config_selectorIiiEEZZNS1_16scan_by_key_implILNS1_25lookback_scan_determinismE0ELb0ES3_PKiN6hipcub16HIPCUB_304000_NS21ConstantInputIteratorIilEEPiiNSB_3SumENSB_8EqualityEiEE10hipError_tPvRmT2_T3_T4_T5_mT6_T7_P12ihipStream_tbENKUlT_T0_E_clISt17integral_constantIbLb0EESW_IbLb1EEEEDaSS_ST_EUlSS_E_NS1_11comp_targetILNS1_3genE9ELNS1_11target_archE1100ELNS1_3gpuE3ELNS1_3repE0EEENS1_30default_config_static_selectorELNS0_4arch9wavefront6targetE1EEEvT1_,@function
_ZN7rocprim17ROCPRIM_400000_NS6detail17trampoline_kernelINS0_14default_configENS1_27scan_by_key_config_selectorIiiEEZZNS1_16scan_by_key_implILNS1_25lookback_scan_determinismE0ELb0ES3_PKiN6hipcub16HIPCUB_304000_NS21ConstantInputIteratorIilEEPiiNSB_3SumENSB_8EqualityEiEE10hipError_tPvRmT2_T3_T4_T5_mT6_T7_P12ihipStream_tbENKUlT_T0_E_clISt17integral_constantIbLb0EESW_IbLb1EEEEDaSS_ST_EUlSS_E_NS1_11comp_targetILNS1_3genE9ELNS1_11target_archE1100ELNS1_3gpuE3ELNS1_3repE0EEENS1_30default_config_static_selectorELNS0_4arch9wavefront6targetE1EEEvT1_: ; @_ZN7rocprim17ROCPRIM_400000_NS6detail17trampoline_kernelINS0_14default_configENS1_27scan_by_key_config_selectorIiiEEZZNS1_16scan_by_key_implILNS1_25lookback_scan_determinismE0ELb0ES3_PKiN6hipcub16HIPCUB_304000_NS21ConstantInputIteratorIilEEPiiNSB_3SumENSB_8EqualityEiEE10hipError_tPvRmT2_T3_T4_T5_mT6_T7_P12ihipStream_tbENKUlT_T0_E_clISt17integral_constantIbLb0EESW_IbLb1EEEEDaSS_ST_EUlSS_E_NS1_11comp_targetILNS1_3genE9ELNS1_11target_archE1100ELNS1_3gpuE3ELNS1_3repE0EEENS1_30default_config_static_selectorELNS0_4arch9wavefront6targetE1EEEvT1_
; %bb.0:
	.section	.rodata,"a",@progbits
	.p2align	6, 0x0
	.amdhsa_kernel _ZN7rocprim17ROCPRIM_400000_NS6detail17trampoline_kernelINS0_14default_configENS1_27scan_by_key_config_selectorIiiEEZZNS1_16scan_by_key_implILNS1_25lookback_scan_determinismE0ELb0ES3_PKiN6hipcub16HIPCUB_304000_NS21ConstantInputIteratorIilEEPiiNSB_3SumENSB_8EqualityEiEE10hipError_tPvRmT2_T3_T4_T5_mT6_T7_P12ihipStream_tbENKUlT_T0_E_clISt17integral_constantIbLb0EESW_IbLb1EEEEDaSS_ST_EUlSS_E_NS1_11comp_targetILNS1_3genE9ELNS1_11target_archE1100ELNS1_3gpuE3ELNS1_3repE0EEENS1_30default_config_static_selectorELNS0_4arch9wavefront6targetE1EEEvT1_
		.amdhsa_group_segment_fixed_size 0
		.amdhsa_private_segment_fixed_size 0
		.amdhsa_kernarg_size 120
		.amdhsa_user_sgpr_count 2
		.amdhsa_user_sgpr_dispatch_ptr 0
		.amdhsa_user_sgpr_queue_ptr 0
		.amdhsa_user_sgpr_kernarg_segment_ptr 1
		.amdhsa_user_sgpr_dispatch_id 0
		.amdhsa_user_sgpr_kernarg_preload_length 0
		.amdhsa_user_sgpr_kernarg_preload_offset 0
		.amdhsa_user_sgpr_private_segment_size 0
		.amdhsa_uses_dynamic_stack 0
		.amdhsa_enable_private_segment 0
		.amdhsa_system_sgpr_workgroup_id_x 1
		.amdhsa_system_sgpr_workgroup_id_y 0
		.amdhsa_system_sgpr_workgroup_id_z 0
		.amdhsa_system_sgpr_workgroup_info 0
		.amdhsa_system_vgpr_workitem_id 0
		.amdhsa_next_free_vgpr 1
		.amdhsa_next_free_sgpr 0
		.amdhsa_accum_offset 4
		.amdhsa_reserve_vcc 0
		.amdhsa_float_round_mode_32 0
		.amdhsa_float_round_mode_16_64 0
		.amdhsa_float_denorm_mode_32 3
		.amdhsa_float_denorm_mode_16_64 3
		.amdhsa_dx10_clamp 1
		.amdhsa_ieee_mode 1
		.amdhsa_fp16_overflow 0
		.amdhsa_tg_split 0
		.amdhsa_exception_fp_ieee_invalid_op 0
		.amdhsa_exception_fp_denorm_src 0
		.amdhsa_exception_fp_ieee_div_zero 0
		.amdhsa_exception_fp_ieee_overflow 0
		.amdhsa_exception_fp_ieee_underflow 0
		.amdhsa_exception_fp_ieee_inexact 0
		.amdhsa_exception_int_div_zero 0
	.end_amdhsa_kernel
	.section	.text._ZN7rocprim17ROCPRIM_400000_NS6detail17trampoline_kernelINS0_14default_configENS1_27scan_by_key_config_selectorIiiEEZZNS1_16scan_by_key_implILNS1_25lookback_scan_determinismE0ELb0ES3_PKiN6hipcub16HIPCUB_304000_NS21ConstantInputIteratorIilEEPiiNSB_3SumENSB_8EqualityEiEE10hipError_tPvRmT2_T3_T4_T5_mT6_T7_P12ihipStream_tbENKUlT_T0_E_clISt17integral_constantIbLb0EESW_IbLb1EEEEDaSS_ST_EUlSS_E_NS1_11comp_targetILNS1_3genE9ELNS1_11target_archE1100ELNS1_3gpuE3ELNS1_3repE0EEENS1_30default_config_static_selectorELNS0_4arch9wavefront6targetE1EEEvT1_,"axG",@progbits,_ZN7rocprim17ROCPRIM_400000_NS6detail17trampoline_kernelINS0_14default_configENS1_27scan_by_key_config_selectorIiiEEZZNS1_16scan_by_key_implILNS1_25lookback_scan_determinismE0ELb0ES3_PKiN6hipcub16HIPCUB_304000_NS21ConstantInputIteratorIilEEPiiNSB_3SumENSB_8EqualityEiEE10hipError_tPvRmT2_T3_T4_T5_mT6_T7_P12ihipStream_tbENKUlT_T0_E_clISt17integral_constantIbLb0EESW_IbLb1EEEEDaSS_ST_EUlSS_E_NS1_11comp_targetILNS1_3genE9ELNS1_11target_archE1100ELNS1_3gpuE3ELNS1_3repE0EEENS1_30default_config_static_selectorELNS0_4arch9wavefront6targetE1EEEvT1_,comdat
.Lfunc_end50:
	.size	_ZN7rocprim17ROCPRIM_400000_NS6detail17trampoline_kernelINS0_14default_configENS1_27scan_by_key_config_selectorIiiEEZZNS1_16scan_by_key_implILNS1_25lookback_scan_determinismE0ELb0ES3_PKiN6hipcub16HIPCUB_304000_NS21ConstantInputIteratorIilEEPiiNSB_3SumENSB_8EqualityEiEE10hipError_tPvRmT2_T3_T4_T5_mT6_T7_P12ihipStream_tbENKUlT_T0_E_clISt17integral_constantIbLb0EESW_IbLb1EEEEDaSS_ST_EUlSS_E_NS1_11comp_targetILNS1_3genE9ELNS1_11target_archE1100ELNS1_3gpuE3ELNS1_3repE0EEENS1_30default_config_static_selectorELNS0_4arch9wavefront6targetE1EEEvT1_, .Lfunc_end50-_ZN7rocprim17ROCPRIM_400000_NS6detail17trampoline_kernelINS0_14default_configENS1_27scan_by_key_config_selectorIiiEEZZNS1_16scan_by_key_implILNS1_25lookback_scan_determinismE0ELb0ES3_PKiN6hipcub16HIPCUB_304000_NS21ConstantInputIteratorIilEEPiiNSB_3SumENSB_8EqualityEiEE10hipError_tPvRmT2_T3_T4_T5_mT6_T7_P12ihipStream_tbENKUlT_T0_E_clISt17integral_constantIbLb0EESW_IbLb1EEEEDaSS_ST_EUlSS_E_NS1_11comp_targetILNS1_3genE9ELNS1_11target_archE1100ELNS1_3gpuE3ELNS1_3repE0EEENS1_30default_config_static_selectorELNS0_4arch9wavefront6targetE1EEEvT1_
                                        ; -- End function
	.set _ZN7rocprim17ROCPRIM_400000_NS6detail17trampoline_kernelINS0_14default_configENS1_27scan_by_key_config_selectorIiiEEZZNS1_16scan_by_key_implILNS1_25lookback_scan_determinismE0ELb0ES3_PKiN6hipcub16HIPCUB_304000_NS21ConstantInputIteratorIilEEPiiNSB_3SumENSB_8EqualityEiEE10hipError_tPvRmT2_T3_T4_T5_mT6_T7_P12ihipStream_tbENKUlT_T0_E_clISt17integral_constantIbLb0EESW_IbLb1EEEEDaSS_ST_EUlSS_E_NS1_11comp_targetILNS1_3genE9ELNS1_11target_archE1100ELNS1_3gpuE3ELNS1_3repE0EEENS1_30default_config_static_selectorELNS0_4arch9wavefront6targetE1EEEvT1_.num_vgpr, 0
	.set _ZN7rocprim17ROCPRIM_400000_NS6detail17trampoline_kernelINS0_14default_configENS1_27scan_by_key_config_selectorIiiEEZZNS1_16scan_by_key_implILNS1_25lookback_scan_determinismE0ELb0ES3_PKiN6hipcub16HIPCUB_304000_NS21ConstantInputIteratorIilEEPiiNSB_3SumENSB_8EqualityEiEE10hipError_tPvRmT2_T3_T4_T5_mT6_T7_P12ihipStream_tbENKUlT_T0_E_clISt17integral_constantIbLb0EESW_IbLb1EEEEDaSS_ST_EUlSS_E_NS1_11comp_targetILNS1_3genE9ELNS1_11target_archE1100ELNS1_3gpuE3ELNS1_3repE0EEENS1_30default_config_static_selectorELNS0_4arch9wavefront6targetE1EEEvT1_.num_agpr, 0
	.set _ZN7rocprim17ROCPRIM_400000_NS6detail17trampoline_kernelINS0_14default_configENS1_27scan_by_key_config_selectorIiiEEZZNS1_16scan_by_key_implILNS1_25lookback_scan_determinismE0ELb0ES3_PKiN6hipcub16HIPCUB_304000_NS21ConstantInputIteratorIilEEPiiNSB_3SumENSB_8EqualityEiEE10hipError_tPvRmT2_T3_T4_T5_mT6_T7_P12ihipStream_tbENKUlT_T0_E_clISt17integral_constantIbLb0EESW_IbLb1EEEEDaSS_ST_EUlSS_E_NS1_11comp_targetILNS1_3genE9ELNS1_11target_archE1100ELNS1_3gpuE3ELNS1_3repE0EEENS1_30default_config_static_selectorELNS0_4arch9wavefront6targetE1EEEvT1_.numbered_sgpr, 0
	.set _ZN7rocprim17ROCPRIM_400000_NS6detail17trampoline_kernelINS0_14default_configENS1_27scan_by_key_config_selectorIiiEEZZNS1_16scan_by_key_implILNS1_25lookback_scan_determinismE0ELb0ES3_PKiN6hipcub16HIPCUB_304000_NS21ConstantInputIteratorIilEEPiiNSB_3SumENSB_8EqualityEiEE10hipError_tPvRmT2_T3_T4_T5_mT6_T7_P12ihipStream_tbENKUlT_T0_E_clISt17integral_constantIbLb0EESW_IbLb1EEEEDaSS_ST_EUlSS_E_NS1_11comp_targetILNS1_3genE9ELNS1_11target_archE1100ELNS1_3gpuE3ELNS1_3repE0EEENS1_30default_config_static_selectorELNS0_4arch9wavefront6targetE1EEEvT1_.num_named_barrier, 0
	.set _ZN7rocprim17ROCPRIM_400000_NS6detail17trampoline_kernelINS0_14default_configENS1_27scan_by_key_config_selectorIiiEEZZNS1_16scan_by_key_implILNS1_25lookback_scan_determinismE0ELb0ES3_PKiN6hipcub16HIPCUB_304000_NS21ConstantInputIteratorIilEEPiiNSB_3SumENSB_8EqualityEiEE10hipError_tPvRmT2_T3_T4_T5_mT6_T7_P12ihipStream_tbENKUlT_T0_E_clISt17integral_constantIbLb0EESW_IbLb1EEEEDaSS_ST_EUlSS_E_NS1_11comp_targetILNS1_3genE9ELNS1_11target_archE1100ELNS1_3gpuE3ELNS1_3repE0EEENS1_30default_config_static_selectorELNS0_4arch9wavefront6targetE1EEEvT1_.private_seg_size, 0
	.set _ZN7rocprim17ROCPRIM_400000_NS6detail17trampoline_kernelINS0_14default_configENS1_27scan_by_key_config_selectorIiiEEZZNS1_16scan_by_key_implILNS1_25lookback_scan_determinismE0ELb0ES3_PKiN6hipcub16HIPCUB_304000_NS21ConstantInputIteratorIilEEPiiNSB_3SumENSB_8EqualityEiEE10hipError_tPvRmT2_T3_T4_T5_mT6_T7_P12ihipStream_tbENKUlT_T0_E_clISt17integral_constantIbLb0EESW_IbLb1EEEEDaSS_ST_EUlSS_E_NS1_11comp_targetILNS1_3genE9ELNS1_11target_archE1100ELNS1_3gpuE3ELNS1_3repE0EEENS1_30default_config_static_selectorELNS0_4arch9wavefront6targetE1EEEvT1_.uses_vcc, 0
	.set _ZN7rocprim17ROCPRIM_400000_NS6detail17trampoline_kernelINS0_14default_configENS1_27scan_by_key_config_selectorIiiEEZZNS1_16scan_by_key_implILNS1_25lookback_scan_determinismE0ELb0ES3_PKiN6hipcub16HIPCUB_304000_NS21ConstantInputIteratorIilEEPiiNSB_3SumENSB_8EqualityEiEE10hipError_tPvRmT2_T3_T4_T5_mT6_T7_P12ihipStream_tbENKUlT_T0_E_clISt17integral_constantIbLb0EESW_IbLb1EEEEDaSS_ST_EUlSS_E_NS1_11comp_targetILNS1_3genE9ELNS1_11target_archE1100ELNS1_3gpuE3ELNS1_3repE0EEENS1_30default_config_static_selectorELNS0_4arch9wavefront6targetE1EEEvT1_.uses_flat_scratch, 0
	.set _ZN7rocprim17ROCPRIM_400000_NS6detail17trampoline_kernelINS0_14default_configENS1_27scan_by_key_config_selectorIiiEEZZNS1_16scan_by_key_implILNS1_25lookback_scan_determinismE0ELb0ES3_PKiN6hipcub16HIPCUB_304000_NS21ConstantInputIteratorIilEEPiiNSB_3SumENSB_8EqualityEiEE10hipError_tPvRmT2_T3_T4_T5_mT6_T7_P12ihipStream_tbENKUlT_T0_E_clISt17integral_constantIbLb0EESW_IbLb1EEEEDaSS_ST_EUlSS_E_NS1_11comp_targetILNS1_3genE9ELNS1_11target_archE1100ELNS1_3gpuE3ELNS1_3repE0EEENS1_30default_config_static_selectorELNS0_4arch9wavefront6targetE1EEEvT1_.has_dyn_sized_stack, 0
	.set _ZN7rocprim17ROCPRIM_400000_NS6detail17trampoline_kernelINS0_14default_configENS1_27scan_by_key_config_selectorIiiEEZZNS1_16scan_by_key_implILNS1_25lookback_scan_determinismE0ELb0ES3_PKiN6hipcub16HIPCUB_304000_NS21ConstantInputIteratorIilEEPiiNSB_3SumENSB_8EqualityEiEE10hipError_tPvRmT2_T3_T4_T5_mT6_T7_P12ihipStream_tbENKUlT_T0_E_clISt17integral_constantIbLb0EESW_IbLb1EEEEDaSS_ST_EUlSS_E_NS1_11comp_targetILNS1_3genE9ELNS1_11target_archE1100ELNS1_3gpuE3ELNS1_3repE0EEENS1_30default_config_static_selectorELNS0_4arch9wavefront6targetE1EEEvT1_.has_recursion, 0
	.set _ZN7rocprim17ROCPRIM_400000_NS6detail17trampoline_kernelINS0_14default_configENS1_27scan_by_key_config_selectorIiiEEZZNS1_16scan_by_key_implILNS1_25lookback_scan_determinismE0ELb0ES3_PKiN6hipcub16HIPCUB_304000_NS21ConstantInputIteratorIilEEPiiNSB_3SumENSB_8EqualityEiEE10hipError_tPvRmT2_T3_T4_T5_mT6_T7_P12ihipStream_tbENKUlT_T0_E_clISt17integral_constantIbLb0EESW_IbLb1EEEEDaSS_ST_EUlSS_E_NS1_11comp_targetILNS1_3genE9ELNS1_11target_archE1100ELNS1_3gpuE3ELNS1_3repE0EEENS1_30default_config_static_selectorELNS0_4arch9wavefront6targetE1EEEvT1_.has_indirect_call, 0
	.section	.AMDGPU.csdata,"",@progbits
; Kernel info:
; codeLenInByte = 0
; TotalNumSgprs: 6
; NumVgprs: 0
; NumAgprs: 0
; TotalNumVgprs: 0
; ScratchSize: 0
; MemoryBound: 0
; FloatMode: 240
; IeeeMode: 1
; LDSByteSize: 0 bytes/workgroup (compile time only)
; SGPRBlocks: 0
; VGPRBlocks: 0
; NumSGPRsForWavesPerEU: 6
; NumVGPRsForWavesPerEU: 1
; AccumOffset: 4
; Occupancy: 8
; WaveLimiterHint : 0
; COMPUTE_PGM_RSRC2:SCRATCH_EN: 0
; COMPUTE_PGM_RSRC2:USER_SGPR: 2
; COMPUTE_PGM_RSRC2:TRAP_HANDLER: 0
; COMPUTE_PGM_RSRC2:TGID_X_EN: 1
; COMPUTE_PGM_RSRC2:TGID_Y_EN: 0
; COMPUTE_PGM_RSRC2:TGID_Z_EN: 0
; COMPUTE_PGM_RSRC2:TIDIG_COMP_CNT: 0
; COMPUTE_PGM_RSRC3_GFX90A:ACCUM_OFFSET: 0
; COMPUTE_PGM_RSRC3_GFX90A:TG_SPLIT: 0
	.section	.text._ZN7rocprim17ROCPRIM_400000_NS6detail17trampoline_kernelINS0_14default_configENS1_27scan_by_key_config_selectorIiiEEZZNS1_16scan_by_key_implILNS1_25lookback_scan_determinismE0ELb0ES3_PKiN6hipcub16HIPCUB_304000_NS21ConstantInputIteratorIilEEPiiNSB_3SumENSB_8EqualityEiEE10hipError_tPvRmT2_T3_T4_T5_mT6_T7_P12ihipStream_tbENKUlT_T0_E_clISt17integral_constantIbLb0EESW_IbLb1EEEEDaSS_ST_EUlSS_E_NS1_11comp_targetILNS1_3genE8ELNS1_11target_archE1030ELNS1_3gpuE2ELNS1_3repE0EEENS1_30default_config_static_selectorELNS0_4arch9wavefront6targetE1EEEvT1_,"axG",@progbits,_ZN7rocprim17ROCPRIM_400000_NS6detail17trampoline_kernelINS0_14default_configENS1_27scan_by_key_config_selectorIiiEEZZNS1_16scan_by_key_implILNS1_25lookback_scan_determinismE0ELb0ES3_PKiN6hipcub16HIPCUB_304000_NS21ConstantInputIteratorIilEEPiiNSB_3SumENSB_8EqualityEiEE10hipError_tPvRmT2_T3_T4_T5_mT6_T7_P12ihipStream_tbENKUlT_T0_E_clISt17integral_constantIbLb0EESW_IbLb1EEEEDaSS_ST_EUlSS_E_NS1_11comp_targetILNS1_3genE8ELNS1_11target_archE1030ELNS1_3gpuE2ELNS1_3repE0EEENS1_30default_config_static_selectorELNS0_4arch9wavefront6targetE1EEEvT1_,comdat
	.protected	_ZN7rocprim17ROCPRIM_400000_NS6detail17trampoline_kernelINS0_14default_configENS1_27scan_by_key_config_selectorIiiEEZZNS1_16scan_by_key_implILNS1_25lookback_scan_determinismE0ELb0ES3_PKiN6hipcub16HIPCUB_304000_NS21ConstantInputIteratorIilEEPiiNSB_3SumENSB_8EqualityEiEE10hipError_tPvRmT2_T3_T4_T5_mT6_T7_P12ihipStream_tbENKUlT_T0_E_clISt17integral_constantIbLb0EESW_IbLb1EEEEDaSS_ST_EUlSS_E_NS1_11comp_targetILNS1_3genE8ELNS1_11target_archE1030ELNS1_3gpuE2ELNS1_3repE0EEENS1_30default_config_static_selectorELNS0_4arch9wavefront6targetE1EEEvT1_ ; -- Begin function _ZN7rocprim17ROCPRIM_400000_NS6detail17trampoline_kernelINS0_14default_configENS1_27scan_by_key_config_selectorIiiEEZZNS1_16scan_by_key_implILNS1_25lookback_scan_determinismE0ELb0ES3_PKiN6hipcub16HIPCUB_304000_NS21ConstantInputIteratorIilEEPiiNSB_3SumENSB_8EqualityEiEE10hipError_tPvRmT2_T3_T4_T5_mT6_T7_P12ihipStream_tbENKUlT_T0_E_clISt17integral_constantIbLb0EESW_IbLb1EEEEDaSS_ST_EUlSS_E_NS1_11comp_targetILNS1_3genE8ELNS1_11target_archE1030ELNS1_3gpuE2ELNS1_3repE0EEENS1_30default_config_static_selectorELNS0_4arch9wavefront6targetE1EEEvT1_
	.globl	_ZN7rocprim17ROCPRIM_400000_NS6detail17trampoline_kernelINS0_14default_configENS1_27scan_by_key_config_selectorIiiEEZZNS1_16scan_by_key_implILNS1_25lookback_scan_determinismE0ELb0ES3_PKiN6hipcub16HIPCUB_304000_NS21ConstantInputIteratorIilEEPiiNSB_3SumENSB_8EqualityEiEE10hipError_tPvRmT2_T3_T4_T5_mT6_T7_P12ihipStream_tbENKUlT_T0_E_clISt17integral_constantIbLb0EESW_IbLb1EEEEDaSS_ST_EUlSS_E_NS1_11comp_targetILNS1_3genE8ELNS1_11target_archE1030ELNS1_3gpuE2ELNS1_3repE0EEENS1_30default_config_static_selectorELNS0_4arch9wavefront6targetE1EEEvT1_
	.p2align	8
	.type	_ZN7rocprim17ROCPRIM_400000_NS6detail17trampoline_kernelINS0_14default_configENS1_27scan_by_key_config_selectorIiiEEZZNS1_16scan_by_key_implILNS1_25lookback_scan_determinismE0ELb0ES3_PKiN6hipcub16HIPCUB_304000_NS21ConstantInputIteratorIilEEPiiNSB_3SumENSB_8EqualityEiEE10hipError_tPvRmT2_T3_T4_T5_mT6_T7_P12ihipStream_tbENKUlT_T0_E_clISt17integral_constantIbLb0EESW_IbLb1EEEEDaSS_ST_EUlSS_E_NS1_11comp_targetILNS1_3genE8ELNS1_11target_archE1030ELNS1_3gpuE2ELNS1_3repE0EEENS1_30default_config_static_selectorELNS0_4arch9wavefront6targetE1EEEvT1_,@function
_ZN7rocprim17ROCPRIM_400000_NS6detail17trampoline_kernelINS0_14default_configENS1_27scan_by_key_config_selectorIiiEEZZNS1_16scan_by_key_implILNS1_25lookback_scan_determinismE0ELb0ES3_PKiN6hipcub16HIPCUB_304000_NS21ConstantInputIteratorIilEEPiiNSB_3SumENSB_8EqualityEiEE10hipError_tPvRmT2_T3_T4_T5_mT6_T7_P12ihipStream_tbENKUlT_T0_E_clISt17integral_constantIbLb0EESW_IbLb1EEEEDaSS_ST_EUlSS_E_NS1_11comp_targetILNS1_3genE8ELNS1_11target_archE1030ELNS1_3gpuE2ELNS1_3repE0EEENS1_30default_config_static_selectorELNS0_4arch9wavefront6targetE1EEEvT1_: ; @_ZN7rocprim17ROCPRIM_400000_NS6detail17trampoline_kernelINS0_14default_configENS1_27scan_by_key_config_selectorIiiEEZZNS1_16scan_by_key_implILNS1_25lookback_scan_determinismE0ELb0ES3_PKiN6hipcub16HIPCUB_304000_NS21ConstantInputIteratorIilEEPiiNSB_3SumENSB_8EqualityEiEE10hipError_tPvRmT2_T3_T4_T5_mT6_T7_P12ihipStream_tbENKUlT_T0_E_clISt17integral_constantIbLb0EESW_IbLb1EEEEDaSS_ST_EUlSS_E_NS1_11comp_targetILNS1_3genE8ELNS1_11target_archE1030ELNS1_3gpuE2ELNS1_3repE0EEENS1_30default_config_static_selectorELNS0_4arch9wavefront6targetE1EEEvT1_
; %bb.0:
	.section	.rodata,"a",@progbits
	.p2align	6, 0x0
	.amdhsa_kernel _ZN7rocprim17ROCPRIM_400000_NS6detail17trampoline_kernelINS0_14default_configENS1_27scan_by_key_config_selectorIiiEEZZNS1_16scan_by_key_implILNS1_25lookback_scan_determinismE0ELb0ES3_PKiN6hipcub16HIPCUB_304000_NS21ConstantInputIteratorIilEEPiiNSB_3SumENSB_8EqualityEiEE10hipError_tPvRmT2_T3_T4_T5_mT6_T7_P12ihipStream_tbENKUlT_T0_E_clISt17integral_constantIbLb0EESW_IbLb1EEEEDaSS_ST_EUlSS_E_NS1_11comp_targetILNS1_3genE8ELNS1_11target_archE1030ELNS1_3gpuE2ELNS1_3repE0EEENS1_30default_config_static_selectorELNS0_4arch9wavefront6targetE1EEEvT1_
		.amdhsa_group_segment_fixed_size 0
		.amdhsa_private_segment_fixed_size 0
		.amdhsa_kernarg_size 120
		.amdhsa_user_sgpr_count 2
		.amdhsa_user_sgpr_dispatch_ptr 0
		.amdhsa_user_sgpr_queue_ptr 0
		.amdhsa_user_sgpr_kernarg_segment_ptr 1
		.amdhsa_user_sgpr_dispatch_id 0
		.amdhsa_user_sgpr_kernarg_preload_length 0
		.amdhsa_user_sgpr_kernarg_preload_offset 0
		.amdhsa_user_sgpr_private_segment_size 0
		.amdhsa_uses_dynamic_stack 0
		.amdhsa_enable_private_segment 0
		.amdhsa_system_sgpr_workgroup_id_x 1
		.amdhsa_system_sgpr_workgroup_id_y 0
		.amdhsa_system_sgpr_workgroup_id_z 0
		.amdhsa_system_sgpr_workgroup_info 0
		.amdhsa_system_vgpr_workitem_id 0
		.amdhsa_next_free_vgpr 1
		.amdhsa_next_free_sgpr 0
		.amdhsa_accum_offset 4
		.amdhsa_reserve_vcc 0
		.amdhsa_float_round_mode_32 0
		.amdhsa_float_round_mode_16_64 0
		.amdhsa_float_denorm_mode_32 3
		.amdhsa_float_denorm_mode_16_64 3
		.amdhsa_dx10_clamp 1
		.amdhsa_ieee_mode 1
		.amdhsa_fp16_overflow 0
		.amdhsa_tg_split 0
		.amdhsa_exception_fp_ieee_invalid_op 0
		.amdhsa_exception_fp_denorm_src 0
		.amdhsa_exception_fp_ieee_div_zero 0
		.amdhsa_exception_fp_ieee_overflow 0
		.amdhsa_exception_fp_ieee_underflow 0
		.amdhsa_exception_fp_ieee_inexact 0
		.amdhsa_exception_int_div_zero 0
	.end_amdhsa_kernel
	.section	.text._ZN7rocprim17ROCPRIM_400000_NS6detail17trampoline_kernelINS0_14default_configENS1_27scan_by_key_config_selectorIiiEEZZNS1_16scan_by_key_implILNS1_25lookback_scan_determinismE0ELb0ES3_PKiN6hipcub16HIPCUB_304000_NS21ConstantInputIteratorIilEEPiiNSB_3SumENSB_8EqualityEiEE10hipError_tPvRmT2_T3_T4_T5_mT6_T7_P12ihipStream_tbENKUlT_T0_E_clISt17integral_constantIbLb0EESW_IbLb1EEEEDaSS_ST_EUlSS_E_NS1_11comp_targetILNS1_3genE8ELNS1_11target_archE1030ELNS1_3gpuE2ELNS1_3repE0EEENS1_30default_config_static_selectorELNS0_4arch9wavefront6targetE1EEEvT1_,"axG",@progbits,_ZN7rocprim17ROCPRIM_400000_NS6detail17trampoline_kernelINS0_14default_configENS1_27scan_by_key_config_selectorIiiEEZZNS1_16scan_by_key_implILNS1_25lookback_scan_determinismE0ELb0ES3_PKiN6hipcub16HIPCUB_304000_NS21ConstantInputIteratorIilEEPiiNSB_3SumENSB_8EqualityEiEE10hipError_tPvRmT2_T3_T4_T5_mT6_T7_P12ihipStream_tbENKUlT_T0_E_clISt17integral_constantIbLb0EESW_IbLb1EEEEDaSS_ST_EUlSS_E_NS1_11comp_targetILNS1_3genE8ELNS1_11target_archE1030ELNS1_3gpuE2ELNS1_3repE0EEENS1_30default_config_static_selectorELNS0_4arch9wavefront6targetE1EEEvT1_,comdat
.Lfunc_end51:
	.size	_ZN7rocprim17ROCPRIM_400000_NS6detail17trampoline_kernelINS0_14default_configENS1_27scan_by_key_config_selectorIiiEEZZNS1_16scan_by_key_implILNS1_25lookback_scan_determinismE0ELb0ES3_PKiN6hipcub16HIPCUB_304000_NS21ConstantInputIteratorIilEEPiiNSB_3SumENSB_8EqualityEiEE10hipError_tPvRmT2_T3_T4_T5_mT6_T7_P12ihipStream_tbENKUlT_T0_E_clISt17integral_constantIbLb0EESW_IbLb1EEEEDaSS_ST_EUlSS_E_NS1_11comp_targetILNS1_3genE8ELNS1_11target_archE1030ELNS1_3gpuE2ELNS1_3repE0EEENS1_30default_config_static_selectorELNS0_4arch9wavefront6targetE1EEEvT1_, .Lfunc_end51-_ZN7rocprim17ROCPRIM_400000_NS6detail17trampoline_kernelINS0_14default_configENS1_27scan_by_key_config_selectorIiiEEZZNS1_16scan_by_key_implILNS1_25lookback_scan_determinismE0ELb0ES3_PKiN6hipcub16HIPCUB_304000_NS21ConstantInputIteratorIilEEPiiNSB_3SumENSB_8EqualityEiEE10hipError_tPvRmT2_T3_T4_T5_mT6_T7_P12ihipStream_tbENKUlT_T0_E_clISt17integral_constantIbLb0EESW_IbLb1EEEEDaSS_ST_EUlSS_E_NS1_11comp_targetILNS1_3genE8ELNS1_11target_archE1030ELNS1_3gpuE2ELNS1_3repE0EEENS1_30default_config_static_selectorELNS0_4arch9wavefront6targetE1EEEvT1_
                                        ; -- End function
	.set _ZN7rocprim17ROCPRIM_400000_NS6detail17trampoline_kernelINS0_14default_configENS1_27scan_by_key_config_selectorIiiEEZZNS1_16scan_by_key_implILNS1_25lookback_scan_determinismE0ELb0ES3_PKiN6hipcub16HIPCUB_304000_NS21ConstantInputIteratorIilEEPiiNSB_3SumENSB_8EqualityEiEE10hipError_tPvRmT2_T3_T4_T5_mT6_T7_P12ihipStream_tbENKUlT_T0_E_clISt17integral_constantIbLb0EESW_IbLb1EEEEDaSS_ST_EUlSS_E_NS1_11comp_targetILNS1_3genE8ELNS1_11target_archE1030ELNS1_3gpuE2ELNS1_3repE0EEENS1_30default_config_static_selectorELNS0_4arch9wavefront6targetE1EEEvT1_.num_vgpr, 0
	.set _ZN7rocprim17ROCPRIM_400000_NS6detail17trampoline_kernelINS0_14default_configENS1_27scan_by_key_config_selectorIiiEEZZNS1_16scan_by_key_implILNS1_25lookback_scan_determinismE0ELb0ES3_PKiN6hipcub16HIPCUB_304000_NS21ConstantInputIteratorIilEEPiiNSB_3SumENSB_8EqualityEiEE10hipError_tPvRmT2_T3_T4_T5_mT6_T7_P12ihipStream_tbENKUlT_T0_E_clISt17integral_constantIbLb0EESW_IbLb1EEEEDaSS_ST_EUlSS_E_NS1_11comp_targetILNS1_3genE8ELNS1_11target_archE1030ELNS1_3gpuE2ELNS1_3repE0EEENS1_30default_config_static_selectorELNS0_4arch9wavefront6targetE1EEEvT1_.num_agpr, 0
	.set _ZN7rocprim17ROCPRIM_400000_NS6detail17trampoline_kernelINS0_14default_configENS1_27scan_by_key_config_selectorIiiEEZZNS1_16scan_by_key_implILNS1_25lookback_scan_determinismE0ELb0ES3_PKiN6hipcub16HIPCUB_304000_NS21ConstantInputIteratorIilEEPiiNSB_3SumENSB_8EqualityEiEE10hipError_tPvRmT2_T3_T4_T5_mT6_T7_P12ihipStream_tbENKUlT_T0_E_clISt17integral_constantIbLb0EESW_IbLb1EEEEDaSS_ST_EUlSS_E_NS1_11comp_targetILNS1_3genE8ELNS1_11target_archE1030ELNS1_3gpuE2ELNS1_3repE0EEENS1_30default_config_static_selectorELNS0_4arch9wavefront6targetE1EEEvT1_.numbered_sgpr, 0
	.set _ZN7rocprim17ROCPRIM_400000_NS6detail17trampoline_kernelINS0_14default_configENS1_27scan_by_key_config_selectorIiiEEZZNS1_16scan_by_key_implILNS1_25lookback_scan_determinismE0ELb0ES3_PKiN6hipcub16HIPCUB_304000_NS21ConstantInputIteratorIilEEPiiNSB_3SumENSB_8EqualityEiEE10hipError_tPvRmT2_T3_T4_T5_mT6_T7_P12ihipStream_tbENKUlT_T0_E_clISt17integral_constantIbLb0EESW_IbLb1EEEEDaSS_ST_EUlSS_E_NS1_11comp_targetILNS1_3genE8ELNS1_11target_archE1030ELNS1_3gpuE2ELNS1_3repE0EEENS1_30default_config_static_selectorELNS0_4arch9wavefront6targetE1EEEvT1_.num_named_barrier, 0
	.set _ZN7rocprim17ROCPRIM_400000_NS6detail17trampoline_kernelINS0_14default_configENS1_27scan_by_key_config_selectorIiiEEZZNS1_16scan_by_key_implILNS1_25lookback_scan_determinismE0ELb0ES3_PKiN6hipcub16HIPCUB_304000_NS21ConstantInputIteratorIilEEPiiNSB_3SumENSB_8EqualityEiEE10hipError_tPvRmT2_T3_T4_T5_mT6_T7_P12ihipStream_tbENKUlT_T0_E_clISt17integral_constantIbLb0EESW_IbLb1EEEEDaSS_ST_EUlSS_E_NS1_11comp_targetILNS1_3genE8ELNS1_11target_archE1030ELNS1_3gpuE2ELNS1_3repE0EEENS1_30default_config_static_selectorELNS0_4arch9wavefront6targetE1EEEvT1_.private_seg_size, 0
	.set _ZN7rocprim17ROCPRIM_400000_NS6detail17trampoline_kernelINS0_14default_configENS1_27scan_by_key_config_selectorIiiEEZZNS1_16scan_by_key_implILNS1_25lookback_scan_determinismE0ELb0ES3_PKiN6hipcub16HIPCUB_304000_NS21ConstantInputIteratorIilEEPiiNSB_3SumENSB_8EqualityEiEE10hipError_tPvRmT2_T3_T4_T5_mT6_T7_P12ihipStream_tbENKUlT_T0_E_clISt17integral_constantIbLb0EESW_IbLb1EEEEDaSS_ST_EUlSS_E_NS1_11comp_targetILNS1_3genE8ELNS1_11target_archE1030ELNS1_3gpuE2ELNS1_3repE0EEENS1_30default_config_static_selectorELNS0_4arch9wavefront6targetE1EEEvT1_.uses_vcc, 0
	.set _ZN7rocprim17ROCPRIM_400000_NS6detail17trampoline_kernelINS0_14default_configENS1_27scan_by_key_config_selectorIiiEEZZNS1_16scan_by_key_implILNS1_25lookback_scan_determinismE0ELb0ES3_PKiN6hipcub16HIPCUB_304000_NS21ConstantInputIteratorIilEEPiiNSB_3SumENSB_8EqualityEiEE10hipError_tPvRmT2_T3_T4_T5_mT6_T7_P12ihipStream_tbENKUlT_T0_E_clISt17integral_constantIbLb0EESW_IbLb1EEEEDaSS_ST_EUlSS_E_NS1_11comp_targetILNS1_3genE8ELNS1_11target_archE1030ELNS1_3gpuE2ELNS1_3repE0EEENS1_30default_config_static_selectorELNS0_4arch9wavefront6targetE1EEEvT1_.uses_flat_scratch, 0
	.set _ZN7rocprim17ROCPRIM_400000_NS6detail17trampoline_kernelINS0_14default_configENS1_27scan_by_key_config_selectorIiiEEZZNS1_16scan_by_key_implILNS1_25lookback_scan_determinismE0ELb0ES3_PKiN6hipcub16HIPCUB_304000_NS21ConstantInputIteratorIilEEPiiNSB_3SumENSB_8EqualityEiEE10hipError_tPvRmT2_T3_T4_T5_mT6_T7_P12ihipStream_tbENKUlT_T0_E_clISt17integral_constantIbLb0EESW_IbLb1EEEEDaSS_ST_EUlSS_E_NS1_11comp_targetILNS1_3genE8ELNS1_11target_archE1030ELNS1_3gpuE2ELNS1_3repE0EEENS1_30default_config_static_selectorELNS0_4arch9wavefront6targetE1EEEvT1_.has_dyn_sized_stack, 0
	.set _ZN7rocprim17ROCPRIM_400000_NS6detail17trampoline_kernelINS0_14default_configENS1_27scan_by_key_config_selectorIiiEEZZNS1_16scan_by_key_implILNS1_25lookback_scan_determinismE0ELb0ES3_PKiN6hipcub16HIPCUB_304000_NS21ConstantInputIteratorIilEEPiiNSB_3SumENSB_8EqualityEiEE10hipError_tPvRmT2_T3_T4_T5_mT6_T7_P12ihipStream_tbENKUlT_T0_E_clISt17integral_constantIbLb0EESW_IbLb1EEEEDaSS_ST_EUlSS_E_NS1_11comp_targetILNS1_3genE8ELNS1_11target_archE1030ELNS1_3gpuE2ELNS1_3repE0EEENS1_30default_config_static_selectorELNS0_4arch9wavefront6targetE1EEEvT1_.has_recursion, 0
	.set _ZN7rocprim17ROCPRIM_400000_NS6detail17trampoline_kernelINS0_14default_configENS1_27scan_by_key_config_selectorIiiEEZZNS1_16scan_by_key_implILNS1_25lookback_scan_determinismE0ELb0ES3_PKiN6hipcub16HIPCUB_304000_NS21ConstantInputIteratorIilEEPiiNSB_3SumENSB_8EqualityEiEE10hipError_tPvRmT2_T3_T4_T5_mT6_T7_P12ihipStream_tbENKUlT_T0_E_clISt17integral_constantIbLb0EESW_IbLb1EEEEDaSS_ST_EUlSS_E_NS1_11comp_targetILNS1_3genE8ELNS1_11target_archE1030ELNS1_3gpuE2ELNS1_3repE0EEENS1_30default_config_static_selectorELNS0_4arch9wavefront6targetE1EEEvT1_.has_indirect_call, 0
	.section	.AMDGPU.csdata,"",@progbits
; Kernel info:
; codeLenInByte = 0
; TotalNumSgprs: 6
; NumVgprs: 0
; NumAgprs: 0
; TotalNumVgprs: 0
; ScratchSize: 0
; MemoryBound: 0
; FloatMode: 240
; IeeeMode: 1
; LDSByteSize: 0 bytes/workgroup (compile time only)
; SGPRBlocks: 0
; VGPRBlocks: 0
; NumSGPRsForWavesPerEU: 6
; NumVGPRsForWavesPerEU: 1
; AccumOffset: 4
; Occupancy: 8
; WaveLimiterHint : 0
; COMPUTE_PGM_RSRC2:SCRATCH_EN: 0
; COMPUTE_PGM_RSRC2:USER_SGPR: 2
; COMPUTE_PGM_RSRC2:TRAP_HANDLER: 0
; COMPUTE_PGM_RSRC2:TGID_X_EN: 1
; COMPUTE_PGM_RSRC2:TGID_Y_EN: 0
; COMPUTE_PGM_RSRC2:TGID_Z_EN: 0
; COMPUTE_PGM_RSRC2:TIDIG_COMP_CNT: 0
; COMPUTE_PGM_RSRC3_GFX90A:ACCUM_OFFSET: 0
; COMPUTE_PGM_RSRC3_GFX90A:TG_SPLIT: 0
	.section	.text._ZN7rocprim17ROCPRIM_400000_NS6detail30init_device_scan_by_key_kernelINS1_19lookback_scan_stateINS0_5tupleIJibEEELb0ELb1EEEN6thrust23THRUST_200600_302600_NS16reverse_iteratorIPKiEEjNS1_16block_id_wrapperIjLb0EEEEEvT_jjPNSF_10value_typeET0_PNSt15iterator_traitsISI_E10value_typeEmT1_T2_,"axG",@progbits,_ZN7rocprim17ROCPRIM_400000_NS6detail30init_device_scan_by_key_kernelINS1_19lookback_scan_stateINS0_5tupleIJibEEELb0ELb1EEEN6thrust23THRUST_200600_302600_NS16reverse_iteratorIPKiEEjNS1_16block_id_wrapperIjLb0EEEEEvT_jjPNSF_10value_typeET0_PNSt15iterator_traitsISI_E10value_typeEmT1_T2_,comdat
	.protected	_ZN7rocprim17ROCPRIM_400000_NS6detail30init_device_scan_by_key_kernelINS1_19lookback_scan_stateINS0_5tupleIJibEEELb0ELb1EEEN6thrust23THRUST_200600_302600_NS16reverse_iteratorIPKiEEjNS1_16block_id_wrapperIjLb0EEEEEvT_jjPNSF_10value_typeET0_PNSt15iterator_traitsISI_E10value_typeEmT1_T2_ ; -- Begin function _ZN7rocprim17ROCPRIM_400000_NS6detail30init_device_scan_by_key_kernelINS1_19lookback_scan_stateINS0_5tupleIJibEEELb0ELb1EEEN6thrust23THRUST_200600_302600_NS16reverse_iteratorIPKiEEjNS1_16block_id_wrapperIjLb0EEEEEvT_jjPNSF_10value_typeET0_PNSt15iterator_traitsISI_E10value_typeEmT1_T2_
	.globl	_ZN7rocprim17ROCPRIM_400000_NS6detail30init_device_scan_by_key_kernelINS1_19lookback_scan_stateINS0_5tupleIJibEEELb0ELb1EEEN6thrust23THRUST_200600_302600_NS16reverse_iteratorIPKiEEjNS1_16block_id_wrapperIjLb0EEEEEvT_jjPNSF_10value_typeET0_PNSt15iterator_traitsISI_E10value_typeEmT1_T2_
	.p2align	8
	.type	_ZN7rocprim17ROCPRIM_400000_NS6detail30init_device_scan_by_key_kernelINS1_19lookback_scan_stateINS0_5tupleIJibEEELb0ELb1EEEN6thrust23THRUST_200600_302600_NS16reverse_iteratorIPKiEEjNS1_16block_id_wrapperIjLb0EEEEEvT_jjPNSF_10value_typeET0_PNSt15iterator_traitsISI_E10value_typeEmT1_T2_,@function
_ZN7rocprim17ROCPRIM_400000_NS6detail30init_device_scan_by_key_kernelINS1_19lookback_scan_stateINS0_5tupleIJibEEELb0ELb1EEEN6thrust23THRUST_200600_302600_NS16reverse_iteratorIPKiEEjNS1_16block_id_wrapperIjLb0EEEEEvT_jjPNSF_10value_typeET0_PNSt15iterator_traitsISI_E10value_typeEmT1_T2_: ; @_ZN7rocprim17ROCPRIM_400000_NS6detail30init_device_scan_by_key_kernelINS1_19lookback_scan_stateINS0_5tupleIJibEEELb0ELb1EEEN6thrust23THRUST_200600_302600_NS16reverse_iteratorIPKiEEjNS1_16block_id_wrapperIjLb0EEEEEvT_jjPNSF_10value_typeET0_PNSt15iterator_traitsISI_E10value_typeEmT1_T2_
; %bb.0:
	s_load_dword s3, s[0:1], 0x44
	s_load_dwordx8 s[4:11], s[0:1], 0x0
	s_load_dword s18, s[0:1], 0x38
	s_waitcnt lgkmcnt(0)
	s_and_b32 s19, s3, 0xffff
	s_mul_i32 s2, s2, s19
	s_cmp_eq_u64 s[8:9], 0
	v_add_u32_e32 v4, s2, v0
	s_cbranch_scc1 .LBB52_8
; %bb.1:
	s_cmp_lt_u32 s7, s6
	s_cselect_b32 s2, s7, 0
	s_mov_b32 s13, 0
	v_cmp_eq_u32_e32 vcc, s2, v4
	s_and_saveexec_b64 s[2:3], vcc
	s_cbranch_execz .LBB52_7
; %bb.2:
	s_add_i32 s12, s7, 64
	s_lshl_b64 s[12:13], s[12:13], 4
	s_add_u32 s16, s4, s12
	s_addc_u32 s17, s5, s13
	v_mov_b64_e32 v[0:1], s[16:17]
	;;#ASMSTART
	global_load_dwordx4 v[0:3], v[0:1] off sc1	
s_waitcnt vmcnt(0)
	;;#ASMEND
	v_mov_b32_e32 v7, 0
	v_and_b32_e32 v6, 0xff, v2
	s_mov_b64 s[14:15], 0
	v_cmp_eq_u64_e32 vcc, 0, v[6:7]
	s_and_saveexec_b64 s[12:13], vcc
	s_cbranch_execz .LBB52_6
; %bb.3:
	v_mov_b64_e32 v[8:9], s[16:17]
.LBB52_4:                               ; =>This Inner Loop Header: Depth=1
	;;#ASMSTART
	global_load_dwordx4 v[0:3], v[8:9] off sc1	
s_waitcnt vmcnt(0)
	;;#ASMEND
	s_nop 0
	v_and_b32_e32 v6, 0xff, v2
	v_cmp_ne_u64_e32 vcc, 0, v[6:7]
	s_or_b64 s[14:15], vcc, s[14:15]
	s_andn2_b64 exec, exec, s[14:15]
	s_cbranch_execnz .LBB52_4
; %bb.5:
	s_or_b64 exec, exec, s[14:15]
.LBB52_6:
	s_or_b64 exec, exec, s[12:13]
	v_mov_b32_e32 v2, 0
	global_store_dword v2, v0, s[8:9]
	global_store_byte v2, v1, s[8:9] offset:4
.LBB52_7:
	s_or_b64 exec, exec, s[2:3]
.LBB52_8:
	v_cmp_gt_u32_e32 vcc, s6, v4
	s_and_saveexec_b64 s[2:3], vcc
	s_cbranch_execz .LBB52_10
; %bb.9:
	v_add_u32_e32 v0, 64, v4
	v_mov_b32_e32 v1, 0
	v_lshl_add_u64 v[6:7], v[0:1], 4, s[4:5]
	v_mov_b32_e32 v0, v1
	v_mov_b32_e32 v2, v1
	;; [unrolled: 1-line block ×3, first 2 shown]
	global_store_dwordx4 v[6:7], v[0:3], off
.LBB52_10:
	s_or_b64 exec, exec, s[2:3]
	v_cmp_gt_u32_e32 vcc, 64, v4
	v_mov_b32_e32 v5, 0
	s_and_saveexec_b64 s[2:3], vcc
	s_cbranch_execz .LBB52_12
; %bb.11:
	v_lshl_add_u64 v[6:7], v[4:5], 4, s[4:5]
	v_mov_b32_e32 v2, 0xff
	v_mov_b32_e32 v0, v5
	;; [unrolled: 1-line block ×4, first 2 shown]
	global_store_dwordx4 v[6:7], v[0:3], off
.LBB52_12:
	s_or_b64 exec, exec, s[2:3]
	s_load_dwordx2 s[2:3], s[0:1], 0x28
	s_waitcnt lgkmcnt(0)
	v_cmp_gt_u64_e32 vcc, s[2:3], v[4:5]
	s_and_saveexec_b64 s[4:5], vcc
	s_cbranch_execz .LBB52_15
; %bb.13:
	s_load_dword s6, s[0:1], 0x30
	s_load_dwordx2 s[8:9], s[0:1], 0x20
	v_mov_b32_e32 v3, 0
	s_mul_i32 s0, s18, s19
	v_mov_b32_e32 v0, s10
	s_waitcnt lgkmcnt(0)
	s_add_i32 s4, s6, -1
	v_mov_b32_e32 v2, s4
	v_mad_u64_u32 v[2:3], s[4:5], s6, v4, v[2:3]
	s_mul_hi_u32 s5, s6, s0
	s_mul_i32 s4, s6, s0
	s_lshl_b64 s[6:7], s[4:5], 2
	v_mov_b32_e32 v1, s11
	s_mov_b32 s1, 0
	v_not_b32_e32 v3, v3
	v_not_b32_e32 v2, v2
	s_sub_u32 s6, 0, s6
	v_lshl_add_u64 v[0:1], v[2:3], 2, v[0:1]
	s_mov_b64 s[4:5], 0
	s_subb_u32 s7, 0, s7
	v_lshl_add_u64 v[2:3], v[4:5], 2, s[8:9]
	s_lshl_b64 s[8:9], s[0:1], 2
.LBB52_14:                              ; =>This Inner Loop Header: Depth=1
	global_load_dword v6, v[0:1], off
	v_lshl_add_u64 v[4:5], v[4:5], 0, s[0:1]
	v_cmp_le_u64_e32 vcc, s[2:3], v[4:5]
	v_lshl_add_u64 v[0:1], v[0:1], 0, s[6:7]
	s_or_b64 s[4:5], vcc, s[4:5]
	s_waitcnt vmcnt(0)
	global_store_dword v[2:3], v6, off
	v_lshl_add_u64 v[2:3], v[2:3], 0, s[8:9]
	s_andn2_b64 exec, exec, s[4:5]
	s_cbranch_execnz .LBB52_14
.LBB52_15:
	s_endpgm
	.section	.rodata,"a",@progbits
	.p2align	6, 0x0
	.amdhsa_kernel _ZN7rocprim17ROCPRIM_400000_NS6detail30init_device_scan_by_key_kernelINS1_19lookback_scan_stateINS0_5tupleIJibEEELb0ELb1EEEN6thrust23THRUST_200600_302600_NS16reverse_iteratorIPKiEEjNS1_16block_id_wrapperIjLb0EEEEEvT_jjPNSF_10value_typeET0_PNSt15iterator_traitsISI_E10value_typeEmT1_T2_
		.amdhsa_group_segment_fixed_size 0
		.amdhsa_private_segment_fixed_size 0
		.amdhsa_kernarg_size 312
		.amdhsa_user_sgpr_count 2
		.amdhsa_user_sgpr_dispatch_ptr 0
		.amdhsa_user_sgpr_queue_ptr 0
		.amdhsa_user_sgpr_kernarg_segment_ptr 1
		.amdhsa_user_sgpr_dispatch_id 0
		.amdhsa_user_sgpr_kernarg_preload_length 0
		.amdhsa_user_sgpr_kernarg_preload_offset 0
		.amdhsa_user_sgpr_private_segment_size 0
		.amdhsa_uses_dynamic_stack 0
		.amdhsa_enable_private_segment 0
		.amdhsa_system_sgpr_workgroup_id_x 1
		.amdhsa_system_sgpr_workgroup_id_y 0
		.amdhsa_system_sgpr_workgroup_id_z 0
		.amdhsa_system_sgpr_workgroup_info 0
		.amdhsa_system_vgpr_workitem_id 0
		.amdhsa_next_free_vgpr 10
		.amdhsa_next_free_sgpr 20
		.amdhsa_accum_offset 12
		.amdhsa_reserve_vcc 1
		.amdhsa_float_round_mode_32 0
		.amdhsa_float_round_mode_16_64 0
		.amdhsa_float_denorm_mode_32 3
		.amdhsa_float_denorm_mode_16_64 3
		.amdhsa_dx10_clamp 1
		.amdhsa_ieee_mode 1
		.amdhsa_fp16_overflow 0
		.amdhsa_tg_split 0
		.amdhsa_exception_fp_ieee_invalid_op 0
		.amdhsa_exception_fp_denorm_src 0
		.amdhsa_exception_fp_ieee_div_zero 0
		.amdhsa_exception_fp_ieee_overflow 0
		.amdhsa_exception_fp_ieee_underflow 0
		.amdhsa_exception_fp_ieee_inexact 0
		.amdhsa_exception_int_div_zero 0
	.end_amdhsa_kernel
	.section	.text._ZN7rocprim17ROCPRIM_400000_NS6detail30init_device_scan_by_key_kernelINS1_19lookback_scan_stateINS0_5tupleIJibEEELb0ELb1EEEN6thrust23THRUST_200600_302600_NS16reverse_iteratorIPKiEEjNS1_16block_id_wrapperIjLb0EEEEEvT_jjPNSF_10value_typeET0_PNSt15iterator_traitsISI_E10value_typeEmT1_T2_,"axG",@progbits,_ZN7rocprim17ROCPRIM_400000_NS6detail30init_device_scan_by_key_kernelINS1_19lookback_scan_stateINS0_5tupleIJibEEELb0ELb1EEEN6thrust23THRUST_200600_302600_NS16reverse_iteratorIPKiEEjNS1_16block_id_wrapperIjLb0EEEEEvT_jjPNSF_10value_typeET0_PNSt15iterator_traitsISI_E10value_typeEmT1_T2_,comdat
.Lfunc_end52:
	.size	_ZN7rocprim17ROCPRIM_400000_NS6detail30init_device_scan_by_key_kernelINS1_19lookback_scan_stateINS0_5tupleIJibEEELb0ELb1EEEN6thrust23THRUST_200600_302600_NS16reverse_iteratorIPKiEEjNS1_16block_id_wrapperIjLb0EEEEEvT_jjPNSF_10value_typeET0_PNSt15iterator_traitsISI_E10value_typeEmT1_T2_, .Lfunc_end52-_ZN7rocprim17ROCPRIM_400000_NS6detail30init_device_scan_by_key_kernelINS1_19lookback_scan_stateINS0_5tupleIJibEEELb0ELb1EEEN6thrust23THRUST_200600_302600_NS16reverse_iteratorIPKiEEjNS1_16block_id_wrapperIjLb0EEEEEvT_jjPNSF_10value_typeET0_PNSt15iterator_traitsISI_E10value_typeEmT1_T2_
                                        ; -- End function
	.set _ZN7rocprim17ROCPRIM_400000_NS6detail30init_device_scan_by_key_kernelINS1_19lookback_scan_stateINS0_5tupleIJibEEELb0ELb1EEEN6thrust23THRUST_200600_302600_NS16reverse_iteratorIPKiEEjNS1_16block_id_wrapperIjLb0EEEEEvT_jjPNSF_10value_typeET0_PNSt15iterator_traitsISI_E10value_typeEmT1_T2_.num_vgpr, 10
	.set _ZN7rocprim17ROCPRIM_400000_NS6detail30init_device_scan_by_key_kernelINS1_19lookback_scan_stateINS0_5tupleIJibEEELb0ELb1EEEN6thrust23THRUST_200600_302600_NS16reverse_iteratorIPKiEEjNS1_16block_id_wrapperIjLb0EEEEEvT_jjPNSF_10value_typeET0_PNSt15iterator_traitsISI_E10value_typeEmT1_T2_.num_agpr, 0
	.set _ZN7rocprim17ROCPRIM_400000_NS6detail30init_device_scan_by_key_kernelINS1_19lookback_scan_stateINS0_5tupleIJibEEELb0ELb1EEEN6thrust23THRUST_200600_302600_NS16reverse_iteratorIPKiEEjNS1_16block_id_wrapperIjLb0EEEEEvT_jjPNSF_10value_typeET0_PNSt15iterator_traitsISI_E10value_typeEmT1_T2_.numbered_sgpr, 20
	.set _ZN7rocprim17ROCPRIM_400000_NS6detail30init_device_scan_by_key_kernelINS1_19lookback_scan_stateINS0_5tupleIJibEEELb0ELb1EEEN6thrust23THRUST_200600_302600_NS16reverse_iteratorIPKiEEjNS1_16block_id_wrapperIjLb0EEEEEvT_jjPNSF_10value_typeET0_PNSt15iterator_traitsISI_E10value_typeEmT1_T2_.num_named_barrier, 0
	.set _ZN7rocprim17ROCPRIM_400000_NS6detail30init_device_scan_by_key_kernelINS1_19lookback_scan_stateINS0_5tupleIJibEEELb0ELb1EEEN6thrust23THRUST_200600_302600_NS16reverse_iteratorIPKiEEjNS1_16block_id_wrapperIjLb0EEEEEvT_jjPNSF_10value_typeET0_PNSt15iterator_traitsISI_E10value_typeEmT1_T2_.private_seg_size, 0
	.set _ZN7rocprim17ROCPRIM_400000_NS6detail30init_device_scan_by_key_kernelINS1_19lookback_scan_stateINS0_5tupleIJibEEELb0ELb1EEEN6thrust23THRUST_200600_302600_NS16reverse_iteratorIPKiEEjNS1_16block_id_wrapperIjLb0EEEEEvT_jjPNSF_10value_typeET0_PNSt15iterator_traitsISI_E10value_typeEmT1_T2_.uses_vcc, 1
	.set _ZN7rocprim17ROCPRIM_400000_NS6detail30init_device_scan_by_key_kernelINS1_19lookback_scan_stateINS0_5tupleIJibEEELb0ELb1EEEN6thrust23THRUST_200600_302600_NS16reverse_iteratorIPKiEEjNS1_16block_id_wrapperIjLb0EEEEEvT_jjPNSF_10value_typeET0_PNSt15iterator_traitsISI_E10value_typeEmT1_T2_.uses_flat_scratch, 0
	.set _ZN7rocprim17ROCPRIM_400000_NS6detail30init_device_scan_by_key_kernelINS1_19lookback_scan_stateINS0_5tupleIJibEEELb0ELb1EEEN6thrust23THRUST_200600_302600_NS16reverse_iteratorIPKiEEjNS1_16block_id_wrapperIjLb0EEEEEvT_jjPNSF_10value_typeET0_PNSt15iterator_traitsISI_E10value_typeEmT1_T2_.has_dyn_sized_stack, 0
	.set _ZN7rocprim17ROCPRIM_400000_NS6detail30init_device_scan_by_key_kernelINS1_19lookback_scan_stateINS0_5tupleIJibEEELb0ELb1EEEN6thrust23THRUST_200600_302600_NS16reverse_iteratorIPKiEEjNS1_16block_id_wrapperIjLb0EEEEEvT_jjPNSF_10value_typeET0_PNSt15iterator_traitsISI_E10value_typeEmT1_T2_.has_recursion, 0
	.set _ZN7rocprim17ROCPRIM_400000_NS6detail30init_device_scan_by_key_kernelINS1_19lookback_scan_stateINS0_5tupleIJibEEELb0ELb1EEEN6thrust23THRUST_200600_302600_NS16reverse_iteratorIPKiEEjNS1_16block_id_wrapperIjLb0EEEEEvT_jjPNSF_10value_typeET0_PNSt15iterator_traitsISI_E10value_typeEmT1_T2_.has_indirect_call, 0
	.section	.AMDGPU.csdata,"",@progbits
; Kernel info:
; codeLenInByte = 556
; TotalNumSgprs: 26
; NumVgprs: 10
; NumAgprs: 0
; TotalNumVgprs: 10
; ScratchSize: 0
; MemoryBound: 0
; FloatMode: 240
; IeeeMode: 1
; LDSByteSize: 0 bytes/workgroup (compile time only)
; SGPRBlocks: 3
; VGPRBlocks: 1
; NumSGPRsForWavesPerEU: 26
; NumVGPRsForWavesPerEU: 10
; AccumOffset: 12
; Occupancy: 8
; WaveLimiterHint : 0
; COMPUTE_PGM_RSRC2:SCRATCH_EN: 0
; COMPUTE_PGM_RSRC2:USER_SGPR: 2
; COMPUTE_PGM_RSRC2:TRAP_HANDLER: 0
; COMPUTE_PGM_RSRC2:TGID_X_EN: 1
; COMPUTE_PGM_RSRC2:TGID_Y_EN: 0
; COMPUTE_PGM_RSRC2:TGID_Z_EN: 0
; COMPUTE_PGM_RSRC2:TIDIG_COMP_CNT: 0
; COMPUTE_PGM_RSRC3_GFX90A:ACCUM_OFFSET: 2
; COMPUTE_PGM_RSRC3_GFX90A:TG_SPLIT: 0
	.section	.text._ZN7rocprim17ROCPRIM_400000_NS6detail17trampoline_kernelINS0_14default_configENS1_27scan_by_key_config_selectorIiiEEZZNS1_16scan_by_key_implILNS1_25lookback_scan_determinismE0ELb0ES3_N6thrust23THRUST_200600_302600_NS16reverse_iteratorIPKiEESD_NSA_IPiEEiN6hipcub16HIPCUB_304000_NS3MaxENSH_8EqualityEiEE10hipError_tPvRmT2_T3_T4_T5_mT6_T7_P12ihipStream_tbENKUlT_T0_E_clISt17integral_constantIbLb0EES10_EEDaSV_SW_EUlSV_E_NS1_11comp_targetILNS1_3genE0ELNS1_11target_archE4294967295ELNS1_3gpuE0ELNS1_3repE0EEENS1_30default_config_static_selectorELNS0_4arch9wavefront6targetE1EEEvT1_,"axG",@progbits,_ZN7rocprim17ROCPRIM_400000_NS6detail17trampoline_kernelINS0_14default_configENS1_27scan_by_key_config_selectorIiiEEZZNS1_16scan_by_key_implILNS1_25lookback_scan_determinismE0ELb0ES3_N6thrust23THRUST_200600_302600_NS16reverse_iteratorIPKiEESD_NSA_IPiEEiN6hipcub16HIPCUB_304000_NS3MaxENSH_8EqualityEiEE10hipError_tPvRmT2_T3_T4_T5_mT6_T7_P12ihipStream_tbENKUlT_T0_E_clISt17integral_constantIbLb0EES10_EEDaSV_SW_EUlSV_E_NS1_11comp_targetILNS1_3genE0ELNS1_11target_archE4294967295ELNS1_3gpuE0ELNS1_3repE0EEENS1_30default_config_static_selectorELNS0_4arch9wavefront6targetE1EEEvT1_,comdat
	.protected	_ZN7rocprim17ROCPRIM_400000_NS6detail17trampoline_kernelINS0_14default_configENS1_27scan_by_key_config_selectorIiiEEZZNS1_16scan_by_key_implILNS1_25lookback_scan_determinismE0ELb0ES3_N6thrust23THRUST_200600_302600_NS16reverse_iteratorIPKiEESD_NSA_IPiEEiN6hipcub16HIPCUB_304000_NS3MaxENSH_8EqualityEiEE10hipError_tPvRmT2_T3_T4_T5_mT6_T7_P12ihipStream_tbENKUlT_T0_E_clISt17integral_constantIbLb0EES10_EEDaSV_SW_EUlSV_E_NS1_11comp_targetILNS1_3genE0ELNS1_11target_archE4294967295ELNS1_3gpuE0ELNS1_3repE0EEENS1_30default_config_static_selectorELNS0_4arch9wavefront6targetE1EEEvT1_ ; -- Begin function _ZN7rocprim17ROCPRIM_400000_NS6detail17trampoline_kernelINS0_14default_configENS1_27scan_by_key_config_selectorIiiEEZZNS1_16scan_by_key_implILNS1_25lookback_scan_determinismE0ELb0ES3_N6thrust23THRUST_200600_302600_NS16reverse_iteratorIPKiEESD_NSA_IPiEEiN6hipcub16HIPCUB_304000_NS3MaxENSH_8EqualityEiEE10hipError_tPvRmT2_T3_T4_T5_mT6_T7_P12ihipStream_tbENKUlT_T0_E_clISt17integral_constantIbLb0EES10_EEDaSV_SW_EUlSV_E_NS1_11comp_targetILNS1_3genE0ELNS1_11target_archE4294967295ELNS1_3gpuE0ELNS1_3repE0EEENS1_30default_config_static_selectorELNS0_4arch9wavefront6targetE1EEEvT1_
	.globl	_ZN7rocprim17ROCPRIM_400000_NS6detail17trampoline_kernelINS0_14default_configENS1_27scan_by_key_config_selectorIiiEEZZNS1_16scan_by_key_implILNS1_25lookback_scan_determinismE0ELb0ES3_N6thrust23THRUST_200600_302600_NS16reverse_iteratorIPKiEESD_NSA_IPiEEiN6hipcub16HIPCUB_304000_NS3MaxENSH_8EqualityEiEE10hipError_tPvRmT2_T3_T4_T5_mT6_T7_P12ihipStream_tbENKUlT_T0_E_clISt17integral_constantIbLb0EES10_EEDaSV_SW_EUlSV_E_NS1_11comp_targetILNS1_3genE0ELNS1_11target_archE4294967295ELNS1_3gpuE0ELNS1_3repE0EEENS1_30default_config_static_selectorELNS0_4arch9wavefront6targetE1EEEvT1_
	.p2align	8
	.type	_ZN7rocprim17ROCPRIM_400000_NS6detail17trampoline_kernelINS0_14default_configENS1_27scan_by_key_config_selectorIiiEEZZNS1_16scan_by_key_implILNS1_25lookback_scan_determinismE0ELb0ES3_N6thrust23THRUST_200600_302600_NS16reverse_iteratorIPKiEESD_NSA_IPiEEiN6hipcub16HIPCUB_304000_NS3MaxENSH_8EqualityEiEE10hipError_tPvRmT2_T3_T4_T5_mT6_T7_P12ihipStream_tbENKUlT_T0_E_clISt17integral_constantIbLb0EES10_EEDaSV_SW_EUlSV_E_NS1_11comp_targetILNS1_3genE0ELNS1_11target_archE4294967295ELNS1_3gpuE0ELNS1_3repE0EEENS1_30default_config_static_selectorELNS0_4arch9wavefront6targetE1EEEvT1_,@function
_ZN7rocprim17ROCPRIM_400000_NS6detail17trampoline_kernelINS0_14default_configENS1_27scan_by_key_config_selectorIiiEEZZNS1_16scan_by_key_implILNS1_25lookback_scan_determinismE0ELb0ES3_N6thrust23THRUST_200600_302600_NS16reverse_iteratorIPKiEESD_NSA_IPiEEiN6hipcub16HIPCUB_304000_NS3MaxENSH_8EqualityEiEE10hipError_tPvRmT2_T3_T4_T5_mT6_T7_P12ihipStream_tbENKUlT_T0_E_clISt17integral_constantIbLb0EES10_EEDaSV_SW_EUlSV_E_NS1_11comp_targetILNS1_3genE0ELNS1_11target_archE4294967295ELNS1_3gpuE0ELNS1_3repE0EEENS1_30default_config_static_selectorELNS0_4arch9wavefront6targetE1EEEvT1_: ; @_ZN7rocprim17ROCPRIM_400000_NS6detail17trampoline_kernelINS0_14default_configENS1_27scan_by_key_config_selectorIiiEEZZNS1_16scan_by_key_implILNS1_25lookback_scan_determinismE0ELb0ES3_N6thrust23THRUST_200600_302600_NS16reverse_iteratorIPKiEESD_NSA_IPiEEiN6hipcub16HIPCUB_304000_NS3MaxENSH_8EqualityEiEE10hipError_tPvRmT2_T3_T4_T5_mT6_T7_P12ihipStream_tbENKUlT_T0_E_clISt17integral_constantIbLb0EES10_EEDaSV_SW_EUlSV_E_NS1_11comp_targetILNS1_3genE0ELNS1_11target_archE4294967295ELNS1_3gpuE0ELNS1_3repE0EEENS1_30default_config_static_selectorELNS0_4arch9wavefront6targetE1EEEvT1_
; %bb.0:
	s_load_dwordx8 s[36:43], s[0:1], 0x0
	s_load_dwordx4 s[52:55], s[0:1], 0x28
	s_load_dwordx2 s[58:59], s[0:1], 0x38
	s_load_dword s3, s[0:1], 0x40
	s_load_dwordx8 s[44:51], s[0:1], 0x48
	s_waitcnt lgkmcnt(0)
	s_sub_u32 s56, 0, s38
	s_subb_u32 s57, 0, s39
	s_lshl_b64 s[0:1], s[38:39], 2
	s_sub_u32 s4, s36, s0
	s_subb_u32 s5, s37, s1
	s_sub_u32 s6, s40, s0
	s_subb_u32 s7, s41, s1
	s_mul_i32 s0, s59, s3
	s_mul_hi_u32 s1, s58, s3
	s_add_i32 s8, s1, s0
	s_cmp_eq_u64 s[48:49], 0
	s_mul_i32 s0, s2, 0xc00
	s_cselect_b64 s[30:31], -1, 0
	s_mov_b32 s1, 0
	s_sub_u32 s36, 0, s0
	s_subb_u32 s37, 0, 0
	s_lshl_b64 s[0:1], s[0:1], 2
	s_sub_u32 s48, s4, s0
	s_mul_i32 s9, s58, s3
	s_subb_u32 s3, s5, s1
	s_sub_u32 s28, s6, s0
	s_subb_u32 s29, s7, s1
	s_add_u32 s34, s9, s2
	s_addc_u32 s35, s8, 0
	s_add_u32 s6, s44, -1
	s_addc_u32 s7, s45, -1
	v_mov_b64_e32 v[2:3], s[6:7]
	v_cmp_ge_u64_e64 s[0:1], s[34:35], v[2:3]
	s_mov_b64 s[10:11], 0
	s_mov_b64 s[4:5], -1
	s_and_b64 vcc, exec, s[0:1]
	s_mul_i32 s33, s6, 0xfffff400
	s_barrier
	s_cbranch_vccz .LBB53_64
; %bb.1:
	v_mov_b32_e32 v1, s3
	v_add_co_u32_e64 v2, vcc, -4, s48
	s_add_i32 s44, s33, s54
	s_nop 0
	v_addc_co_u32_e32 v3, vcc, -1, v1, vcc
	flat_load_dword v1, v[2:3]
	s_add_u32 s40, s48, -4
	s_addc_u32 s41, s3, -1
	v_cmp_gt_u32_e32 vcc, s44, v0
	s_waitcnt vmcnt(0) lgkmcnt(0)
	v_mov_b32_e32 v2, v1
	s_and_saveexec_b64 s[6:7], vcc
	s_cbranch_execz .LBB53_3
; %bb.2:
	v_lshlrev_b32_e32 v2, 2, v0
	v_mov_b32_e32 v3, s3
	v_sub_co_u32_e64 v2, s[4:5], s48, v2
	s_nop 1
	v_subbrev_co_u32_e64 v3, s[4:5], 0, v3, s[4:5]
	v_add_co_u32_e64 v2, s[4:5], -4, v2
	s_nop 1
	v_addc_co_u32_e64 v3, s[4:5], -1, v3, s[4:5]
	flat_load_dword v2, v[2:3]
.LBB53_3:
	s_or_b64 exec, exec, s[6:7]
	v_or_b32_e32 v3, 0x100, v0
	v_cmp_gt_u32_e64 s[24:25], s44, v3
	v_lshlrev_b32_e32 v14, 2, v3
	v_mov_b32_e32 v3, v1
	s_and_saveexec_b64 s[6:7], s[24:25]
	s_cbranch_execz .LBB53_5
; %bb.4:
	v_mov_b32_e32 v3, s3
	v_sub_co_u32_e64 v4, s[4:5], s48, v14
	s_nop 1
	v_subbrev_co_u32_e64 v3, s[4:5], 0, v3, s[4:5]
	v_add_co_u32_e64 v4, s[4:5], -4, v4
	s_nop 1
	v_addc_co_u32_e64 v5, s[4:5], -1, v3, s[4:5]
	flat_load_dword v3, v[4:5]
.LBB53_5:
	s_or_b64 exec, exec, s[6:7]
	v_or_b32_e32 v4, 0x200, v0
	v_cmp_gt_u32_e64 s[4:5], s44, v4
	v_lshlrev_b32_e32 v15, 2, v4
	v_mov_b32_e32 v4, v1
	s_and_saveexec_b64 s[8:9], s[4:5]
	s_cbranch_execz .LBB53_7
; %bb.6:
	v_mov_b32_e32 v4, s3
	v_sub_co_u32_e64 v5, s[6:7], s48, v15
	s_nop 1
	v_subbrev_co_u32_e64 v6, s[6:7], 0, v4, s[6:7]
	v_add_co_u32_e64 v4, s[6:7], -4, v5
	s_nop 1
	v_addc_co_u32_e64 v5, s[6:7], -1, v6, s[6:7]
	flat_load_dword v4, v[4:5]
.LBB53_7:
	;; [unrolled: 17-line block ×10, first 2 shown]
	s_or_b64 exec, exec, s[26:27]
	v_or_b32_e32 v13, 0xb00, v0
	v_cmp_gt_u32_e64 s[22:23], s44, v13
	v_lshlrev_b32_e32 v24, 2, v13
	s_and_saveexec_b64 s[38:39], s[22:23]
	s_cbranch_execz .LBB53_25
; %bb.24:
	v_mov_b32_e32 v1, s3
	v_sub_co_u32_e64 v13, s[26:27], s48, v24
	s_nop 1
	v_subbrev_co_u32_e64 v1, s[26:27], 0, v1, s[26:27]
	v_add_co_u32_e64 v26, s[26:27], -4, v13
	s_nop 1
	v_addc_co_u32_e64 v27, s[26:27], -1, v1, s[26:27]
	flat_load_dword v1, v[26:27]
.LBB53_25:
	s_or_b64 exec, exec, s[38:39]
	s_lshl_b64 s[26:27], s[34:35], 2
	s_add_u32 s26, s50, s26
	s_addc_u32 s27, s51, s27
	s_add_u32 s38, s26, -4
	s_addc_u32 s39, s27, -1
	s_and_b64 s[26:27], s[30:31], exec
	s_cselect_b32 s26, s48, s38
	s_cselect_b32 s27, s3, s39
	s_cmp_eq_u64 s[34:35], 0
	v_lshlrev_b32_e32 v25, 2, v0
	s_cselect_b32 s27, s41, s27
	s_cselect_b32 s26, s40, s26
	s_waitcnt vmcnt(0) lgkmcnt(0)
	ds_write2st64_b32 v25, v2, v3 offset1:4
	ds_write2st64_b32 v25, v4, v5 offset0:8 offset1:12
	ds_write2st64_b32 v25, v6, v7 offset0:16 offset1:20
	;; [unrolled: 1-line block ×5, first 2 shown]
	v_mov_b32_e32 v2, s26
	v_mov_b32_e32 v3, s27
	s_waitcnt lgkmcnt(0)
	s_barrier
	flat_load_dword v39, v[2:3]
	v_mad_u32_u24 v1, v0, 44, v25
	ds_read_b128 v[2:5], v1 offset:32
	ds_read_b128 v[10:13], v1
	ds_read_b128 v[6:9], v1 offset:16
	s_movk_i32 s26, 0xffd4
	v_mad_i32_i24 v26, v0, s26, v1
	v_cmp_ne_u32_e64 s[26:27], 0, v0
	s_waitcnt lgkmcnt(0)
	ds_write_b32 v26, v5 offset:12288
	s_waitcnt lgkmcnt(0)
	s_barrier
	s_and_saveexec_b64 s[38:39], s[26:27]
	s_cbranch_execz .LBB53_27
; %bb.26:
	v_mul_i32_i24_e32 v26, 0xffffffd4, v0
	v_add_u32_e32 v26, v1, v26
	s_waitcnt vmcnt(0)
	ds_read_b32 v39, v26 offset:12284
.LBB53_27:
	s_or_b64 exec, exec, s[38:39]
	s_waitcnt lgkmcnt(0)
	s_barrier
                                        ; implicit-def: $vgpr26
	s_and_saveexec_b64 s[26:27], vcc
	s_cbranch_execz .LBB53_100
; %bb.28:
	v_mov_b32_e32 v26, s29
	v_sub_co_u32_e32 v27, vcc, s28, v25
	s_nop 1
	v_subbrev_co_u32_e32 v28, vcc, 0, v26, vcc
	v_add_co_u32_e32 v26, vcc, -4, v27
	s_nop 1
	v_addc_co_u32_e32 v27, vcc, -1, v28, vcc
	flat_load_dword v26, v[26:27]
	s_or_b64 exec, exec, s[26:27]
                                        ; implicit-def: $vgpr27
	s_and_saveexec_b64 s[26:27], s[24:25]
	s_cbranch_execnz .LBB53_101
.LBB53_29:
	s_or_b64 exec, exec, s[26:27]
                                        ; implicit-def: $vgpr14
	s_and_saveexec_b64 s[24:25], s[4:5]
	s_cbranch_execz .LBB53_102
.LBB53_30:
	v_mov_b32_e32 v14, s29
	v_sub_co_u32_e32 v15, vcc, s28, v15
	s_nop 1
	v_subbrev_co_u32_e32 v28, vcc, 0, v14, vcc
	v_add_co_u32_e32 v14, vcc, -4, v15
	s_nop 1
	v_addc_co_u32_e32 v15, vcc, -1, v28, vcc
	flat_load_dword v14, v[14:15]
	s_or_b64 exec, exec, s[24:25]
                                        ; implicit-def: $vgpr15
	s_and_saveexec_b64 s[4:5], s[6:7]
	s_cbranch_execnz .LBB53_103
.LBB53_31:
	s_or_b64 exec, exec, s[4:5]
                                        ; implicit-def: $vgpr16
	s_and_saveexec_b64 s[4:5], s[8:9]
	s_cbranch_execz .LBB53_104
.LBB53_32:
	v_mov_b32_e32 v16, s29
	v_sub_co_u32_e32 v17, vcc, s28, v17
	s_nop 1
	v_subbrev_co_u32_e32 v28, vcc, 0, v16, vcc
	v_add_co_u32_e32 v16, vcc, -4, v17
	s_nop 1
	v_addc_co_u32_e32 v17, vcc, -1, v28, vcc
	flat_load_dword v16, v[16:17]
	s_or_b64 exec, exec, s[4:5]
                                        ; implicit-def: $vgpr17
	s_and_saveexec_b64 s[4:5], s[10:11]
	s_cbranch_execnz .LBB53_105
.LBB53_33:
	s_or_b64 exec, exec, s[4:5]
                                        ; implicit-def: $vgpr18
	s_and_saveexec_b64 s[4:5], s[12:13]
	s_cbranch_execz .LBB53_106
.LBB53_34:
	v_mov_b32_e32 v18, s29
	v_sub_co_u32_e32 v19, vcc, s28, v19
	s_nop 1
	v_subbrev_co_u32_e32 v28, vcc, 0, v18, vcc
	v_add_co_u32_e32 v18, vcc, -4, v19
	s_nop 1
	v_addc_co_u32_e32 v19, vcc, -1, v28, vcc
	flat_load_dword v18, v[18:19]
	s_or_b64 exec, exec, s[4:5]
                                        ; implicit-def: $vgpr19
	s_and_saveexec_b64 s[4:5], s[14:15]
	s_cbranch_execnz .LBB53_107
.LBB53_35:
	s_or_b64 exec, exec, s[4:5]
                                        ; implicit-def: $vgpr20
	s_and_saveexec_b64 s[4:5], s[16:17]
	s_cbranch_execz .LBB53_108
.LBB53_36:
	v_mov_b32_e32 v20, s29
	v_sub_co_u32_e32 v21, vcc, s28, v21
	s_nop 1
	v_subbrev_co_u32_e32 v28, vcc, 0, v20, vcc
	v_add_co_u32_e32 v20, vcc, -4, v21
	s_nop 1
	v_addc_co_u32_e32 v21, vcc, -1, v28, vcc
	flat_load_dword v20, v[20:21]
	s_or_b64 exec, exec, s[4:5]
                                        ; implicit-def: $vgpr21
	s_and_saveexec_b64 s[4:5], s[18:19]
	s_cbranch_execnz .LBB53_109
.LBB53_37:
	s_or_b64 exec, exec, s[4:5]
                                        ; implicit-def: $vgpr22
	s_and_saveexec_b64 s[4:5], s[20:21]
	s_cbranch_execz .LBB53_39
.LBB53_38:
	v_mov_b32_e32 v22, s29
	v_sub_co_u32_e32 v23, vcc, s28, v23
	s_nop 1
	v_subbrev_co_u32_e32 v28, vcc, 0, v22, vcc
	v_add_co_u32_e32 v22, vcc, -4, v23
	s_nop 1
	v_addc_co_u32_e32 v23, vcc, -1, v28, vcc
	flat_load_dword v22, v[22:23]
.LBB53_39:
	s_or_b64 exec, exec, s[4:5]
	v_mul_u32_u24_e32 v38, 12, v0
                                        ; implicit-def: $vgpr23
	s_and_saveexec_b64 s[4:5], s[22:23]
	s_cbranch_execz .LBB53_41
; %bb.40:
	v_mov_b32_e32 v23, s29
	v_sub_co_u32_e32 v24, vcc, s28, v24
	s_nop 1
	v_subbrev_co_u32_e32 v23, vcc, 0, v23, vcc
	v_add_co_u32_e32 v28, vcc, -4, v24
	s_nop 1
	v_addc_co_u32_e32 v29, vcc, -1, v23, vcc
	flat_load_dword v23, v[28:29]
.LBB53_41:
	s_or_b64 exec, exec, s[4:5]
	s_waitcnt vmcnt(0) lgkmcnt(0)
	ds_write2st64_b32 v25, v26, v27 offset1:4
	ds_write2st64_b32 v25, v14, v15 offset0:8 offset1:12
	ds_write2st64_b32 v25, v16, v17 offset0:16 offset1:20
	;; [unrolled: 1-line block ×5, first 2 shown]
	v_cmp_gt_u32_e32 vcc, s44, v38
	s_mov_b64 s[4:5], 0
	v_mov_b64_e32 v[16:17], 0
	s_mov_b64 s[10:11], 0
	v_mov_b64_e32 v[14:15], 0
	v_mov_b64_e32 v[40:41], 0
	;; [unrolled: 1-line block ×19, first 2 shown]
	s_waitcnt lgkmcnt(0)
	s_barrier
                                        ; implicit-def: $sgpr6_sgpr7
                                        ; implicit-def: $vgpr59
	s_and_saveexec_b64 s[8:9], vcc
	s_cbranch_execz .LBB53_63
; %bb.42:
	ds_read_b32 v16, v1
	v_cmp_ne_u32_e32 vcc, v39, v10
	v_or_b32_e32 v14, 1, v38
	s_mov_b64 s[12:13], 0
	v_cndmask_b32_e64 v17, 0, 1, vcc
	v_cmp_gt_u32_e32 vcc, s44, v14
	v_mov_b64_e32 v[14:15], 0
	v_mov_b64_e32 v[40:41], 0
	;; [unrolled: 1-line block ×18, first 2 shown]
                                        ; implicit-def: $sgpr6_sgpr7
                                        ; implicit-def: $vgpr59
	s_and_saveexec_b64 s[10:11], vcc
	s_cbranch_execz .LBB53_62
; %bb.43:
	ds_read2_b32 v[14:15], v1 offset0:1 offset1:2
	v_cmp_ne_u32_e32 vcc, v10, v11
	v_or_b32_e32 v18, 2, v38
	s_mov_b64 s[14:15], 0
	v_cndmask_b32_e64 v10, 0, 1, vcc
	v_cmp_gt_u32_e32 vcc, s44, v18
	v_mov_b64_e32 v[40:41], 0
	v_mov_b64_e32 v[42:43], 0
	;; [unrolled: 1-line block ×16, first 2 shown]
                                        ; implicit-def: $sgpr6_sgpr7
                                        ; implicit-def: $vgpr59
	s_and_saveexec_b64 s[12:13], vcc
	s_cbranch_execz .LBB53_61
; %bb.44:
	v_cmp_ne_u32_e32 vcc, v11, v12
	v_or_b32_e32 v11, 3, v38
	s_mov_b64 s[16:17], 0
	v_cndmask_b32_e64 v41, 0, 1, vcc
	v_cmp_gt_u32_e32 vcc, s44, v11
	v_mov_b64_e32 v[42:43], 0
	v_mov_b64_e32 v[44:45], 0
	;; [unrolled: 1-line block ×14, first 2 shown]
                                        ; implicit-def: $sgpr6_sgpr7
                                        ; implicit-def: $vgpr59
	s_and_saveexec_b64 s[14:15], vcc
	s_cbranch_execz .LBB53_60
; %bb.45:
	ds_read2_b32 v[42:43], v1 offset0:3 offset1:4
	v_cmp_ne_u32_e32 vcc, v12, v13
	v_add_u32_e32 v12, 4, v38
	s_mov_b64 s[18:19], 0
	v_cndmask_b32_e64 v11, 0, 1, vcc
	v_cmp_gt_u32_e32 vcc, s44, v12
	v_mov_b64_e32 v[44:45], 0
	v_mov_b64_e32 v[46:47], 0
	;; [unrolled: 1-line block ×12, first 2 shown]
                                        ; implicit-def: $sgpr6_sgpr7
                                        ; implicit-def: $vgpr59
	s_and_saveexec_b64 s[16:17], vcc
	s_cbranch_execz .LBB53_59
; %bb.46:
	v_cmp_ne_u32_e32 vcc, v13, v6
	v_add_u32_e32 v12, 5, v38
	s_mov_b64 s[20:21], 0
	v_cndmask_b32_e64 v45, 0, 1, vcc
	v_cmp_gt_u32_e32 vcc, s44, v12
	v_mov_b64_e32 v[46:47], 0
	v_mov_b64_e32 v[48:49], 0
	v_mov_b64_e32 v[50:51], 0
	v_mov_b64_e32 v[52:53], 0
	v_mov_b64_e32 v[54:55], 0
	v_mov_b64_e32 v[26:27], 0
	v_mov_b64_e32 v[24:25], 0
	v_mov_b64_e32 v[22:23], 0
	v_mov_b64_e32 v[20:21], 0
	v_mov_b64_e32 v[18:19], 0
                                        ; implicit-def: $sgpr6_sgpr7
                                        ; implicit-def: $vgpr59
	s_and_saveexec_b64 s[18:19], vcc
	s_cbranch_execz .LBB53_58
; %bb.47:
	ds_read2_b32 v[46:47], v1 offset0:5 offset1:6
	v_cmp_ne_u32_e32 vcc, v6, v7
	v_add_u32_e32 v12, 6, v38
	s_mov_b64 s[22:23], 0
	v_cndmask_b32_e64 v6, 0, 1, vcc
	v_cmp_gt_u32_e32 vcc, s44, v12
	v_mov_b64_e32 v[48:49], 0
	v_mov_b64_e32 v[50:51], 0
	v_mov_b64_e32 v[52:53], 0
	v_mov_b64_e32 v[54:55], 0
	v_mov_b64_e32 v[24:25], 0
	v_mov_b64_e32 v[22:23], 0
	v_mov_b64_e32 v[20:21], 0
	v_mov_b64_e32 v[18:19], 0
                                        ; implicit-def: $sgpr6_sgpr7
                                        ; implicit-def: $vgpr59
	s_and_saveexec_b64 s[20:21], vcc
	s_cbranch_execz .LBB53_57
; %bb.48:
	v_cmp_ne_u32_e32 vcc, v7, v8
	v_add_u32_e32 v7, 7, v38
	s_mov_b64 s[24:25], 0
	v_cndmask_b32_e64 v49, 0, 1, vcc
	v_cmp_gt_u32_e32 vcc, s44, v7
	v_mov_b64_e32 v[50:51], 0
	v_mov_b64_e32 v[52:53], 0
	;; [unrolled: 1-line block ×6, first 2 shown]
                                        ; implicit-def: $sgpr6_sgpr7
                                        ; implicit-def: $vgpr59
	s_and_saveexec_b64 s[22:23], vcc
	s_cbranch_execz .LBB53_56
; %bb.49:
	ds_read2_b32 v[50:51], v1 offset0:7 offset1:8
	v_cmp_ne_u32_e32 vcc, v8, v9
	v_add_u32_e32 v8, 8, v38
	s_mov_b64 s[26:27], 0
	v_cndmask_b32_e64 v7, 0, 1, vcc
	v_cmp_gt_u32_e32 vcc, s44, v8
	v_mov_b64_e32 v[52:53], 0
	v_mov_b64_e32 v[54:55], 0
	;; [unrolled: 1-line block ×4, first 2 shown]
                                        ; implicit-def: $sgpr6_sgpr7
                                        ; implicit-def: $vgpr59
	s_and_saveexec_b64 s[24:25], vcc
	s_cbranch_execz .LBB53_55
; %bb.50:
	v_cmp_ne_u32_e32 vcc, v9, v2
	v_add_u32_e32 v8, 9, v38
	s_mov_b64 s[38:39], 0
	v_cndmask_b32_e64 v53, 0, 1, vcc
	v_cmp_gt_u32_e32 vcc, s44, v8
	v_mov_b64_e32 v[54:55], 0
	v_mov_b64_e32 v[18:19], 0
                                        ; implicit-def: $sgpr6_sgpr7
                                        ; implicit-def: $vgpr59
	s_and_saveexec_b64 s[26:27], vcc
	s_cbranch_execz .LBB53_54
; %bb.51:
	ds_read2_b32 v[54:55], v1 offset0:9 offset1:10
	v_cmp_ne_u32_e32 vcc, v2, v3
	v_add_u32_e32 v8, 10, v38
	v_mov_b64_e32 v[18:19], 0
	v_cndmask_b32_e64 v2, 0, 1, vcc
	v_cmp_gt_u32_e32 vcc, s44, v8
                                        ; implicit-def: $sgpr6_sgpr7
                                        ; implicit-def: $vgpr59
	s_and_saveexec_b64 s[40:41], vcc
	s_xor_b64 s[40:41], exec, s[40:41]
	s_cbranch_execz .LBB53_53
; %bb.52:
	ds_read_b32 v59, v1 offset:44
	v_cmp_ne_u32_e32 vcc, v3, v4
	v_add_u32_e32 v1, 11, v38
	v_cmp_ne_u32_e64 s[6:7], v4, v5
	v_cndmask_b32_e64 v19, 0, 1, vcc
	v_cmp_gt_u32_e32 vcc, s44, v1
	s_waitcnt lgkmcnt(1)
	v_mov_b32_e32 v18, v55
	s_and_b64 s[38:39], vcc, exec
.LBB53_53:
	s_or_b64 exec, exec, s[40:41]
	s_waitcnt lgkmcnt(0)
	v_mov_b32_e32 v55, v2
	s_and_b64 s[38:39], s[38:39], exec
.LBB53_54:
	s_or_b64 exec, exec, s[26:27]
	s_waitcnt lgkmcnt(0)
	v_mov_b32_e32 v52, v51
	s_and_b64 s[26:27], s[38:39], exec
	v_mov_b64_e32 v[20:21], v[54:55]
.LBB53_55:
	s_or_b64 exec, exec, s[24:25]
	s_waitcnt lgkmcnt(0)
	v_mov_b32_e32 v51, v7
	s_and_b64 s[24:25], s[26:27], exec
	v_mov_b64_e32 v[22:23], v[52:53]
.LBB53_56:
	s_or_b64 exec, exec, s[22:23]
	s_waitcnt lgkmcnt(0)
	v_mov_b32_e32 v48, v47
	s_and_b64 s[22:23], s[24:25], exec
	v_mov_b64_e32 v[24:25], v[50:51]
.LBB53_57:
	s_or_b64 exec, exec, s[20:21]
	s_waitcnt lgkmcnt(0)
	v_mov_b32_e32 v47, v6
	s_and_b64 s[20:21], s[22:23], exec
	v_mov_b64_e32 v[26:27], v[48:49]
.LBB53_58:
	s_or_b64 exec, exec, s[18:19]
	s_waitcnt lgkmcnt(0)
	v_mov_b32_e32 v44, v43
	s_and_b64 s[18:19], s[20:21], exec
	v_mov_b64_e32 v[28:29], v[46:47]
.LBB53_59:
	s_or_b64 exec, exec, s[16:17]
	s_waitcnt lgkmcnt(0)
	v_mov_b32_e32 v43, v11
	s_and_b64 s[16:17], s[18:19], exec
	v_mov_b64_e32 v[30:31], v[44:45]
.LBB53_60:
	s_or_b64 exec, exec, s[14:15]
	s_waitcnt lgkmcnt(0)
	v_mov_b32_e32 v40, v15
	s_and_b64 s[14:15], s[16:17], exec
	v_mov_b64_e32 v[32:33], v[42:43]
.LBB53_61:
	s_or_b64 exec, exec, s[12:13]
	s_waitcnt lgkmcnt(0)
	v_mov_b32_e32 v15, v10
	s_and_b64 s[12:13], s[14:15], exec
	v_mov_b64_e32 v[34:35], v[40:41]
.LBB53_62:
	s_or_b64 exec, exec, s[10:11]
	s_and_b64 s[10:11], s[12:13], exec
	v_mov_b64_e32 v[36:37], v[14:15]
.LBB53_63:
	s_or_b64 exec, exec, s[8:9]
	s_and_b64 vcc, exec, s[4:5]
	v_lshlrev_b32_e32 v1, 2, v0
	v_cmp_ne_u32_e64 s[4:5], 0, v0
	s_cbranch_vccnz .LBB53_65
	s_branch .LBB53_68
.LBB53_64:
                                        ; implicit-def: $sgpr6_sgpr7
                                        ; implicit-def: $vgpr59
                                        ; implicit-def: $vgpr16_vgpr17
                                        ; implicit-def: $vgpr14_vgpr15
                                        ; implicit-def: $vgpr40_vgpr41
                                        ; implicit-def: $vgpr42_vgpr43
                                        ; implicit-def: $vgpr44_vgpr45
                                        ; implicit-def: $vgpr46_vgpr47
                                        ; implicit-def: $vgpr48_vgpr49
                                        ; implicit-def: $vgpr50_vgpr51
                                        ; implicit-def: $vgpr52_vgpr53
                                        ; implicit-def: $vgpr54_vgpr55
                                        ; implicit-def: $vgpr36_vgpr37
                                        ; implicit-def: $vgpr34_vgpr35
                                        ; implicit-def: $vgpr32_vgpr33
                                        ; implicit-def: $vgpr30_vgpr31
                                        ; implicit-def: $vgpr28_vgpr29
                                        ; implicit-def: $vgpr26_vgpr27
                                        ; implicit-def: $vgpr24_vgpr25
                                        ; implicit-def: $vgpr22_vgpr23
                                        ; implicit-def: $vgpr20_vgpr21
                                        ; implicit-def: $vgpr18_vgpr19
	s_and_b64 vcc, exec, s[4:5]
	v_lshlrev_b32_e32 v1, 2, v0
	v_cmp_ne_u32_e64 s[4:5], 0, v0
	s_cbranch_vccz .LBB53_68
.LBB53_65:
	v_mov_b32_e32 v2, s3
	v_sub_co_u32_e32 v18, vcc, s48, v1
	s_add_u32 s8, s48, -4
	s_nop 0
	v_subbrev_co_u32_e32 v19, vcc, 0, v2, vcc
	v_add_co_u32_e32 v2, vcc, -4, v18
	s_addc_u32 s9, s3, -1
	s_nop 0
	v_addc_co_u32_e32 v3, vcc, -1, v19, vcc
	v_add_co_u32_e32 v4, vcc, 0xfffffbfc, v18
	s_lshl_b64 s[6:7], s[34:35], 2
	s_nop 0
	v_addc_co_u32_e32 v5, vcc, -1, v19, vcc
	v_add_co_u32_e32 v6, vcc, 0xfffff7fc, v18
	s_add_u32 s6, s50, s6
	s_nop 0
	v_addc_co_u32_e32 v7, vcc, -1, v19, vcc
	v_add_co_u32_e32 v8, vcc, 0xfffff3fc, v18
	s_addc_u32 s7, s51, s7
	s_nop 0
	v_addc_co_u32_e32 v9, vcc, -1, v19, vcc
	v_add_co_u32_e32 v10, vcc, 0xffffeffc, v18
	s_add_u32 s10, s6, -4
	s_nop 0
	v_addc_co_u32_e32 v11, vcc, -1, v19, vcc
	v_add_co_u32_e32 v12, vcc, 0xffffebfc, v18
	s_addc_u32 s11, s7, -1
	s_nop 0
	v_addc_co_u32_e32 v13, vcc, -1, v19, vcc
	v_add_co_u32_e32 v14, vcc, 0xffffe7fc, v18
	s_and_b64 s[6:7], s[30:31], exec
	s_nop 0
	v_addc_co_u32_e32 v15, vcc, -1, v19, vcc
	s_waitcnt lgkmcnt(0)
	v_add_co_u32_e32 v16, vcc, 0xffffe3fc, v18
	s_cselect_b32 s6, s48, s10
	s_nop 0
	v_addc_co_u32_e32 v17, vcc, -1, v19, vcc
	flat_load_dword v20, v[2:3]
	flat_load_dword v21, v[4:5]
	flat_load_dword v22, v[6:7]
	flat_load_dword v23, v[8:9]
	flat_load_dword v24, v[10:11]
	flat_load_dword v25, v[12:13]
	flat_load_dword v26, v[14:15]
	flat_load_dword v27, v[16:17]
	v_add_co_u32_e32 v2, vcc, 0xffffdffc, v18
	s_cselect_b32 s3, s3, s11
	s_nop 0
	v_addc_co_u32_e32 v3, vcc, -1, v19, vcc
	v_add_co_u32_e32 v4, vcc, 0xffffdbfc, v18
	s_cmp_eq_u64 s[34:35], 0
	s_nop 0
	v_addc_co_u32_e32 v5, vcc, -1, v19, vcc
	v_add_co_u32_e32 v6, vcc, 0xffffd7fc, v18
	s_cselect_b32 s3, s9, s3
	s_nop 0
	v_addc_co_u32_e32 v7, vcc, -1, v19, vcc
	v_add_co_u32_e32 v8, vcc, 0xffffd3fc, v18
	s_cselect_b32 s6, s8, s6
	s_nop 0
	v_addc_co_u32_e32 v9, vcc, -1, v19, vcc
	flat_load_dword v10, v[2:3]
	flat_load_dword v11, v[4:5]
	;; [unrolled: 1-line block ×4, first 2 shown]
	v_mov_b32_e32 v2, s6
	v_mov_b32_e32 v3, s3
	v_sub_co_u32_e32 v14, vcc, 0, v0
	v_mad_u32_u24 v16, v0, 44, v1
	s_nop 0
	v_subb_co_u32_e64 v15, s[6:7], 0, 0, vcc
	s_movk_i32 s6, 0xffd4
	s_movk_i32 s9, 0xf3fc
	;; [unrolled: 1-line block ×4, first 2 shown]
	v_mad_i32_i24 v18, v0, s6, v16
	s_waitcnt vmcnt(0) lgkmcnt(0)
	ds_write2st64_b32 v1, v20, v21 offset1:4
	ds_write2st64_b32 v1, v22, v23 offset0:8 offset1:12
	ds_write2st64_b32 v1, v24, v25 offset0:16 offset1:20
	;; [unrolled: 1-line block ×5, first 2 shown]
	s_waitcnt lgkmcnt(0)
	s_barrier
	flat_load_dword v17, v[2:3]
	ds_read_b128 v[2:5], v16 offset:32
	ds_read_b128 v[10:13], v16
	ds_read_b128 v[6:9], v16 offset:16
	s_waitcnt lgkmcnt(0)
	ds_write_b32 v18, v5 offset:12288
	s_waitcnt lgkmcnt(0)
	s_barrier
	s_and_saveexec_b64 s[6:7], s[4:5]
	s_cbranch_execz .LBB53_67
; %bb.66:
	s_waitcnt vmcnt(0)
	v_mul_i32_i24_e32 v17, 0xffffffd4, v0
	v_add_u32_e32 v17, v16, v17
	ds_read_b32 v17, v17 offset:12284
.LBB53_67:
	s_or_b64 exec, exec, s[6:7]
	v_lshl_add_u64 v[14:15], v[14:15], 2, s[28:29]
	v_add_co_u32_e32 v18, vcc, s9, v14
	s_waitcnt lgkmcnt(0)
	s_nop 0
	v_addc_co_u32_e32 v19, vcc, -1, v15, vcc
	v_add_co_u32_e32 v20, vcc, s8, v14
	s_barrier
	s_nop 0
	v_addc_co_u32_e32 v21, vcc, -1, v15, vcc
	v_add_co_u32_e32 v14, vcc, s3, v14
	s_nop 1
	v_addc_co_u32_e32 v15, vcc, -1, v15, vcc
	flat_load_dword v22, v[18:19] offset:3072
	flat_load_dword v23, v[20:21] offset:3072
	;; [unrolled: 1-line block ×4, first 2 shown]
	flat_load_dword v26, v[20:21]
	flat_load_dword v27, v[18:19] offset:2048
	flat_load_dword v28, v[18:19] offset:1024
	flat_load_dword v29, v[18:19]
	s_nop 0
	flat_load_dword v18, v[14:15] offset:3072
	flat_load_dword v19, v[14:15] offset:2048
	;; [unrolled: 1-line block ×3, first 2 shown]
	flat_load_dword v21, v[14:15]
	s_waitcnt vmcnt(0)
	v_cmp_ne_u32_e32 vcc, v17, v10
	v_cmp_ne_u32_e64 s[6:7], v4, v5
	s_mov_b64 s[10:11], -1
	v_cndmask_b32_e64 v17, 0, 1, vcc
	v_cmp_ne_u32_e32 vcc, v10, v11
	s_waitcnt lgkmcnt(0)
	ds_write2st64_b32 v1, v22, v27 offset1:4
	ds_write2st64_b32 v1, v28, v29 offset0:8 offset1:12
	ds_write2st64_b32 v1, v23, v24 offset0:16 offset1:20
	;; [unrolled: 1-line block ×5, first 2 shown]
	v_cndmask_b32_e64 v15, 0, 1, vcc
	v_cmp_ne_u32_e32 vcc, v11, v12
	s_waitcnt lgkmcnt(0)
	s_barrier
	v_cndmask_b32_e64 v41, 0, 1, vcc
	v_cmp_ne_u32_e32 vcc, v12, v13
	s_nop 1
	v_cndmask_b32_e64 v43, 0, 1, vcc
	v_cmp_ne_u32_e32 vcc, v13, v6
	s_nop 1
	;; [unrolled: 3-line block ×5, first 2 shown]
	v_cndmask_b32_e64 v51, 0, 1, vcc
	v_cmp_ne_u32_e32 vcc, v9, v2
	ds_read_b128 v[6:9], v16
	s_waitcnt lgkmcnt(0)
	v_mov_b32_e32 v14, v7
	v_cndmask_b32_e64 v53, 0, 1, vcc
	v_cmp_ne_u32_e32 vcc, v2, v3
	v_mov_b32_e32 v40, v8
	v_mov_b32_e32 v42, v9
	v_cndmask_b32_e64 v55, 0, 1, vcc
	v_cmp_ne_u32_e32 vcc, v3, v4
	ds_read_b128 v[2:5], v16 offset:16
	ds_read_b128 v[56:59], v16 offset:32
	v_cndmask_b32_e64 v19, 0, 1, vcc
	v_mov_b32_e32 v16, v6
	v_mov_b64_e32 v[36:37], v[14:15]
	s_waitcnt lgkmcnt(1)
	v_mov_b32_e32 v44, v2
	v_mov_b32_e32 v46, v3
	;; [unrolled: 1-line block ×4, first 2 shown]
	s_waitcnt lgkmcnt(0)
	v_mov_b32_e32 v52, v56
	v_mov_b32_e32 v54, v57
	;; [unrolled: 1-line block ×3, first 2 shown]
	v_mov_b64_e32 v[34:35], v[40:41]
	v_mov_b64_e32 v[32:33], v[42:43]
	;; [unrolled: 1-line block ×8, first 2 shown]
.LBB53_68:
	v_mov_b64_e32 v[38:39], 0
	s_and_saveexec_b64 s[4:5], s[10:11]
	s_cbranch_execz .LBB53_70
; %bb.69:
	v_cndmask_b32_e64 v39, 0, 1, s[6:7]
	v_mov_b32_e32 v38, v59
	v_mov_b64_e32 v[20:21], v[54:55]
	v_mov_b64_e32 v[22:23], v[52:53]
	;; [unrolled: 1-line block ×9, first 2 shown]
.LBB53_70:
	s_or_b64 exec, exec, s[4:5]
	s_mov_b32 s22, 0
	s_cmp_lg_u32 s2, 0
	v_or_b32_e32 v42, v25, v23
	v_or_b32_e32 v41, v21, v19
	v_lshrrev_b32_e32 v40, 2, v0
	v_cmp_gt_u32_e32 vcc, 64, v0
	s_waitcnt lgkmcnt(0)
	s_barrier
	s_cbranch_scc0 .LBB53_110
; %bb.71:
	s_mov_b32 s23, 1
	v_max_i32_e32 v2, v36, v16
	v_cmp_gt_u64_e64 s[28:29], s[22:23], v[36:37]
	v_cmp_gt_u64_e64 s[4:5], s[22:23], v[34:35]
	v_cmp_gt_u64_e64 s[6:7], s[22:23], v[32:33]
	v_cndmask_b32_e64 v2, v36, v2, s[28:29]
	v_max_i32_e32 v2, v34, v2
	v_cndmask_b32_e64 v2, v34, v2, s[4:5]
	v_max_i32_e32 v2, v32, v2
	v_cndmask_b32_e64 v2, v32, v2, s[6:7]
	v_max_i32_e32 v2, v30, v2
	v_cmp_gt_u64_e64 s[8:9], s[22:23], v[30:31]
	v_cmp_gt_u64_e64 s[10:11], s[22:23], v[28:29]
	v_cmp_gt_u64_e64 s[12:13], s[22:23], v[26:27]
	v_cndmask_b32_e64 v2, v30, v2, s[8:9]
	v_max_i32_e32 v2, v28, v2
	v_cndmask_b32_e64 v2, v28, v2, s[10:11]
	v_max_i32_e32 v2, v26, v2
	v_cndmask_b32_e64 v2, v26, v2, s[12:13]
	;; [unrolled: 9-line block ×3, first 2 shown]
	v_or3_b32 v3, v42, v27, v29
	v_max_i32_e32 v2, v18, v2
	v_cmp_gt_u64_e64 s[20:21], s[22:23], v[18:19]
	v_or3_b32 v3, v3, v31, v33
	v_or3_b32 v3, v3, v35, v37
	v_cndmask_b32_e64 v2, v18, v2, s[20:21]
	v_max_i32_e32 v2, v38, v2
	v_cmp_gt_u64_e64 s[22:23], s[22:23], v[38:39]
	s_nop 1
	v_cndmask_b32_e64 v14, v38, v2, s[22:23]
	v_or3_b32 v2, v39, v41, v3
	v_and_b32_e32 v3, 0xff, v2
	v_mov_b32_e32 v2, 0
	v_cmp_eq_u64_e64 s[24:25], 0, v[2:3]
	v_and_b32_e32 v2, 56, v40
	v_lshl_add_u32 v2, v0, 3, v2
	v_cndmask_b32_e64 v15, 1, v17, s[24:25]
	ds_write_b32 v2, v14
	ds_write_b8 v2, v15 offset:4
	s_waitcnt lgkmcnt(0)
	s_barrier
	s_and_saveexec_b64 s[26:27], vcc
	s_cbranch_execz .LBB53_83
; %bb.72:
	v_and_b32_e32 v2, 0xf8, v0
	v_lshlrev_b32_e32 v3, 5, v0
	v_add_u32_e32 v4, v2, v3
	ds_read2_b32 v[6:7], v4 offset0:2 offset1:4
	ds_read_b64 v[2:3], v4
	ds_read_u8 v8, v4 offset:12
	ds_read_u8 v9, v4 offset:20
	ds_read_b32 v10, v4 offset:24
	ds_read_u8 v11, v4 offset:28
	s_waitcnt lgkmcnt(4)
	v_max_i32_e32 v12, v6, v2
	s_waitcnt lgkmcnt(3)
	v_cmp_eq_u16_e64 s[24:25], 0, v8
	v_and_b32_e32 v5, 1, v3
	s_nop 0
	v_cndmask_b32_e64 v6, v6, v12, s[24:25]
	v_max_i32_e32 v6, v7, v6
	s_waitcnt lgkmcnt(2)
	v_cmp_eq_u16_e64 s[24:25], 0, v9
	s_nop 1
	v_cndmask_b32_e64 v6, v7, v6, s[24:25]
	v_or_b32_e32 v7, v9, v8
	v_cmp_eq_u16_e64 s[24:25], 0, v7
	s_waitcnt lgkmcnt(1)
	v_max_i32_e32 v6, v10, v6
	v_cndmask_b32_e64 v8, 1, v5, s[24:25]
	s_waitcnt lgkmcnt(0)
	v_cmp_eq_u16_e64 s[24:25], 0, v11
	s_nop 1
	v_cndmask_b32_e64 v7, v10, v6, s[24:25]
	v_and_b32_e32 v6, 1, v11
	v_cmp_eq_u32_e64 s[24:25], 1, v6
	v_and_b32_e32 v6, 0xffffff00, v3
	v_mov_b32_dpp v12, v7 row_shr:1 row_mask:0xf bank_mask:0xf
	v_cndmask_b32_e64 v9, v8, 1, s[24:25]
	v_mbcnt_lo_u32_b32 v8, -1, 0
	v_mbcnt_hi_u32_b32 v8, -1, v8
	v_and_b32_e32 v11, 15, v8
	v_or_b32_sdwa v10, v6, v9 dst_sel:DWORD dst_unused:UNUSED_PAD src0_sel:DWORD src1_sel:WORD_0
	v_cmp_ne_u32_e64 s[24:25], 0, v11
	s_nop 0
	v_mov_b32_dpp v13, v10 row_shr:1 row_mask:0xf bank_mask:0xf
	s_and_saveexec_b64 s[30:31], s[24:25]
; %bb.73:
	v_and_b32_e32 v10, 1, v9
	v_and_b32_e32 v13, 1, v13
	v_cmp_eq_u32_e64 s[24:25], 1, v10
	v_max_i32_e32 v10, v7, v12
	s_nop 0
	v_cndmask_b32_e64 v13, v13, 1, s[24:25]
	v_cmp_eq_u16_e64 s[24:25], 0, v9
	v_mov_b32_e32 v9, v13
	s_nop 0
	v_cndmask_b32_e64 v7, v7, v10, s[24:25]
	v_or_b32_sdwa v10, v6, v13 dst_sel:DWORD dst_unused:UNUSED_PAD src0_sel:DWORD src1_sel:WORD_0
; %bb.74:
	s_or_b64 exec, exec, s[30:31]
	v_mov_b32_dpp v12, v7 row_shr:2 row_mask:0xf bank_mask:0xf
	v_mov_b32_dpp v13, v10 row_shr:2 row_mask:0xf bank_mask:0xf
	v_cmp_lt_u32_e64 s[24:25], 1, v11
	s_and_saveexec_b64 s[30:31], s[24:25]
; %bb.75:
	v_and_b32_e32 v10, 1, v9
	v_and_b32_e32 v13, 1, v13
	v_cmp_eq_u32_e64 s[24:25], 1, v10
	v_max_i32_e32 v10, v7, v12
	s_nop 0
	v_cndmask_b32_e64 v13, v13, 1, s[24:25]
	v_cmp_eq_u16_e64 s[24:25], 0, v9
	v_mov_b32_e32 v9, v13
	s_nop 0
	v_cndmask_b32_e64 v7, v7, v10, s[24:25]
	v_or_b32_sdwa v10, v6, v13 dst_sel:DWORD dst_unused:UNUSED_PAD src0_sel:DWORD src1_sel:WORD_0
; %bb.76:
	s_or_b64 exec, exec, s[30:31]
	v_mov_b32_dpp v12, v7 row_shr:4 row_mask:0xf bank_mask:0xf
	v_mov_b32_dpp v13, v10 row_shr:4 row_mask:0xf bank_mask:0xf
	v_cmp_lt_u32_e64 s[24:25], 3, v11
	s_and_saveexec_b64 s[30:31], s[24:25]
; %bb.77:
	v_and_b32_e32 v10, 1, v9
	v_and_b32_e32 v13, 1, v13
	v_cmp_eq_u32_e64 s[24:25], 1, v10
	v_max_i32_e32 v10, v7, v12
	s_nop 0
	v_cndmask_b32_e64 v13, v13, 1, s[24:25]
	v_cmp_eq_u16_e64 s[24:25], 0, v9
	v_mov_b32_e32 v9, v13
	s_nop 0
	v_cndmask_b32_e64 v7, v7, v10, s[24:25]
	v_or_b32_sdwa v10, v6, v13 dst_sel:DWORD dst_unused:UNUSED_PAD src0_sel:DWORD src1_sel:WORD_0
; %bb.78:
	s_or_b64 exec, exec, s[30:31]
	v_mov_b32_dpp v12, v7 row_shr:8 row_mask:0xf bank_mask:0xf
	v_mov_b32_dpp v13, v10 row_shr:8 row_mask:0xf bank_mask:0xf
	v_cmp_lt_u32_e64 s[24:25], 7, v11
	s_and_saveexec_b64 s[30:31], s[24:25]
; %bb.79:
	v_and_b32_e32 v10, 1, v9
	v_and_b32_e32 v11, 1, v13
	v_cmp_eq_u32_e64 s[24:25], 1, v10
	v_max_i32_e32 v10, v7, v12
	s_nop 0
	v_cndmask_b32_e64 v11, v11, 1, s[24:25]
	v_cmp_eq_u16_e64 s[24:25], 0, v9
	v_mov_b32_e32 v9, v11
	s_nop 0
	v_cndmask_b32_e64 v7, v7, v10, s[24:25]
	v_or_b32_sdwa v10, v6, v11 dst_sel:DWORD dst_unused:UNUSED_PAD src0_sel:DWORD src1_sel:WORD_0
; %bb.80:
	s_or_b64 exec, exec, s[30:31]
	v_and_b32_e32 v13, 16, v8
	v_mov_b32_dpp v11, v7 row_bcast:15 row_mask:0xf bank_mask:0xf
	v_mov_b32_dpp v12, v10 row_bcast:15 row_mask:0xf bank_mask:0xf
	v_cmp_ne_u32_e64 s[24:25], 0, v13
	s_and_saveexec_b64 s[30:31], s[24:25]
; %bb.81:
	v_and_b32_e32 v10, 1, v9
	v_and_b32_e32 v12, 1, v12
	v_cmp_eq_u32_e64 s[24:25], 1, v10
	v_max_i32_e32 v10, v7, v11
	s_nop 0
	v_cndmask_b32_e64 v12, v12, 1, s[24:25]
	v_cmp_eq_u16_e64 s[24:25], 0, v9
	v_mov_b32_e32 v9, v12
	s_nop 0
	v_cndmask_b32_e64 v7, v7, v10, s[24:25]
	v_or_b32_sdwa v10, v6, v12 dst_sel:DWORD dst_unused:UNUSED_PAD src0_sel:DWORD src1_sel:WORD_0
; %bb.82:
	s_or_b64 exec, exec, s[30:31]
	s_nop 0
	v_mov_b32_dpp v10, v10 row_bcast:31 row_mask:0xf bank_mask:0xf
	v_and_b32_e32 v12, 1, v9
	v_and_b32_e32 v10, 1, v10
	v_cmp_eq_u32_e64 s[24:25], 1, v12
	v_mov_b32_e32 v12, 0
	v_mov_b32_dpp v11, v7 row_bcast:31 row_mask:0xf bank_mask:0xf
	v_cndmask_b32_e64 v10, v10, 1, s[24:25]
	v_cmp_eq_u16_sdwa s[30:31], v9, v12 src0_sel:BYTE_0 src1_sel:DWORD
	v_cmp_lt_u32_e64 s[24:25], 31, v8
	v_max_i32_e32 v11, v7, v11
	s_movk_i32 s3, 0xff
	v_cndmask_b32_e64 v9, v9, v10, s[24:25]
	s_and_b64 s[24:25], s[24:25], s[30:31]
	v_cndmask_b32_e64 v7, v7, v11, s[24:25]
	v_add_u32_e32 v10, -1, v8
	v_and_b32_e32 v11, 64, v8
	v_cmp_lt_i32_e64 s[24:25], v10, v11
	v_and_or_b32 v6, v9, s3, v6
	s_nop 0
	v_cndmask_b32_e64 v8, v10, v8, s[24:25]
	v_lshlrev_b32_e32 v8, 2, v8
	ds_bpermute_b32 v7, v8, v7
	ds_bpermute_b32 v6, v8, v6
	v_cmp_eq_u16_sdwa s[24:25], v3, v12 src0_sel:BYTE_0 src1_sel:DWORD
	; wave barrier
	s_waitcnt lgkmcnt(1)
	v_max_i32_e32 v7, v2, v7
	v_cndmask_b32_e64 v2, v2, v7, s[24:25]
	s_waitcnt lgkmcnt(0)
	v_and_b32_e32 v3, 1, v6
	v_cmp_eq_u32_e64 s[24:25], 1, v5
	s_nop 1
	v_cndmask_b32_e64 v3, v3, 1, s[24:25]
	v_cmp_eq_u32_e64 s[24:25], 0, v0
	s_nop 1
	v_cndmask_b32_e64 v5, v2, v14, s[24:25]
	v_cndmask_b32_e64 v6, v3, v15, s[24:25]
	ds_write_b32 v4, v5
	ds_write_b8 v4, v6 offset:4
	; wave barrier
	ds_read2_b32 v[2:3], v4 offset0:2 offset1:4
	ds_read_u8 v7, v4 offset:12
	ds_read_u8 v8, v4 offset:20
	ds_read_b32 v9, v4 offset:24
	ds_read_u8 v10, v4 offset:28
	s_waitcnt lgkmcnt(4)
	v_max_i32_e32 v5, v2, v5
	s_waitcnt lgkmcnt(3)
	v_cmp_eq_u16_e64 s[24:25], 0, v7
	s_nop 1
	v_cndmask_b32_e64 v2, v2, v5, s[24:25]
	v_and_b32_e32 v5, 1, v7
	v_cmp_eq_u32_e64 s[24:25], 1, v5
	s_nop 1
	v_cndmask_b32_e64 v5, v6, 1, s[24:25]
	v_max_i32_e32 v6, v3, v2
	s_waitcnt lgkmcnt(2)
	v_cmp_eq_u16_e64 s[24:25], 0, v8
	ds_write_b8 v4, v5 offset:12
	s_nop 0
	v_cndmask_b32_e64 v3, v3, v6, s[24:25]
	v_and_b32_e32 v6, 1, v8
	v_cmp_eq_u32_e64 s[24:25], 1, v6
	s_nop 1
	v_cndmask_b32_e64 v5, v5, 1, s[24:25]
	ds_write2_b32 v4, v2, v3 offset0:2 offset1:4
	ds_write_b8 v4, v5 offset:20
	s_waitcnt lgkmcnt(4)
	v_max_i32_e32 v2, v9, v3
	s_waitcnt lgkmcnt(3)
	v_cmp_eq_u16_e64 s[24:25], 0, v10
	v_and_b32_e32 v3, 1, v10
	s_nop 0
	v_cndmask_b32_e64 v2, v9, v2, s[24:25]
	v_cmp_eq_u32_e64 s[24:25], 1, v3
	s_nop 1
	v_cndmask_b32_e64 v3, v5, 1, s[24:25]
	ds_write_b32 v4, v2 offset:24
	ds_write_b8 v4, v3 offset:28
.LBB53_83:
	s_or_b64 exec, exec, s[26:27]
	v_cmp_eq_u32_e64 s[24:25], 0, v0
	v_cmp_ne_u32_e64 s[26:27], 0, v0
	s_waitcnt lgkmcnt(0)
	s_barrier
	s_and_saveexec_b64 s[30:31], s[26:27]
	s_cbranch_execz .LBB53_85
; %bb.84:
	v_add_u32_e32 v2, -1, v0
	v_lshrrev_b32_e32 v3, 2, v2
	v_and_b32_e32 v3, 0x3ffffff8, v3
	v_lshl_add_u32 v2, v2, 3, v3
	ds_read_b32 v14, v2
	ds_read_u8 v15, v2 offset:4
.LBB53_85:
	s_or_b64 exec, exec, s[30:31]
	s_and_saveexec_b64 s[38:39], vcc
	s_cbranch_execz .LBB53_115
; %bb.86:
	v_mov_b32_e32 v5, 0
	ds_read_b64 v[2:3], v5 offset:2096
	v_mbcnt_lo_u32_b32 v4, -1, 0
	v_mbcnt_hi_u32_b32 v53, -1, v4
	s_mov_b32 s35, 0
	v_cmp_eq_u32_e64 s[26:27], 0, v53
	s_and_saveexec_b64 s[30:31], s[26:27]
	s_cbranch_execz .LBB53_88
; %bb.87:
	s_add_i32 s34, s2, 64
	s_lshl_b64 s[34:35], s[34:35], 4
	s_add_u32 s34, s52, s34
	s_addc_u32 s35, s53, s35
	v_mov_b32_e32 v4, 1
	v_mov_b64_e32 v[6:7], s[34:35]
	s_waitcnt lgkmcnt(0)
	;;#ASMSTART
	global_store_dwordx4 v[6:7], v[2:5] off sc1	
s_waitcnt vmcnt(0)
	;;#ASMEND
.LBB53_88:
	s_or_b64 exec, exec, s[30:31]
	v_xad_u32 v10, v53, -1, s2
	v_add_u32_e32 v4, 64, v10
	v_lshl_add_u64 v[12:13], v[4:5], 4, s[52:53]
	;;#ASMSTART
	global_load_dwordx4 v[6:9], v[12:13] off sc1	
s_waitcnt vmcnt(0)
	;;#ASMEND
	s_nop 0
	v_and_b32_e32 v7, 0xff, v7
	v_cmp_eq_u16_sdwa s[34:35], v8, v5 src0_sel:BYTE_0 src1_sel:DWORD
	s_and_saveexec_b64 s[30:31], s[34:35]
	s_cbranch_execz .LBB53_92
; %bb.89:
	s_mov_b64 s[34:35], 0
	v_mov_b32_e32 v4, 0
.LBB53_90:                              ; =>This Inner Loop Header: Depth=1
	;;#ASMSTART
	global_load_dwordx4 v[6:9], v[12:13] off sc1	
s_waitcnt vmcnt(0)
	;;#ASMEND
	s_nop 0
	v_cmp_ne_u16_sdwa s[40:41], v8, v4 src0_sel:BYTE_0 src1_sel:DWORD
	s_or_b64 s[34:35], s[40:41], s[34:35]
	s_andn2_b64 exec, exec, s[34:35]
	s_cbranch_execnz .LBB53_90
; %bb.91:
	s_or_b64 exec, exec, s[34:35]
	v_and_b32_e32 v7, 0xff, v7
.LBB53_92:
	s_or_b64 exec, exec, s[30:31]
	v_mov_b32_e32 v43, 2
	v_cmp_eq_u16_sdwa s[30:31], v8, v43 src0_sel:BYTE_0 src1_sel:DWORD
	v_lshlrev_b64 v[4:5], v53, -1
	v_and_b32_e32 v44, 63, v53
	v_and_b32_e32 v9, s31, v5
	v_or_b32_e32 v9, 0x80000000, v9
	v_and_b32_e32 v11, s30, v4
	v_ffbl_b32_e32 v9, v9
	v_add_u32_e32 v9, 32, v9
	v_ffbl_b32_e32 v11, v11
	v_cmp_ne_u32_e32 vcc, 63, v44
	v_min_u32_e32 v9, v11, v9
	v_and_b32_e32 v13, 1, v7
	v_addc_co_u32_e32 v11, vcc, 0, v53, vcc
	v_lshlrev_b32_e32 v45, 2, v11
	ds_bpermute_b32 v11, v45, v7
	ds_bpermute_b32 v12, v45, v6
	v_cmp_eq_u32_e32 vcc, 1, v13
	s_mov_b32 s40, 0
	v_cmp_lt_u32_e64 s[30:31], v44, v9
	s_waitcnt lgkmcnt(1)
	v_and_b32_e32 v11, 1, v11
	v_cndmask_b32_e64 v11, v11, 1, vcc
	v_cmp_gt_u32_e64 s[34:35], 62, v44
	s_mov_b32 s41, 1
	v_and_b32_e32 v13, 0xffff, v11
	v_cndmask_b32_e64 v48, v7, v11, s[30:31]
	v_cndmask_b32_e64 v11, 0, 2, s[34:35]
	v_cmp_gt_u64_e32 vcc, s[40:41], v[6:7]
	v_cndmask_b32_e64 v7, v7, v13, s[30:31]
	v_add_lshl_u32 v46, v11, v53, 2
	s_waitcnt lgkmcnt(0)
	v_max_i32_e32 v12, v6, v12
	ds_bpermute_b32 v11, v46, v7
	s_and_b64 vcc, s[30:31], vcc
	v_cndmask_b32_e32 v6, v6, v12, vcc
	ds_bpermute_b32 v12, v46, v6
	v_and_b32_e32 v13, 1, v48
	s_waitcnt lgkmcnt(1)
	v_and_b32_e32 v11, 1, v11
	v_cmp_eq_u32_e32 vcc, 1, v13
	v_add_u32_e32 v47, 2, v44
	s_waitcnt lgkmcnt(0)
	v_max_i32_e32 v12, v6, v12
	v_cndmask_b32_e64 v13, v11, 1, vcc
	v_mov_b32_e32 v11, 0
	v_cmp_eq_u16_sdwa vcc, v48, v11 src0_sel:BYTE_0 src1_sel:DWORD
	v_cmp_gt_u32_e64 s[30:31], 60, v44
	v_and_b32_e32 v49, 0xffff, v13
	v_cndmask_b32_e32 v12, v6, v12, vcc
	v_cmp_gt_u32_e32 vcc, v47, v9
	v_add_u32_e32 v57, 32, v44
	s_nop 0
	v_cndmask_b32_e32 v13, v13, v48, vcc
	v_cndmask_b32_e64 v48, 0, 4, s[30:31]
	v_cndmask_b32_e32 v7, v49, v7, vcc
	v_add_lshl_u32 v48, v48, v53, 2
	ds_bpermute_b32 v50, v48, v7
	v_cndmask_b32_e32 v6, v12, v6, vcc
	ds_bpermute_b32 v12, v48, v6
	v_and_b32_e32 v51, 1, v13
	v_cmp_eq_u32_e32 vcc, 1, v51
	s_waitcnt lgkmcnt(1)
	v_and_b32_e32 v50, 1, v50
	v_add_u32_e32 v49, 4, v44
	v_cndmask_b32_e64 v50, v50, 1, vcc
	s_waitcnt lgkmcnt(0)
	v_max_i32_e32 v12, v6, v12
	v_cmp_eq_u16_sdwa vcc, v13, v11 src0_sel:BYTE_0 src1_sel:DWORD
	v_cmp_gt_u32_e64 s[30:31], 56, v44
	v_and_b32_e32 v51, 0xffff, v50
	v_cndmask_b32_e32 v12, v6, v12, vcc
	v_cmp_gt_u32_e32 vcc, v49, v9
	s_nop 1
	v_cndmask_b32_e32 v13, v50, v13, vcc
	v_cndmask_b32_e64 v50, 0, 8, s[30:31]
	v_cndmask_b32_e32 v7, v51, v7, vcc
	v_add_lshl_u32 v50, v50, v53, 2
	ds_bpermute_b32 v52, v50, v7
	v_cndmask_b32_e32 v6, v12, v6, vcc
	ds_bpermute_b32 v12, v50, v6
	v_and_b32_e32 v54, 1, v13
	v_cmp_eq_u32_e32 vcc, 1, v54
	s_waitcnt lgkmcnt(1)
	v_and_b32_e32 v52, 1, v52
	v_add_u32_e32 v51, 8, v44
	v_cndmask_b32_e64 v52, v52, 1, vcc
	s_waitcnt lgkmcnt(0)
	v_max_i32_e32 v12, v6, v12
	v_cmp_eq_u16_sdwa vcc, v13, v11 src0_sel:BYTE_0 src1_sel:DWORD
	v_cmp_gt_u32_e64 s[30:31], 48, v44
	v_and_b32_e32 v54, 0xffff, v52
	v_cndmask_b32_e32 v12, v6, v12, vcc
	v_cmp_gt_u32_e32 vcc, v51, v9
	s_nop 1
	v_cndmask_b32_e32 v13, v52, v13, vcc
	v_cndmask_b32_e64 v52, 0, 16, s[30:31]
	v_cndmask_b32_e32 v7, v54, v7, vcc
	v_add_lshl_u32 v52, v52, v53, 2
	ds_bpermute_b32 v55, v52, v7
	v_cndmask_b32_e32 v6, v12, v6, vcc
	ds_bpermute_b32 v12, v52, v6
	v_and_b32_e32 v56, 1, v13
	v_cmp_eq_u32_e32 vcc, 1, v56
	s_waitcnt lgkmcnt(1)
	v_and_b32_e32 v55, 1, v55
	v_add_u32_e32 v54, 16, v44
	v_cndmask_b32_e64 v55, v55, 1, vcc
	s_waitcnt lgkmcnt(0)
	v_max_i32_e32 v12, v6, v12
	v_cmp_eq_u16_sdwa vcc, v13, v11 src0_sel:BYTE_0 src1_sel:DWORD
	v_and_b32_e32 v56, 0xffff, v55
	s_nop 0
	v_cndmask_b32_e32 v12, v6, v12, vcc
	v_cmp_gt_u32_e32 vcc, v54, v9
	s_nop 1
	v_cndmask_b32_e32 v13, v55, v13, vcc
	v_mov_b32_e32 v55, 0x80
	v_cndmask_b32_e32 v7, v56, v7, vcc
	v_lshl_or_b32 v56, v53, 2, v55
	ds_bpermute_b32 v7, v56, v7
	v_cndmask_b32_e32 v6, v12, v6, vcc
	ds_bpermute_b32 v12, v56, v6
	v_and_b32_e32 v53, 1, v13
	v_cmp_eq_u32_e32 vcc, 1, v53
	s_waitcnt lgkmcnt(1)
	v_and_b32_e32 v7, 1, v7
	s_waitcnt lgkmcnt(0)
	v_max_i32_e32 v12, v6, v12
	v_cndmask_b32_e64 v7, v7, 1, vcc
	v_cmp_eq_u16_sdwa vcc, v13, v11 src0_sel:BYTE_0 src1_sel:DWORD
	s_nop 1
	v_cndmask_b32_e32 v12, v6, v12, vcc
	v_cmp_gt_u32_e32 vcc, v57, v9
	s_nop 1
	v_cndmask_b32_e32 v7, v7, v13, vcc
	v_cndmask_b32_e32 v6, v12, v6, vcc
	s_branch .LBB53_96
.LBB53_93:                              ;   in Loop: Header=BB53_96 Depth=1
	s_or_b64 exec, exec, s[34:35]
	v_and_b32_e32 v7, 0xff, v7
.LBB53_94:                              ;   in Loop: Header=BB53_96 Depth=1
	s_or_b64 exec, exec, s[30:31]
	ds_bpermute_b32 v13, v45, v7
	v_cmp_eq_u16_sdwa s[30:31], v8, v43 src0_sel:BYTE_0 src1_sel:DWORD
	v_and_b32_e32 v58, 1, v7
	v_cmp_eq_u32_e32 vcc, 1, v58
	v_and_b32_e32 v9, s31, v5
	v_or_b32_e32 v9, 0x80000000, v9
	v_and_b32_e32 v12, s30, v4
	v_ffbl_b32_e32 v9, v9
	v_add_u32_e32 v9, 32, v9
	v_ffbl_b32_e32 v12, v12
	s_waitcnt lgkmcnt(0)
	v_and_b32_e32 v13, 1, v13
	v_min_u32_e32 v9, v12, v9
	ds_bpermute_b32 v12, v45, v6
	v_cndmask_b32_e64 v13, v13, 1, vcc
	v_and_b32_e32 v58, 0xffff, v13
	v_cmp_lt_u32_e64 s[30:31], v44, v9
	v_cmp_gt_u64_e32 vcc, s[40:41], v[6:7]
	s_waitcnt lgkmcnt(0)
	v_max_i32_e32 v12, v6, v12
	v_cndmask_b32_e64 v13, v7, v13, s[30:31]
	v_cndmask_b32_e64 v7, v7, v58, s[30:31]
	ds_bpermute_b32 v58, v46, v7
	s_and_b64 vcc, s[30:31], vcc
	v_cndmask_b32_e32 v6, v6, v12, vcc
	ds_bpermute_b32 v12, v46, v6
	v_and_b32_e32 v59, 1, v13
	s_waitcnt lgkmcnt(1)
	v_and_b32_e32 v58, 1, v58
	v_cmp_eq_u32_e32 vcc, 1, v59
	v_cmp_eq_u16_sdwa s[30:31], v13, v11 src0_sel:BYTE_0 src1_sel:DWORD
	s_waitcnt lgkmcnt(0)
	v_max_i32_e32 v12, v6, v12
	v_cndmask_b32_e64 v58, v58, 1, vcc
	v_and_b32_e32 v59, 0xffff, v58
	v_cmp_gt_u32_e32 vcc, v47, v9
	v_cndmask_b32_e64 v12, v6, v12, s[30:31]
	v_subrev_u32_e32 v10, 64, v10
	v_cndmask_b32_e32 v7, v59, v7, vcc
	ds_bpermute_b32 v59, v48, v7
	v_cndmask_b32_e32 v6, v12, v6, vcc
	v_cndmask_b32_e32 v58, v58, v13, vcc
	ds_bpermute_b32 v12, v48, v6
	v_and_b32_e32 v13, 1, v58
	s_waitcnt lgkmcnt(1)
	v_and_b32_e32 v59, 1, v59
	v_cmp_eq_u32_e32 vcc, 1, v13
	v_cmp_eq_u16_sdwa s[30:31], v58, v11 src0_sel:BYTE_0 src1_sel:DWORD
	s_waitcnt lgkmcnt(0)
	v_max_i32_e32 v12, v6, v12
	v_cndmask_b32_e64 v13, v59, 1, vcc
	v_and_b32_e32 v59, 0xffff, v13
	v_cmp_gt_u32_e32 vcc, v49, v9
	v_cndmask_b32_e64 v12, v6, v12, s[30:31]
	s_nop 0
	v_cndmask_b32_e32 v7, v59, v7, vcc
	ds_bpermute_b32 v59, v50, v7
	v_cndmask_b32_e32 v6, v12, v6, vcc
	ds_bpermute_b32 v12, v50, v6
	v_cndmask_b32_e32 v13, v13, v58, vcc
	v_and_b32_e32 v58, 1, v13
	s_waitcnt lgkmcnt(1)
	v_and_b32_e32 v59, 1, v59
	v_cmp_eq_u32_e32 vcc, 1, v58
	s_waitcnt lgkmcnt(0)
	v_max_i32_e32 v12, v6, v12
	v_cmp_eq_u16_sdwa s[30:31], v13, v11 src0_sel:BYTE_0 src1_sel:DWORD
	v_cndmask_b32_e64 v58, v59, 1, vcc
	v_and_b32_e32 v59, 0xffff, v58
	v_cmp_gt_u32_e32 vcc, v51, v9
	v_cndmask_b32_e64 v12, v6, v12, s[30:31]
	s_mov_b64 s[30:31], 0
	v_cndmask_b32_e32 v7, v59, v7, vcc
	ds_bpermute_b32 v59, v52, v7
	v_cndmask_b32_e32 v6, v12, v6, vcc
	ds_bpermute_b32 v12, v52, v6
	v_cndmask_b32_e32 v58, v58, v13, vcc
	v_and_b32_e32 v13, 1, v58
	s_waitcnt lgkmcnt(1)
	v_and_b32_e32 v59, 1, v59
	v_cmp_eq_u32_e32 vcc, 1, v13
	s_waitcnt lgkmcnt(0)
	v_max_i32_e32 v12, v6, v12
	v_cndmask_b32_e64 v13, v59, 1, vcc
	v_cmp_eq_u16_sdwa vcc, v58, v11 src0_sel:BYTE_0 src1_sel:DWORD
	v_and_b32_e32 v59, 0xffff, v13
	s_nop 0
	v_cndmask_b32_e32 v12, v6, v12, vcc
	v_cmp_gt_u32_e32 vcc, v54, v9
	s_nop 1
	v_cndmask_b32_e32 v6, v12, v6, vcc
	v_cndmask_b32_e32 v7, v59, v7, vcc
	ds_bpermute_b32 v7, v56, v7
	ds_bpermute_b32 v12, v56, v6
	v_cndmask_b32_e32 v13, v13, v58, vcc
	v_and_b32_e32 v58, 1, v13
	v_cmp_eq_u32_e32 vcc, 1, v58
	s_waitcnt lgkmcnt(0)
	v_max_i32_e32 v12, v6, v12
	v_cndmask_b32_e64 v7, v7, 1, vcc
	v_cmp_eq_u16_sdwa vcc, v13, v11 src0_sel:BYTE_0 src1_sel:DWORD
	s_nop 1
	v_cndmask_b32_e32 v12, v6, v12, vcc
	v_cmp_gt_u32_e32 vcc, v57, v9
	v_and_b32_e32 v9, 1, v53
	s_nop 0
	v_cndmask_b32_e32 v6, v12, v6, vcc
	v_cndmask_b32_e32 v7, v7, v13, vcc
	v_max_i32_e32 v6, v55, v6
	v_cmp_eq_u16_sdwa vcc, v53, v11 src0_sel:BYTE_0 src1_sel:DWORD
	v_and_b32_e32 v7, 1, v7
	s_nop 0
	v_cndmask_b32_e32 v6, v55, v6, vcc
	v_cmp_eq_u32_e32 vcc, 1, v9
	s_nop 1
	v_cndmask_b32_e64 v7, v7, 1, vcc
.LBB53_95:                              ;   in Loop: Header=BB53_96 Depth=1
	s_and_b64 vcc, exec, s[30:31]
	s_cbranch_vccnz .LBB53_111
.LBB53_96:                              ; =>This Loop Header: Depth=1
                                        ;     Child Loop BB53_99 Depth 2
	v_cmp_ne_u16_sdwa s[30:31], v8, v43 src0_sel:BYTE_0 src1_sel:DWORD
	v_mov_b32_e32 v53, v7
	v_mov_b32_e32 v55, v6
	s_cmp_lg_u64 s[30:31], exec
	s_mov_b64 s[30:31], -1
                                        ; implicit-def: $vgpr7
                                        ; implicit-def: $vgpr6
                                        ; implicit-def: $vgpr8
	s_cbranch_scc1 .LBB53_95
; %bb.97:                               ;   in Loop: Header=BB53_96 Depth=1
	v_lshl_add_u64 v[12:13], v[10:11], 4, s[52:53]
	;;#ASMSTART
	global_load_dwordx4 v[6:9], v[12:13] off sc1	
s_waitcnt vmcnt(0)
	;;#ASMEND
	s_nop 0
	v_and_b32_e32 v7, 0xff, v7
	v_cmp_eq_u16_sdwa s[34:35], v8, v11 src0_sel:BYTE_0 src1_sel:DWORD
	s_and_saveexec_b64 s[30:31], s[34:35]
	s_cbranch_execz .LBB53_94
; %bb.98:                               ;   in Loop: Header=BB53_96 Depth=1
	s_mov_b64 s[34:35], 0
.LBB53_99:                              ;   Parent Loop BB53_96 Depth=1
                                        ; =>  This Inner Loop Header: Depth=2
	;;#ASMSTART
	global_load_dwordx4 v[6:9], v[12:13] off sc1	
s_waitcnt vmcnt(0)
	;;#ASMEND
	s_nop 0
	v_cmp_ne_u16_sdwa s[44:45], v8, v11 src0_sel:BYTE_0 src1_sel:DWORD
	s_or_b64 s[34:35], s[44:45], s[34:35]
	s_andn2_b64 exec, exec, s[34:35]
	s_cbranch_execnz .LBB53_99
	s_branch .LBB53_93
.LBB53_100:
	s_or_b64 exec, exec, s[26:27]
                                        ; implicit-def: $vgpr27
	s_and_saveexec_b64 s[26:27], s[24:25]
	s_cbranch_execz .LBB53_29
.LBB53_101:
	v_mov_b32_e32 v27, s29
	v_sub_co_u32_e32 v14, vcc, s28, v14
	s_nop 1
	v_subbrev_co_u32_e32 v27, vcc, 0, v27, vcc
	v_add_co_u32_e32 v28, vcc, -4, v14
	s_nop 1
	v_addc_co_u32_e32 v29, vcc, -1, v27, vcc
	flat_load_dword v27, v[28:29]
	s_or_b64 exec, exec, s[26:27]
                                        ; implicit-def: $vgpr14
	s_and_saveexec_b64 s[24:25], s[4:5]
	s_cbranch_execnz .LBB53_30
.LBB53_102:
	s_or_b64 exec, exec, s[24:25]
                                        ; implicit-def: $vgpr15
	s_and_saveexec_b64 s[4:5], s[6:7]
	s_cbranch_execz .LBB53_31
.LBB53_103:
	v_mov_b32_e32 v15, s29
	v_sub_co_u32_e32 v16, vcc, s28, v16
	s_nop 1
	v_subbrev_co_u32_e32 v15, vcc, 0, v15, vcc
	v_add_co_u32_e32 v28, vcc, -4, v16
	s_nop 1
	v_addc_co_u32_e32 v29, vcc, -1, v15, vcc
	flat_load_dword v15, v[28:29]
	s_or_b64 exec, exec, s[4:5]
                                        ; implicit-def: $vgpr16
	s_and_saveexec_b64 s[4:5], s[8:9]
	s_cbranch_execnz .LBB53_32
.LBB53_104:
	s_or_b64 exec, exec, s[4:5]
                                        ; implicit-def: $vgpr17
	s_and_saveexec_b64 s[4:5], s[10:11]
	s_cbranch_execz .LBB53_33
.LBB53_105:
	v_mov_b32_e32 v17, s29
	v_sub_co_u32_e32 v18, vcc, s28, v18
	s_nop 1
	v_subbrev_co_u32_e32 v17, vcc, 0, v17, vcc
	v_add_co_u32_e32 v28, vcc, -4, v18
	s_nop 1
	v_addc_co_u32_e32 v29, vcc, -1, v17, vcc
	flat_load_dword v17, v[28:29]
	s_or_b64 exec, exec, s[4:5]
                                        ; implicit-def: $vgpr18
	s_and_saveexec_b64 s[4:5], s[12:13]
	s_cbranch_execnz .LBB53_34
.LBB53_106:
	s_or_b64 exec, exec, s[4:5]
                                        ; implicit-def: $vgpr19
	s_and_saveexec_b64 s[4:5], s[14:15]
	s_cbranch_execz .LBB53_35
.LBB53_107:
	v_mov_b32_e32 v19, s29
	v_sub_co_u32_e32 v20, vcc, s28, v20
	s_nop 1
	v_subbrev_co_u32_e32 v19, vcc, 0, v19, vcc
	v_add_co_u32_e32 v28, vcc, -4, v20
	s_nop 1
	v_addc_co_u32_e32 v29, vcc, -1, v19, vcc
	flat_load_dword v19, v[28:29]
	s_or_b64 exec, exec, s[4:5]
                                        ; implicit-def: $vgpr20
	s_and_saveexec_b64 s[4:5], s[16:17]
	s_cbranch_execnz .LBB53_36
.LBB53_108:
	s_or_b64 exec, exec, s[4:5]
                                        ; implicit-def: $vgpr21
	s_and_saveexec_b64 s[4:5], s[18:19]
	s_cbranch_execz .LBB53_37
.LBB53_109:
	v_mov_b32_e32 v21, s29
	v_sub_co_u32_e32 v22, vcc, s28, v22
	s_nop 1
	v_subbrev_co_u32_e32 v21, vcc, 0, v21, vcc
	v_add_co_u32_e32 v28, vcc, -4, v22
	s_nop 1
	v_addc_co_u32_e32 v29, vcc, -1, v21, vcc
	flat_load_dword v21, v[28:29]
	s_or_b64 exec, exec, s[4:5]
                                        ; implicit-def: $vgpr22
	s_and_saveexec_b64 s[4:5], s[20:21]
	s_cbranch_execz .LBB53_39
	s_branch .LBB53_38
.LBB53_110:
                                        ; implicit-def: $vgpr13
                                        ; implicit-def: $vgpr9
                                        ; implicit-def: $vgpr5
                                        ; implicit-def: $vgpr14_vgpr15
	s_cbranch_execnz .LBB53_116
	s_branch .LBB53_135
.LBB53_111:
	s_and_saveexec_b64 s[30:31], s[26:27]
	s_cbranch_execz .LBB53_113
; %bb.112:
	s_mov_b32 s3, 0
	s_add_i32 s2, s2, 64
	v_mov_b32_e32 v5, 0
	s_lshl_b64 s[2:3], s[2:3], 4
	v_max_i32_e32 v4, v2, v55
	v_cmp_eq_u32_sdwa vcc, v3, v5 src0_sel:BYTE_0 src1_sel:DWORD
	v_and_b32_e32 v3, 1, v3
	s_add_u32 s2, s52, s2
	v_cndmask_b32_e32 v2, v2, v4, vcc
	s_addc_u32 s3, s53, s3
	v_and_b32_e32 v4, 1, v53
	v_cmp_eq_u32_e32 vcc, 1, v3
	v_mov_b64_e32 v[6:7], s[2:3]
	s_nop 0
	v_cndmask_b32_e64 v3, v4, 1, vcc
	v_mov_b32_e32 v4, 2
	;;#ASMSTART
	global_store_dwordx4 v[6:7], v[2:5] off sc1	
s_waitcnt vmcnt(0)
	;;#ASMEND
.LBB53_113:
	s_or_b64 exec, exec, s[30:31]
	s_and_b64 exec, exec, s[24:25]
	s_cbranch_execz .LBB53_115
; %bb.114:
	v_mov_b32_e32 v2, 0
	ds_write_b32 v2, v55
	ds_write_b8 v2, v53 offset:4
.LBB53_115:
	s_or_b64 exec, exec, s[38:39]
	v_mov_b32_e32 v2, 0
	s_waitcnt lgkmcnt(0)
	s_barrier
	ds_read_b32 v3, v2
	s_mov_b32 s2, 0
	v_and_b32_e32 v4, 1, v17
	s_mov_b32 s3, 1
	v_cmp_eq_u32_e32 vcc, 1, v4
	v_max_i32_e32 v5, v16, v14
	s_nop 0
	v_cndmask_b32_e64 v4, v15, 1, vcc
	v_cmp_gt_u64_e32 vcc, s[2:3], v[16:17]
	v_cndmask_b32_e64 v4, v4, v17, s[24:25]
	s_nop 0
	v_cndmask_b32_e32 v5, v16, v5, vcc
	v_cndmask_b32_e64 v5, v5, v16, s[24:25]
	s_waitcnt lgkmcnt(0)
	v_max_i32_e32 v3, v5, v3
	v_cmp_eq_u16_sdwa vcc, v4, v2 src0_sel:BYTE_0 src1_sel:DWORD
	s_nop 1
	v_cndmask_b32_e32 v2, v5, v3, vcc
	v_max_i32_e32 v3, v36, v2
	v_cndmask_b32_e64 v3, v36, v3, s[28:29]
	v_max_i32_e32 v4, v34, v3
	v_cndmask_b32_e64 v4, v34, v4, s[4:5]
	;; [unrolled: 2-line block ×11, first 2 shown]
	v_mov_b64_e32 v[14:15], v[2:3]
	s_branch .LBB53_135
.LBB53_116:
	s_cmp_lg_u64 s[58:59], 0
	s_cselect_b64 s[2:3], -1, 0
	s_cmp_lg_u64 s[46:47], 0
	s_cselect_b64 s[4:5], -1, 0
	s_and_b64 s[4:5], s[2:3], s[4:5]
	v_cmp_eq_u32_e32 vcc, 0, v0
	s_mov_b32 s24, 0
	v_cmp_ne_u32_e64 s[2:3], 0, v0
	s_and_b64 s[4:5], vcc, s[4:5]
	s_and_saveexec_b64 s[6:7], s[4:5]
	s_cbranch_execz .LBB53_118
; %bb.117:
	v_mov_b32_e32 v2, 0
	global_load_dword v4, v2, s[46:47]
	global_load_ubyte v5, v2, s[46:47] offset:4
	s_mov_b32 s25, 1
	v_and_b32_e32 v3, 1, v17
	v_cmp_gt_u64_e64 s[4:5], s[24:25], v[16:17]
	s_waitcnt vmcnt(1)
	v_max_i32_e32 v4, v16, v4
	s_waitcnt vmcnt(0)
	v_and_b32_e32 v5, 1, v5
	v_cndmask_b32_e64 v16, v16, v4, s[4:5]
	v_cmp_eq_u64_e64 s[4:5], 0, v[2:3]
	s_nop 1
	v_cndmask_b32_e64 v17, 1, v5, s[4:5]
.LBB53_118:
	s_or_b64 exec, exec, s[6:7]
	s_mov_b32 s25, 1
	v_max_i32_e32 v2, v36, v16
	v_cmp_gt_u64_e64 s[4:5], s[24:25], v[36:37]
	v_cmp_gt_u64_e64 s[6:7], s[24:25], v[34:35]
	v_cmp_gt_u64_e64 s[8:9], s[24:25], v[32:33]
	v_cndmask_b32_e64 v3, v36, v2, s[4:5]
	v_max_i32_e32 v2, v34, v3
	v_cndmask_b32_e64 v4, v34, v2, s[6:7]
	v_max_i32_e32 v2, v32, v4
	;; [unrolled: 2-line block ×3, first 2 shown]
	v_cmp_gt_u64_e64 s[10:11], s[24:25], v[30:31]
	v_cmp_gt_u64_e64 s[12:13], s[24:25], v[28:29]
	;; [unrolled: 1-line block ×3, first 2 shown]
	v_cndmask_b32_e64 v6, v30, v2, s[10:11]
	v_max_i32_e32 v2, v28, v6
	v_cndmask_b32_e64 v7, v28, v2, s[12:13]
	v_max_i32_e32 v2, v26, v7
	;; [unrolled: 2-line block ×3, first 2 shown]
	v_cmp_gt_u64_e64 s[16:17], s[24:25], v[24:25]
	v_or3_b32 v10, v42, v27, v29
	v_or3_b32 v10, v10, v31, v33
	v_cndmask_b32_e64 v9, v24, v2, s[16:17]
	v_max_i32_e32 v2, v22, v9
	v_cmp_gt_u64_e64 s[18:19], s[24:25], v[22:23]
	v_or3_b32 v14, v10, v35, v37
	v_cmp_gt_u64_e64 s[20:21], s[24:25], v[20:21]
	v_cndmask_b32_e64 v10, v22, v2, s[18:19]
	v_max_i32_e32 v2, v20, v10
	v_cndmask_b32_e64 v11, v20, v2, s[20:21]
	v_max_i32_e32 v2, v18, v11
	v_cmp_gt_u64_e64 s[22:23], s[24:25], v[18:19]
	v_cmp_gt_u64_e64 s[24:25], s[24:25], v[38:39]
	s_nop 0
	v_cndmask_b32_e64 v12, v18, v2, s[22:23]
	v_max_i32_e32 v2, v38, v12
	v_cndmask_b32_e64 v13, v38, v2, s[24:25]
	v_or3_b32 v2, v39, v41, v14
	v_and_b32_e32 v15, 0xff, v2
	v_mov_b32_e32 v14, 0
	v_cmp_eq_u64_e64 s[26:27], 0, v[14:15]
	v_and_b32_e32 v2, 56, v40
	v_lshl_add_u32 v2, v0, 3, v2
	v_cndmask_b32_e64 v19, 1, v17, s[26:27]
	v_cmp_gt_u32_e64 s[26:27], 64, v0
	ds_write_b32 v2, v13
	ds_write_b8 v2, v19 offset:4
	s_waitcnt lgkmcnt(0)
	s_barrier
	s_and_saveexec_b64 s[28:29], s[26:27]
	s_cbranch_execz .LBB53_130
; %bb.119:
	v_and_b32_e32 v2, 0xf8, v0
	v_lshlrev_b32_e32 v14, 5, v0
	v_add_u32_e32 v2, v2, v14
	ds_read2_b32 v[40:41], v2 offset0:2 offset1:4
	ds_read_b64 v[14:15], v2
	ds_read_u8 v23, v2 offset:12
	ds_read_u8 v25, v2 offset:20
	ds_read_b32 v27, v2 offset:24
	ds_read_u8 v29, v2 offset:28
	s_waitcnt lgkmcnt(4)
	v_max_i32_e32 v31, v40, v14
	s_waitcnt lgkmcnt(3)
	v_cmp_eq_u16_e64 s[26:27], 0, v23
	s_waitcnt lgkmcnt(2)
	v_or_b32_e32 v23, v25, v23
	v_and_b32_e32 v21, 1, v15
	v_cndmask_b32_e64 v31, v40, v31, s[26:27]
	v_max_i32_e32 v31, v41, v31
	v_cmp_eq_u16_e64 s[26:27], 0, v25
	s_nop 1
	v_cndmask_b32_e64 v31, v41, v31, s[26:27]
	v_cmp_eq_u16_e64 s[26:27], 0, v23
	s_waitcnt lgkmcnt(1)
	v_max_i32_e32 v25, v27, v31
	v_cndmask_b32_e64 v23, 1, v21, s[26:27]
	s_waitcnt lgkmcnt(0)
	v_cmp_eq_u16_e64 s[26:27], 0, v29
	s_nop 1
	v_cndmask_b32_e64 v25, v27, v25, s[26:27]
	v_and_b32_e32 v27, 1, v29
	v_cmp_eq_u32_e64 s[26:27], 1, v27
	v_mbcnt_lo_u32_b32 v27, -1, 0
	v_mbcnt_hi_u32_b32 v27, -1, v27
	v_cndmask_b32_e64 v29, v23, 1, s[26:27]
	v_and_b32_e32 v23, 0xffffff00, v15
	v_and_b32_e32 v33, 15, v27
	v_or_b32_sdwa v31, v23, v29 dst_sel:DWORD dst_unused:UNUSED_PAD src0_sel:DWORD src1_sel:WORD_0
	v_mov_b32_dpp v35, v25 row_shr:1 row_mask:0xf bank_mask:0xf
	v_cmp_ne_u32_e64 s[26:27], 0, v33
	v_mov_b32_dpp v37, v31 row_shr:1 row_mask:0xf bank_mask:0xf
	s_and_saveexec_b64 s[30:31], s[26:27]
; %bb.120:
	v_and_b32_e32 v31, 1, v29
	v_and_b32_e32 v37, 1, v37
	v_cmp_eq_u32_e64 s[26:27], 1, v31
	v_max_i32_e32 v31, v25, v35
	s_nop 0
	v_cndmask_b32_e64 v37, v37, 1, s[26:27]
	v_cmp_eq_u16_e64 s[26:27], 0, v29
	v_mov_b32_e32 v29, v37
	s_nop 0
	v_cndmask_b32_e64 v25, v25, v31, s[26:27]
	v_or_b32_sdwa v31, v23, v37 dst_sel:DWORD dst_unused:UNUSED_PAD src0_sel:DWORD src1_sel:WORD_0
; %bb.121:
	s_or_b64 exec, exec, s[30:31]
	v_mov_b32_dpp v35, v25 row_shr:2 row_mask:0xf bank_mask:0xf
	v_mov_b32_dpp v37, v31 row_shr:2 row_mask:0xf bank_mask:0xf
	v_cmp_lt_u32_e64 s[26:27], 1, v33
	s_and_saveexec_b64 s[30:31], s[26:27]
; %bb.122:
	v_and_b32_e32 v31, 1, v29
	v_and_b32_e32 v37, 1, v37
	v_cmp_eq_u32_e64 s[26:27], 1, v31
	v_max_i32_e32 v31, v25, v35
	s_nop 0
	v_cndmask_b32_e64 v37, v37, 1, s[26:27]
	v_cmp_eq_u16_e64 s[26:27], 0, v29
	v_mov_b32_e32 v29, v37
	s_nop 0
	v_cndmask_b32_e64 v25, v25, v31, s[26:27]
	v_or_b32_sdwa v31, v23, v37 dst_sel:DWORD dst_unused:UNUSED_PAD src0_sel:DWORD src1_sel:WORD_0
; %bb.123:
	s_or_b64 exec, exec, s[30:31]
	v_mov_b32_dpp v35, v25 row_shr:4 row_mask:0xf bank_mask:0xf
	v_mov_b32_dpp v37, v31 row_shr:4 row_mask:0xf bank_mask:0xf
	v_cmp_lt_u32_e64 s[26:27], 3, v33
	;; [unrolled: 18-line block ×3, first 2 shown]
	s_and_saveexec_b64 s[30:31], s[26:27]
; %bb.126:
	v_and_b32_e32 v31, 1, v29
	v_and_b32_e32 v33, 1, v37
	v_cmp_eq_u32_e64 s[26:27], 1, v31
	v_max_i32_e32 v31, v25, v35
	s_nop 0
	v_cndmask_b32_e64 v33, v33, 1, s[26:27]
	v_cmp_eq_u16_e64 s[26:27], 0, v29
	v_mov_b32_e32 v29, v33
	s_nop 0
	v_cndmask_b32_e64 v25, v25, v31, s[26:27]
	v_or_b32_sdwa v31, v23, v33 dst_sel:DWORD dst_unused:UNUSED_PAD src0_sel:DWORD src1_sel:WORD_0
; %bb.127:
	s_or_b64 exec, exec, s[30:31]
	v_and_b32_e32 v37, 16, v27
	v_mov_b32_dpp v33, v25 row_bcast:15 row_mask:0xf bank_mask:0xf
	v_mov_b32_dpp v35, v31 row_bcast:15 row_mask:0xf bank_mask:0xf
	v_cmp_ne_u32_e64 s[26:27], 0, v37
	s_and_saveexec_b64 s[30:31], s[26:27]
; %bb.128:
	v_and_b32_e32 v31, 1, v29
	v_and_b32_e32 v35, 1, v35
	v_cmp_eq_u32_e64 s[26:27], 1, v31
	v_max_i32_e32 v31, v25, v33
	s_nop 0
	v_cndmask_b32_e64 v35, v35, 1, s[26:27]
	v_cmp_eq_u16_e64 s[26:27], 0, v29
	v_mov_b32_e32 v29, v35
	s_nop 0
	v_cndmask_b32_e64 v25, v25, v31, s[26:27]
	v_or_b32_sdwa v31, v23, v35 dst_sel:DWORD dst_unused:UNUSED_PAD src0_sel:DWORD src1_sel:WORD_0
; %bb.129:
	s_or_b64 exec, exec, s[30:31]
	s_nop 0
	v_mov_b32_dpp v31, v31 row_bcast:31 row_mask:0xf bank_mask:0xf
	v_and_b32_e32 v35, 1, v29
	v_and_b32_e32 v31, 1, v31
	v_cmp_eq_u32_e64 s[26:27], 1, v35
	v_mov_b32_e32 v35, 0
	v_mov_b32_dpp v33, v25 row_bcast:31 row_mask:0xf bank_mask:0xf
	v_cndmask_b32_e64 v31, v31, 1, s[26:27]
	v_cmp_eq_u16_sdwa s[30:31], v29, v35 src0_sel:BYTE_0 src1_sel:DWORD
	v_cmp_lt_u32_e64 s[26:27], 31, v27
	v_max_i32_e32 v33, v25, v33
	s_nop 0
	v_cndmask_b32_e64 v29, v29, v31, s[26:27]
	s_and_b64 s[26:27], s[26:27], s[30:31]
	v_cndmask_b32_e64 v25, v25, v33, s[26:27]
	v_add_u32_e32 v31, -1, v27
	v_and_b32_e32 v33, 64, v27
	v_cmp_lt_i32_e64 s[26:27], v31, v33
	; wave barrier
	s_nop 1
	v_cndmask_b32_e64 v27, v31, v27, s[26:27]
	v_lshlrev_b32_e32 v27, 2, v27
	s_movk_i32 s26, 0xff
	ds_bpermute_b32 v25, v27, v25
	v_and_or_b32 v23, v29, s26, v23
	ds_bpermute_b32 v23, v27, v23
	v_cmp_eq_u16_sdwa s[26:27], v15, v35 src0_sel:BYTE_0 src1_sel:DWORD
	s_waitcnt lgkmcnt(1)
	v_max_i32_e32 v25, v14, v25
	v_cndmask_b32_e64 v14, v14, v25, s[26:27]
	s_waitcnt lgkmcnt(0)
	v_and_b32_e32 v15, 1, v23
	v_cmp_eq_u32_e64 s[26:27], 1, v21
	v_cndmask_b32_e32 v21, v14, v13, vcc
	s_nop 0
	v_cndmask_b32_e64 v15, v15, 1, s[26:27]
	v_cndmask_b32_e32 v19, v15, v19, vcc
	ds_write_b32 v2, v21
	ds_write_b8 v2, v19 offset:4
	; wave barrier
	ds_read2_b32 v[14:15], v2 offset0:2 offset1:4
	ds_read_u8 v23, v2 offset:12
	ds_read_u8 v25, v2 offset:20
	ds_read_b32 v27, v2 offset:24
	ds_read_u8 v29, v2 offset:28
	s_waitcnt lgkmcnt(4)
	v_max_i32_e32 v21, v14, v21
	s_waitcnt lgkmcnt(3)
	v_cmp_eq_u16_e64 s[26:27], 0, v23
	s_nop 1
	v_cndmask_b32_e64 v14, v14, v21, s[26:27]
	v_and_b32_e32 v21, 1, v23
	v_cmp_eq_u32_e64 s[26:27], 1, v21
	v_max_i32_e32 v21, v15, v14
	s_nop 0
	v_cndmask_b32_e64 v19, v19, 1, s[26:27]
	s_waitcnt lgkmcnt(2)
	v_cmp_eq_u16_e64 s[26:27], 0, v25
	ds_write_b8 v2, v19 offset:12
	s_nop 0
	v_cndmask_b32_e64 v15, v15, v21, s[26:27]
	v_and_b32_e32 v21, 1, v25
	v_cmp_eq_u32_e64 s[26:27], 1, v21
	s_nop 1
	v_cndmask_b32_e64 v19, v19, 1, s[26:27]
	ds_write2_b32 v2, v14, v15 offset0:2 offset1:4
	ds_write_b8 v2, v19 offset:20
	s_waitcnt lgkmcnt(4)
	v_max_i32_e32 v14, v27, v15
	s_waitcnt lgkmcnt(3)
	v_cmp_eq_u16_e64 s[26:27], 0, v29
	v_and_b32_e32 v15, 1, v29
	s_nop 0
	v_cndmask_b32_e64 v14, v27, v14, s[26:27]
	v_cmp_eq_u32_e64 s[26:27], 1, v15
	s_nop 1
	v_cndmask_b32_e64 v15, v19, 1, s[26:27]
	ds_write_b32 v2, v14 offset:24
	ds_write_b8 v2, v15 offset:28
.LBB53_130:
	s_or_b64 exec, exec, s[28:29]
	v_mov_b32_e32 v2, v16
	v_mov_b64_e32 v[14:15], v[2:3]
	s_waitcnt lgkmcnt(0)
	s_barrier
	s_and_saveexec_b64 s[26:27], s[2:3]
	s_cbranch_execz .LBB53_132
; %bb.131:
	v_add_u32_e32 v2, -1, v0
	v_lshrrev_b32_e32 v3, 2, v2
	v_and_b32_e32 v3, 0x3ffffff8, v3
	v_lshl_add_u32 v2, v2, 3, v3
	ds_read_b32 v4, v2
	v_and_b32_e32 v3, 0xff, v17
	v_mov_b32_e32 v2, 0
	v_cmp_eq_u64_e64 s[2:3], 0, v[2:3]
	;;#ASMSTART
	;;#ASMEND
	s_waitcnt lgkmcnt(0)
	v_max_i32_e32 v4, v16, v4
	v_cndmask_b32_e64 v14, v16, v4, s[2:3]
	v_max_i32_e32 v2, v36, v14
	v_cndmask_b32_e64 v15, v36, v2, s[4:5]
	;; [unrolled: 2-line block ×12, first 2 shown]
	v_mov_b32_e32 v16, v14
	v_mov_b32_e32 v3, v15
.LBB53_132:
	s_or_b64 exec, exec, s[26:27]
	s_and_saveexec_b64 s[2:3], vcc
	s_cbranch_execz .LBB53_134
; %bb.133:
	v_mov_b32_e32 v21, 0
	ds_read_b32 v18, v21 offset:2096
	ds_read_u8 v19, v21 offset:2100
	s_add_u32 s4, s52, 0x400
	s_addc_u32 s5, s53, 0
	v_mov_b32_e32 v20, 2
	v_mov_b64_e32 v[22:23], s[4:5]
	s_waitcnt lgkmcnt(0)
	;;#ASMSTART
	global_store_dwordx4 v[22:23], v[18:21] off sc1	
s_waitcnt vmcnt(0)
	;;#ASMEND
.LBB53_134:
	s_or_b64 exec, exec, s[2:3]
	v_mov_b32_e32 v2, v16
.LBB53_135:
	s_lshl_b64 s[2:3], s[56:57], 2
	s_add_u32 s4, s42, s2
	s_addc_u32 s5, s43, s3
	s_lshl_b64 s[2:3], s[36:37], 2
	s_add_u32 s2, s4, s2
	s_addc_u32 s3, s5, s3
	s_and_b64 vcc, exec, s[0:1]
	s_cbranch_vccz .LBB53_175
; %bb.136:
	s_add_i32 s33, s33, s54
	v_mul_u32_u24_e32 v16, 12, v0
	v_cmp_gt_u32_e32 vcc, s33, v16
	s_and_saveexec_b64 s[0:1], vcc
	s_cbranch_execz .LBB53_152
; %bb.137:
	v_or_b32_e32 v17, 1, v16
	v_cmp_gt_u32_e32 vcc, s33, v17
	s_and_saveexec_b64 s[4:5], vcc
	s_cbranch_execz .LBB53_151
; %bb.138:
	v_or_b32_e32 v17, 2, v16
	;; [unrolled: 5-line block ×3, first 2 shown]
	v_cmp_gt_u32_e32 vcc, s33, v17
	s_and_saveexec_b64 s[8:9], vcc
	s_cbranch_execz .LBB53_149
; %bb.140:
	v_add_u32_e32 v17, 4, v16
	v_cmp_gt_u32_e32 vcc, s33, v17
	s_and_saveexec_b64 s[10:11], vcc
	s_cbranch_execz .LBB53_148
; %bb.141:
	v_add_u32_e32 v17, 5, v16
	;; [unrolled: 5-line block ×4, first 2 shown]
	v_cmp_gt_u32_e32 vcc, s33, v17
	s_and_saveexec_b64 s[16:17], vcc
; %bb.144:
	v_add_u32_e32 v17, 8, v16
	v_cmp_gt_u32_e32 vcc, s33, v17
	s_and_saveexec_b64 s[18:19], vcc
	s_or_b64 exec, exec, s[18:19]
; %bb.145:
	s_or_b64 exec, exec, s[16:17]
.LBB53_146:
	s_or_b64 exec, exec, s[14:15]
.LBB53_147:
	s_or_b64 exec, exec, s[12:13]
.LBB53_148:
	s_or_b64 exec, exec, s[10:11]
.LBB53_149:
	s_or_b64 exec, exec, s[8:9]
.LBB53_150:
	s_or_b64 exec, exec, s[6:7]
.LBB53_151:
	s_or_b64 exec, exec, s[4:5]
.LBB53_152:
	s_or_b64 exec, exec, s[0:1]
	v_lshlrev_b32_e32 v26, 2, v16
	s_movk_i32 s0, 0xffd4
	v_mad_i32_i24 v24, v0, s0, v26
	s_barrier
	ds_write_b128 v26, v[2:5]
	ds_write_b128 v26, v[6:9] offset:16
	ds_write_b128 v26, v[10:13] offset:32
	s_waitcnt lgkmcnt(0)
	s_barrier
	ds_read2st64_b32 v[22:23], v24 offset0:4 offset1:8
	ds_read2st64_b32 v[20:21], v24 offset0:12 offset1:16
	;; [unrolled: 1-line block ×5, first 2 shown]
	ds_read_b32 v27, v24 offset:11264
	v_mov_b32_e32 v24, s3
	v_sub_co_u32_e32 v25, vcc, s2, v1
	s_nop 1
	v_subbrev_co_u32_e32 v24, vcc, 0, v24, vcc
	v_cmp_gt_u32_e32 vcc, s33, v0
	s_and_saveexec_b64 s[0:1], vcc
	s_cbranch_execz .LBB53_154
; %bb.153:
	v_mul_i32_i24_e32 v28, 0xffffffd4, v0
	v_add_u32_e32 v26, v26, v28
	ds_read_b32 v26, v26
	v_add_co_u32_e32 v28, vcc, -4, v25
	s_nop 1
	v_addc_co_u32_e32 v29, vcc, -1, v24, vcc
	s_waitcnt lgkmcnt(0)
	flat_store_dword v[28:29], v26
.LBB53_154:
	s_or_b64 exec, exec, s[0:1]
	v_or_b32_e32 v26, 0x100, v0
	v_cmp_gt_u32_e32 vcc, s33, v26
	s_and_saveexec_b64 s[0:1], vcc
	s_cbranch_execz .LBB53_156
; %bb.155:
	v_add_co_u32_e32 v28, vcc, 0xfffffbfc, v25
	s_nop 1
	v_addc_co_u32_e32 v29, vcc, -1, v24, vcc
	s_waitcnt lgkmcnt(0)
	flat_store_dword v[28:29], v22
.LBB53_156:
	s_or_b64 exec, exec, s[0:1]
	s_waitcnt lgkmcnt(0)
	v_or_b32_e32 v22, 0x200, v0
	v_cmp_gt_u32_e32 vcc, s33, v22
	s_and_saveexec_b64 s[0:1], vcc
	s_cbranch_execz .LBB53_158
; %bb.157:
	v_add_co_u32_e32 v28, vcc, 0xfffff7fc, v25
	s_nop 1
	v_addc_co_u32_e32 v29, vcc, -1, v24, vcc
	flat_store_dword v[28:29], v23
.LBB53_158:
	s_or_b64 exec, exec, s[0:1]
	v_or_b32_e32 v22, 0x300, v0
	v_cmp_gt_u32_e32 vcc, s33, v22
	s_and_saveexec_b64 s[0:1], vcc
	s_cbranch_execz .LBB53_160
; %bb.159:
	v_add_co_u32_e32 v22, vcc, 0xfffff3fc, v25
	s_nop 1
	v_addc_co_u32_e32 v23, vcc, -1, v24, vcc
	flat_store_dword v[22:23], v20
.LBB53_160:
	s_or_b64 exec, exec, s[0:1]
	;; [unrolled: 11-line block ×8, first 2 shown]
	v_sub_co_u32_e32 v16, vcc, 0, v0
	v_or_b32_e32 v2, 0xa00, v0
	s_nop 0
	v_subb_co_u32_e64 v17, s[0:1], 0, 0, vcc
	v_cmp_gt_u32_e32 vcc, s33, v2
	s_and_saveexec_b64 s[0:1], vcc
	s_cbranch_execz .LBB53_174
; %bb.173:
	v_add_co_u32_e32 v18, vcc, 0xffffd7fc, v25
	s_nop 1
	v_addc_co_u32_e32 v19, vcc, -1, v24, vcc
	flat_store_dword v[18:19], v3
.LBB53_174:
	s_or_b64 exec, exec, s[0:1]
	v_or_b32_e32 v2, 0xb00, v0
	v_cmp_gt_u32_e64 s[0:1], s33, v2
	s_branch .LBB53_177
.LBB53_175:
	s_mov_b64 s[0:1], 0
                                        ; implicit-def: $vgpr27
                                        ; implicit-def: $vgpr16_vgpr17
	s_cbranch_execz .LBB53_177
; %bb.176:
	v_mul_u32_u24_e32 v2, 48, v0
	v_mov_b32_e32 v16, v4
	v_mov_b32_e32 v17, v5
	s_waitcnt lgkmcnt(0)
	s_barrier
	ds_write_b128 v2, v[14:17]
	ds_write_b128 v2, v[6:9] offset:16
	ds_write_b128 v2, v[10:13] offset:32
	v_mul_i32_i24_e32 v2, 0xffffffd4, v0
	v_mad_u32_u24 v12, v0, 48, v2
	v_sub_co_u32_e32 v16, vcc, 0, v0
	s_waitcnt lgkmcnt(0)
	s_barrier
	ds_read2st64_b32 v[2:3], v12 offset1:4
	ds_read2st64_b32 v[4:5], v12 offset0:8 offset1:12
	ds_read2st64_b32 v[6:7], v12 offset0:16 offset1:20
	;; [unrolled: 1-line block ×5, first 2 shown]
	v_subb_co_u32_e64 v17, s[4:5], 0, 0, vcc
	v_mov_b32_e32 v0, s3
	v_sub_co_u32_e32 v12, vcc, s2, v1
	s_movk_i32 s4, 0xf3fc
	s_nop 0
	v_subbrev_co_u32_e32 v13, vcc, 0, v0, vcc
	v_add_co_u32_e32 v0, vcc, s4, v12
	s_movk_i32 s4, 0xe3fc
	s_nop 0
	v_addc_co_u32_e32 v1, vcc, -1, v13, vcc
	s_waitcnt lgkmcnt(0)
	flat_store_dword v[0:1], v2 offset:3072
	flat_store_dword v[0:1], v3 offset:2048
	;; [unrolled: 1-line block ×3, first 2 shown]
	flat_store_dword v[0:1], v5
	v_add_co_u32_e32 v0, vcc, s4, v12
	s_movk_i32 s4, 0xdffc
	s_nop 0
	v_addc_co_u32_e32 v1, vcc, -1, v13, vcc
	flat_store_dword v[0:1], v6 offset:3072
	flat_store_dword v[0:1], v7 offset:2048
	;; [unrolled: 1-line block ×3, first 2 shown]
	flat_store_dword v[0:1], v9
	v_add_co_u32_e32 v0, vcc, s4, v12
	s_or_b64 s[0:1], s[0:1], exec
	s_nop 0
	v_addc_co_u32_e32 v1, vcc, -1, v13, vcc
	flat_store_dword v[0:1], v10
	v_add_co_u32_e32 v0, vcc, 0xffffdbfc, v12
	s_nop 1
	v_addc_co_u32_e32 v1, vcc, -1, v13, vcc
	flat_store_dword v[0:1], v11
	v_add_co_u32_e32 v0, vcc, 0xffffd7fc, v12
	s_nop 1
	v_addc_co_u32_e32 v1, vcc, -1, v13, vcc
	flat_store_dword v[0:1], v26
.LBB53_177:
	s_and_saveexec_b64 s[4:5], s[0:1]
	s_cbranch_execz .LBB53_179
; %bb.178:
	v_lshl_add_u64 v[0:1], v[16:17], 2, s[2:3]
	v_add_co_u32_e32 v0, vcc, 0xffffd3fc, v0
	s_nop 1
	v_addc_co_u32_e32 v1, vcc, -1, v1, vcc
	flat_store_dword v[0:1], v27
	s_endpgm
.LBB53_179:
	s_endpgm
	.section	.rodata,"a",@progbits
	.p2align	6, 0x0
	.amdhsa_kernel _ZN7rocprim17ROCPRIM_400000_NS6detail17trampoline_kernelINS0_14default_configENS1_27scan_by_key_config_selectorIiiEEZZNS1_16scan_by_key_implILNS1_25lookback_scan_determinismE0ELb0ES3_N6thrust23THRUST_200600_302600_NS16reverse_iteratorIPKiEESD_NSA_IPiEEiN6hipcub16HIPCUB_304000_NS3MaxENSH_8EqualityEiEE10hipError_tPvRmT2_T3_T4_T5_mT6_T7_P12ihipStream_tbENKUlT_T0_E_clISt17integral_constantIbLb0EES10_EEDaSV_SW_EUlSV_E_NS1_11comp_targetILNS1_3genE0ELNS1_11target_archE4294967295ELNS1_3gpuE0ELNS1_3repE0EEENS1_30default_config_static_selectorELNS0_4arch9wavefront6targetE1EEEvT1_
		.amdhsa_group_segment_fixed_size 14336
		.amdhsa_private_segment_fixed_size 0
		.amdhsa_kernarg_size 112
		.amdhsa_user_sgpr_count 2
		.amdhsa_user_sgpr_dispatch_ptr 0
		.amdhsa_user_sgpr_queue_ptr 0
		.amdhsa_user_sgpr_kernarg_segment_ptr 1
		.amdhsa_user_sgpr_dispatch_id 0
		.amdhsa_user_sgpr_kernarg_preload_length 0
		.amdhsa_user_sgpr_kernarg_preload_offset 0
		.amdhsa_user_sgpr_private_segment_size 0
		.amdhsa_uses_dynamic_stack 0
		.amdhsa_enable_private_segment 0
		.amdhsa_system_sgpr_workgroup_id_x 1
		.amdhsa_system_sgpr_workgroup_id_y 0
		.amdhsa_system_sgpr_workgroup_id_z 0
		.amdhsa_system_sgpr_workgroup_info 0
		.amdhsa_system_vgpr_workitem_id 0
		.amdhsa_next_free_vgpr 60
		.amdhsa_next_free_sgpr 60
		.amdhsa_accum_offset 60
		.amdhsa_reserve_vcc 1
		.amdhsa_float_round_mode_32 0
		.amdhsa_float_round_mode_16_64 0
		.amdhsa_float_denorm_mode_32 3
		.amdhsa_float_denorm_mode_16_64 3
		.amdhsa_dx10_clamp 1
		.amdhsa_ieee_mode 1
		.amdhsa_fp16_overflow 0
		.amdhsa_tg_split 0
		.amdhsa_exception_fp_ieee_invalid_op 0
		.amdhsa_exception_fp_denorm_src 0
		.amdhsa_exception_fp_ieee_div_zero 0
		.amdhsa_exception_fp_ieee_overflow 0
		.amdhsa_exception_fp_ieee_underflow 0
		.amdhsa_exception_fp_ieee_inexact 0
		.amdhsa_exception_int_div_zero 0
	.end_amdhsa_kernel
	.section	.text._ZN7rocprim17ROCPRIM_400000_NS6detail17trampoline_kernelINS0_14default_configENS1_27scan_by_key_config_selectorIiiEEZZNS1_16scan_by_key_implILNS1_25lookback_scan_determinismE0ELb0ES3_N6thrust23THRUST_200600_302600_NS16reverse_iteratorIPKiEESD_NSA_IPiEEiN6hipcub16HIPCUB_304000_NS3MaxENSH_8EqualityEiEE10hipError_tPvRmT2_T3_T4_T5_mT6_T7_P12ihipStream_tbENKUlT_T0_E_clISt17integral_constantIbLb0EES10_EEDaSV_SW_EUlSV_E_NS1_11comp_targetILNS1_3genE0ELNS1_11target_archE4294967295ELNS1_3gpuE0ELNS1_3repE0EEENS1_30default_config_static_selectorELNS0_4arch9wavefront6targetE1EEEvT1_,"axG",@progbits,_ZN7rocprim17ROCPRIM_400000_NS6detail17trampoline_kernelINS0_14default_configENS1_27scan_by_key_config_selectorIiiEEZZNS1_16scan_by_key_implILNS1_25lookback_scan_determinismE0ELb0ES3_N6thrust23THRUST_200600_302600_NS16reverse_iteratorIPKiEESD_NSA_IPiEEiN6hipcub16HIPCUB_304000_NS3MaxENSH_8EqualityEiEE10hipError_tPvRmT2_T3_T4_T5_mT6_T7_P12ihipStream_tbENKUlT_T0_E_clISt17integral_constantIbLb0EES10_EEDaSV_SW_EUlSV_E_NS1_11comp_targetILNS1_3genE0ELNS1_11target_archE4294967295ELNS1_3gpuE0ELNS1_3repE0EEENS1_30default_config_static_selectorELNS0_4arch9wavefront6targetE1EEEvT1_,comdat
.Lfunc_end53:
	.size	_ZN7rocprim17ROCPRIM_400000_NS6detail17trampoline_kernelINS0_14default_configENS1_27scan_by_key_config_selectorIiiEEZZNS1_16scan_by_key_implILNS1_25lookback_scan_determinismE0ELb0ES3_N6thrust23THRUST_200600_302600_NS16reverse_iteratorIPKiEESD_NSA_IPiEEiN6hipcub16HIPCUB_304000_NS3MaxENSH_8EqualityEiEE10hipError_tPvRmT2_T3_T4_T5_mT6_T7_P12ihipStream_tbENKUlT_T0_E_clISt17integral_constantIbLb0EES10_EEDaSV_SW_EUlSV_E_NS1_11comp_targetILNS1_3genE0ELNS1_11target_archE4294967295ELNS1_3gpuE0ELNS1_3repE0EEENS1_30default_config_static_selectorELNS0_4arch9wavefront6targetE1EEEvT1_, .Lfunc_end53-_ZN7rocprim17ROCPRIM_400000_NS6detail17trampoline_kernelINS0_14default_configENS1_27scan_by_key_config_selectorIiiEEZZNS1_16scan_by_key_implILNS1_25lookback_scan_determinismE0ELb0ES3_N6thrust23THRUST_200600_302600_NS16reverse_iteratorIPKiEESD_NSA_IPiEEiN6hipcub16HIPCUB_304000_NS3MaxENSH_8EqualityEiEE10hipError_tPvRmT2_T3_T4_T5_mT6_T7_P12ihipStream_tbENKUlT_T0_E_clISt17integral_constantIbLb0EES10_EEDaSV_SW_EUlSV_E_NS1_11comp_targetILNS1_3genE0ELNS1_11target_archE4294967295ELNS1_3gpuE0ELNS1_3repE0EEENS1_30default_config_static_selectorELNS0_4arch9wavefront6targetE1EEEvT1_
                                        ; -- End function
	.set _ZN7rocprim17ROCPRIM_400000_NS6detail17trampoline_kernelINS0_14default_configENS1_27scan_by_key_config_selectorIiiEEZZNS1_16scan_by_key_implILNS1_25lookback_scan_determinismE0ELb0ES3_N6thrust23THRUST_200600_302600_NS16reverse_iteratorIPKiEESD_NSA_IPiEEiN6hipcub16HIPCUB_304000_NS3MaxENSH_8EqualityEiEE10hipError_tPvRmT2_T3_T4_T5_mT6_T7_P12ihipStream_tbENKUlT_T0_E_clISt17integral_constantIbLb0EES10_EEDaSV_SW_EUlSV_E_NS1_11comp_targetILNS1_3genE0ELNS1_11target_archE4294967295ELNS1_3gpuE0ELNS1_3repE0EEENS1_30default_config_static_selectorELNS0_4arch9wavefront6targetE1EEEvT1_.num_vgpr, 60
	.set _ZN7rocprim17ROCPRIM_400000_NS6detail17trampoline_kernelINS0_14default_configENS1_27scan_by_key_config_selectorIiiEEZZNS1_16scan_by_key_implILNS1_25lookback_scan_determinismE0ELb0ES3_N6thrust23THRUST_200600_302600_NS16reverse_iteratorIPKiEESD_NSA_IPiEEiN6hipcub16HIPCUB_304000_NS3MaxENSH_8EqualityEiEE10hipError_tPvRmT2_T3_T4_T5_mT6_T7_P12ihipStream_tbENKUlT_T0_E_clISt17integral_constantIbLb0EES10_EEDaSV_SW_EUlSV_E_NS1_11comp_targetILNS1_3genE0ELNS1_11target_archE4294967295ELNS1_3gpuE0ELNS1_3repE0EEENS1_30default_config_static_selectorELNS0_4arch9wavefront6targetE1EEEvT1_.num_agpr, 0
	.set _ZN7rocprim17ROCPRIM_400000_NS6detail17trampoline_kernelINS0_14default_configENS1_27scan_by_key_config_selectorIiiEEZZNS1_16scan_by_key_implILNS1_25lookback_scan_determinismE0ELb0ES3_N6thrust23THRUST_200600_302600_NS16reverse_iteratorIPKiEESD_NSA_IPiEEiN6hipcub16HIPCUB_304000_NS3MaxENSH_8EqualityEiEE10hipError_tPvRmT2_T3_T4_T5_mT6_T7_P12ihipStream_tbENKUlT_T0_E_clISt17integral_constantIbLb0EES10_EEDaSV_SW_EUlSV_E_NS1_11comp_targetILNS1_3genE0ELNS1_11target_archE4294967295ELNS1_3gpuE0ELNS1_3repE0EEENS1_30default_config_static_selectorELNS0_4arch9wavefront6targetE1EEEvT1_.numbered_sgpr, 60
	.set _ZN7rocprim17ROCPRIM_400000_NS6detail17trampoline_kernelINS0_14default_configENS1_27scan_by_key_config_selectorIiiEEZZNS1_16scan_by_key_implILNS1_25lookback_scan_determinismE0ELb0ES3_N6thrust23THRUST_200600_302600_NS16reverse_iteratorIPKiEESD_NSA_IPiEEiN6hipcub16HIPCUB_304000_NS3MaxENSH_8EqualityEiEE10hipError_tPvRmT2_T3_T4_T5_mT6_T7_P12ihipStream_tbENKUlT_T0_E_clISt17integral_constantIbLb0EES10_EEDaSV_SW_EUlSV_E_NS1_11comp_targetILNS1_3genE0ELNS1_11target_archE4294967295ELNS1_3gpuE0ELNS1_3repE0EEENS1_30default_config_static_selectorELNS0_4arch9wavefront6targetE1EEEvT1_.num_named_barrier, 0
	.set _ZN7rocprim17ROCPRIM_400000_NS6detail17trampoline_kernelINS0_14default_configENS1_27scan_by_key_config_selectorIiiEEZZNS1_16scan_by_key_implILNS1_25lookback_scan_determinismE0ELb0ES3_N6thrust23THRUST_200600_302600_NS16reverse_iteratorIPKiEESD_NSA_IPiEEiN6hipcub16HIPCUB_304000_NS3MaxENSH_8EqualityEiEE10hipError_tPvRmT2_T3_T4_T5_mT6_T7_P12ihipStream_tbENKUlT_T0_E_clISt17integral_constantIbLb0EES10_EEDaSV_SW_EUlSV_E_NS1_11comp_targetILNS1_3genE0ELNS1_11target_archE4294967295ELNS1_3gpuE0ELNS1_3repE0EEENS1_30default_config_static_selectorELNS0_4arch9wavefront6targetE1EEEvT1_.private_seg_size, 0
	.set _ZN7rocprim17ROCPRIM_400000_NS6detail17trampoline_kernelINS0_14default_configENS1_27scan_by_key_config_selectorIiiEEZZNS1_16scan_by_key_implILNS1_25lookback_scan_determinismE0ELb0ES3_N6thrust23THRUST_200600_302600_NS16reverse_iteratorIPKiEESD_NSA_IPiEEiN6hipcub16HIPCUB_304000_NS3MaxENSH_8EqualityEiEE10hipError_tPvRmT2_T3_T4_T5_mT6_T7_P12ihipStream_tbENKUlT_T0_E_clISt17integral_constantIbLb0EES10_EEDaSV_SW_EUlSV_E_NS1_11comp_targetILNS1_3genE0ELNS1_11target_archE4294967295ELNS1_3gpuE0ELNS1_3repE0EEENS1_30default_config_static_selectorELNS0_4arch9wavefront6targetE1EEEvT1_.uses_vcc, 1
	.set _ZN7rocprim17ROCPRIM_400000_NS6detail17trampoline_kernelINS0_14default_configENS1_27scan_by_key_config_selectorIiiEEZZNS1_16scan_by_key_implILNS1_25lookback_scan_determinismE0ELb0ES3_N6thrust23THRUST_200600_302600_NS16reverse_iteratorIPKiEESD_NSA_IPiEEiN6hipcub16HIPCUB_304000_NS3MaxENSH_8EqualityEiEE10hipError_tPvRmT2_T3_T4_T5_mT6_T7_P12ihipStream_tbENKUlT_T0_E_clISt17integral_constantIbLb0EES10_EEDaSV_SW_EUlSV_E_NS1_11comp_targetILNS1_3genE0ELNS1_11target_archE4294967295ELNS1_3gpuE0ELNS1_3repE0EEENS1_30default_config_static_selectorELNS0_4arch9wavefront6targetE1EEEvT1_.uses_flat_scratch, 0
	.set _ZN7rocprim17ROCPRIM_400000_NS6detail17trampoline_kernelINS0_14default_configENS1_27scan_by_key_config_selectorIiiEEZZNS1_16scan_by_key_implILNS1_25lookback_scan_determinismE0ELb0ES3_N6thrust23THRUST_200600_302600_NS16reverse_iteratorIPKiEESD_NSA_IPiEEiN6hipcub16HIPCUB_304000_NS3MaxENSH_8EqualityEiEE10hipError_tPvRmT2_T3_T4_T5_mT6_T7_P12ihipStream_tbENKUlT_T0_E_clISt17integral_constantIbLb0EES10_EEDaSV_SW_EUlSV_E_NS1_11comp_targetILNS1_3genE0ELNS1_11target_archE4294967295ELNS1_3gpuE0ELNS1_3repE0EEENS1_30default_config_static_selectorELNS0_4arch9wavefront6targetE1EEEvT1_.has_dyn_sized_stack, 0
	.set _ZN7rocprim17ROCPRIM_400000_NS6detail17trampoline_kernelINS0_14default_configENS1_27scan_by_key_config_selectorIiiEEZZNS1_16scan_by_key_implILNS1_25lookback_scan_determinismE0ELb0ES3_N6thrust23THRUST_200600_302600_NS16reverse_iteratorIPKiEESD_NSA_IPiEEiN6hipcub16HIPCUB_304000_NS3MaxENSH_8EqualityEiEE10hipError_tPvRmT2_T3_T4_T5_mT6_T7_P12ihipStream_tbENKUlT_T0_E_clISt17integral_constantIbLb0EES10_EEDaSV_SW_EUlSV_E_NS1_11comp_targetILNS1_3genE0ELNS1_11target_archE4294967295ELNS1_3gpuE0ELNS1_3repE0EEENS1_30default_config_static_selectorELNS0_4arch9wavefront6targetE1EEEvT1_.has_recursion, 0
	.set _ZN7rocprim17ROCPRIM_400000_NS6detail17trampoline_kernelINS0_14default_configENS1_27scan_by_key_config_selectorIiiEEZZNS1_16scan_by_key_implILNS1_25lookback_scan_determinismE0ELb0ES3_N6thrust23THRUST_200600_302600_NS16reverse_iteratorIPKiEESD_NSA_IPiEEiN6hipcub16HIPCUB_304000_NS3MaxENSH_8EqualityEiEE10hipError_tPvRmT2_T3_T4_T5_mT6_T7_P12ihipStream_tbENKUlT_T0_E_clISt17integral_constantIbLb0EES10_EEDaSV_SW_EUlSV_E_NS1_11comp_targetILNS1_3genE0ELNS1_11target_archE4294967295ELNS1_3gpuE0ELNS1_3repE0EEENS1_30default_config_static_selectorELNS0_4arch9wavefront6targetE1EEEvT1_.has_indirect_call, 0
	.section	.AMDGPU.csdata,"",@progbits
; Kernel info:
; codeLenInByte = 11676
; TotalNumSgprs: 66
; NumVgprs: 60
; NumAgprs: 0
; TotalNumVgprs: 60
; ScratchSize: 0
; MemoryBound: 0
; FloatMode: 240
; IeeeMode: 1
; LDSByteSize: 14336 bytes/workgroup (compile time only)
; SGPRBlocks: 8
; VGPRBlocks: 7
; NumSGPRsForWavesPerEU: 66
; NumVGPRsForWavesPerEU: 60
; AccumOffset: 60
; Occupancy: 8
; WaveLimiterHint : 1
; COMPUTE_PGM_RSRC2:SCRATCH_EN: 0
; COMPUTE_PGM_RSRC2:USER_SGPR: 2
; COMPUTE_PGM_RSRC2:TRAP_HANDLER: 0
; COMPUTE_PGM_RSRC2:TGID_X_EN: 1
; COMPUTE_PGM_RSRC2:TGID_Y_EN: 0
; COMPUTE_PGM_RSRC2:TGID_Z_EN: 0
; COMPUTE_PGM_RSRC2:TIDIG_COMP_CNT: 0
; COMPUTE_PGM_RSRC3_GFX90A:ACCUM_OFFSET: 14
; COMPUTE_PGM_RSRC3_GFX90A:TG_SPLIT: 0
	.section	.text._ZN7rocprim17ROCPRIM_400000_NS6detail17trampoline_kernelINS0_14default_configENS1_27scan_by_key_config_selectorIiiEEZZNS1_16scan_by_key_implILNS1_25lookback_scan_determinismE0ELb0ES3_N6thrust23THRUST_200600_302600_NS16reverse_iteratorIPKiEESD_NSA_IPiEEiN6hipcub16HIPCUB_304000_NS3MaxENSH_8EqualityEiEE10hipError_tPvRmT2_T3_T4_T5_mT6_T7_P12ihipStream_tbENKUlT_T0_E_clISt17integral_constantIbLb0EES10_EEDaSV_SW_EUlSV_E_NS1_11comp_targetILNS1_3genE10ELNS1_11target_archE1201ELNS1_3gpuE5ELNS1_3repE0EEENS1_30default_config_static_selectorELNS0_4arch9wavefront6targetE1EEEvT1_,"axG",@progbits,_ZN7rocprim17ROCPRIM_400000_NS6detail17trampoline_kernelINS0_14default_configENS1_27scan_by_key_config_selectorIiiEEZZNS1_16scan_by_key_implILNS1_25lookback_scan_determinismE0ELb0ES3_N6thrust23THRUST_200600_302600_NS16reverse_iteratorIPKiEESD_NSA_IPiEEiN6hipcub16HIPCUB_304000_NS3MaxENSH_8EqualityEiEE10hipError_tPvRmT2_T3_T4_T5_mT6_T7_P12ihipStream_tbENKUlT_T0_E_clISt17integral_constantIbLb0EES10_EEDaSV_SW_EUlSV_E_NS1_11comp_targetILNS1_3genE10ELNS1_11target_archE1201ELNS1_3gpuE5ELNS1_3repE0EEENS1_30default_config_static_selectorELNS0_4arch9wavefront6targetE1EEEvT1_,comdat
	.protected	_ZN7rocprim17ROCPRIM_400000_NS6detail17trampoline_kernelINS0_14default_configENS1_27scan_by_key_config_selectorIiiEEZZNS1_16scan_by_key_implILNS1_25lookback_scan_determinismE0ELb0ES3_N6thrust23THRUST_200600_302600_NS16reverse_iteratorIPKiEESD_NSA_IPiEEiN6hipcub16HIPCUB_304000_NS3MaxENSH_8EqualityEiEE10hipError_tPvRmT2_T3_T4_T5_mT6_T7_P12ihipStream_tbENKUlT_T0_E_clISt17integral_constantIbLb0EES10_EEDaSV_SW_EUlSV_E_NS1_11comp_targetILNS1_3genE10ELNS1_11target_archE1201ELNS1_3gpuE5ELNS1_3repE0EEENS1_30default_config_static_selectorELNS0_4arch9wavefront6targetE1EEEvT1_ ; -- Begin function _ZN7rocprim17ROCPRIM_400000_NS6detail17trampoline_kernelINS0_14default_configENS1_27scan_by_key_config_selectorIiiEEZZNS1_16scan_by_key_implILNS1_25lookback_scan_determinismE0ELb0ES3_N6thrust23THRUST_200600_302600_NS16reverse_iteratorIPKiEESD_NSA_IPiEEiN6hipcub16HIPCUB_304000_NS3MaxENSH_8EqualityEiEE10hipError_tPvRmT2_T3_T4_T5_mT6_T7_P12ihipStream_tbENKUlT_T0_E_clISt17integral_constantIbLb0EES10_EEDaSV_SW_EUlSV_E_NS1_11comp_targetILNS1_3genE10ELNS1_11target_archE1201ELNS1_3gpuE5ELNS1_3repE0EEENS1_30default_config_static_selectorELNS0_4arch9wavefront6targetE1EEEvT1_
	.globl	_ZN7rocprim17ROCPRIM_400000_NS6detail17trampoline_kernelINS0_14default_configENS1_27scan_by_key_config_selectorIiiEEZZNS1_16scan_by_key_implILNS1_25lookback_scan_determinismE0ELb0ES3_N6thrust23THRUST_200600_302600_NS16reverse_iteratorIPKiEESD_NSA_IPiEEiN6hipcub16HIPCUB_304000_NS3MaxENSH_8EqualityEiEE10hipError_tPvRmT2_T3_T4_T5_mT6_T7_P12ihipStream_tbENKUlT_T0_E_clISt17integral_constantIbLb0EES10_EEDaSV_SW_EUlSV_E_NS1_11comp_targetILNS1_3genE10ELNS1_11target_archE1201ELNS1_3gpuE5ELNS1_3repE0EEENS1_30default_config_static_selectorELNS0_4arch9wavefront6targetE1EEEvT1_
	.p2align	8
	.type	_ZN7rocprim17ROCPRIM_400000_NS6detail17trampoline_kernelINS0_14default_configENS1_27scan_by_key_config_selectorIiiEEZZNS1_16scan_by_key_implILNS1_25lookback_scan_determinismE0ELb0ES3_N6thrust23THRUST_200600_302600_NS16reverse_iteratorIPKiEESD_NSA_IPiEEiN6hipcub16HIPCUB_304000_NS3MaxENSH_8EqualityEiEE10hipError_tPvRmT2_T3_T4_T5_mT6_T7_P12ihipStream_tbENKUlT_T0_E_clISt17integral_constantIbLb0EES10_EEDaSV_SW_EUlSV_E_NS1_11comp_targetILNS1_3genE10ELNS1_11target_archE1201ELNS1_3gpuE5ELNS1_3repE0EEENS1_30default_config_static_selectorELNS0_4arch9wavefront6targetE1EEEvT1_,@function
_ZN7rocprim17ROCPRIM_400000_NS6detail17trampoline_kernelINS0_14default_configENS1_27scan_by_key_config_selectorIiiEEZZNS1_16scan_by_key_implILNS1_25lookback_scan_determinismE0ELb0ES3_N6thrust23THRUST_200600_302600_NS16reverse_iteratorIPKiEESD_NSA_IPiEEiN6hipcub16HIPCUB_304000_NS3MaxENSH_8EqualityEiEE10hipError_tPvRmT2_T3_T4_T5_mT6_T7_P12ihipStream_tbENKUlT_T0_E_clISt17integral_constantIbLb0EES10_EEDaSV_SW_EUlSV_E_NS1_11comp_targetILNS1_3genE10ELNS1_11target_archE1201ELNS1_3gpuE5ELNS1_3repE0EEENS1_30default_config_static_selectorELNS0_4arch9wavefront6targetE1EEEvT1_: ; @_ZN7rocprim17ROCPRIM_400000_NS6detail17trampoline_kernelINS0_14default_configENS1_27scan_by_key_config_selectorIiiEEZZNS1_16scan_by_key_implILNS1_25lookback_scan_determinismE0ELb0ES3_N6thrust23THRUST_200600_302600_NS16reverse_iteratorIPKiEESD_NSA_IPiEEiN6hipcub16HIPCUB_304000_NS3MaxENSH_8EqualityEiEE10hipError_tPvRmT2_T3_T4_T5_mT6_T7_P12ihipStream_tbENKUlT_T0_E_clISt17integral_constantIbLb0EES10_EEDaSV_SW_EUlSV_E_NS1_11comp_targetILNS1_3genE10ELNS1_11target_archE1201ELNS1_3gpuE5ELNS1_3repE0EEENS1_30default_config_static_selectorELNS0_4arch9wavefront6targetE1EEEvT1_
; %bb.0:
	.section	.rodata,"a",@progbits
	.p2align	6, 0x0
	.amdhsa_kernel _ZN7rocprim17ROCPRIM_400000_NS6detail17trampoline_kernelINS0_14default_configENS1_27scan_by_key_config_selectorIiiEEZZNS1_16scan_by_key_implILNS1_25lookback_scan_determinismE0ELb0ES3_N6thrust23THRUST_200600_302600_NS16reverse_iteratorIPKiEESD_NSA_IPiEEiN6hipcub16HIPCUB_304000_NS3MaxENSH_8EqualityEiEE10hipError_tPvRmT2_T3_T4_T5_mT6_T7_P12ihipStream_tbENKUlT_T0_E_clISt17integral_constantIbLb0EES10_EEDaSV_SW_EUlSV_E_NS1_11comp_targetILNS1_3genE10ELNS1_11target_archE1201ELNS1_3gpuE5ELNS1_3repE0EEENS1_30default_config_static_selectorELNS0_4arch9wavefront6targetE1EEEvT1_
		.amdhsa_group_segment_fixed_size 0
		.amdhsa_private_segment_fixed_size 0
		.amdhsa_kernarg_size 112
		.amdhsa_user_sgpr_count 2
		.amdhsa_user_sgpr_dispatch_ptr 0
		.amdhsa_user_sgpr_queue_ptr 0
		.amdhsa_user_sgpr_kernarg_segment_ptr 1
		.amdhsa_user_sgpr_dispatch_id 0
		.amdhsa_user_sgpr_kernarg_preload_length 0
		.amdhsa_user_sgpr_kernarg_preload_offset 0
		.amdhsa_user_sgpr_private_segment_size 0
		.amdhsa_uses_dynamic_stack 0
		.amdhsa_enable_private_segment 0
		.amdhsa_system_sgpr_workgroup_id_x 1
		.amdhsa_system_sgpr_workgroup_id_y 0
		.amdhsa_system_sgpr_workgroup_id_z 0
		.amdhsa_system_sgpr_workgroup_info 0
		.amdhsa_system_vgpr_workitem_id 0
		.amdhsa_next_free_vgpr 1
		.amdhsa_next_free_sgpr 0
		.amdhsa_accum_offset 4
		.amdhsa_reserve_vcc 0
		.amdhsa_float_round_mode_32 0
		.amdhsa_float_round_mode_16_64 0
		.amdhsa_float_denorm_mode_32 3
		.amdhsa_float_denorm_mode_16_64 3
		.amdhsa_dx10_clamp 1
		.amdhsa_ieee_mode 1
		.amdhsa_fp16_overflow 0
		.amdhsa_tg_split 0
		.amdhsa_exception_fp_ieee_invalid_op 0
		.amdhsa_exception_fp_denorm_src 0
		.amdhsa_exception_fp_ieee_div_zero 0
		.amdhsa_exception_fp_ieee_overflow 0
		.amdhsa_exception_fp_ieee_underflow 0
		.amdhsa_exception_fp_ieee_inexact 0
		.amdhsa_exception_int_div_zero 0
	.end_amdhsa_kernel
	.section	.text._ZN7rocprim17ROCPRIM_400000_NS6detail17trampoline_kernelINS0_14default_configENS1_27scan_by_key_config_selectorIiiEEZZNS1_16scan_by_key_implILNS1_25lookback_scan_determinismE0ELb0ES3_N6thrust23THRUST_200600_302600_NS16reverse_iteratorIPKiEESD_NSA_IPiEEiN6hipcub16HIPCUB_304000_NS3MaxENSH_8EqualityEiEE10hipError_tPvRmT2_T3_T4_T5_mT6_T7_P12ihipStream_tbENKUlT_T0_E_clISt17integral_constantIbLb0EES10_EEDaSV_SW_EUlSV_E_NS1_11comp_targetILNS1_3genE10ELNS1_11target_archE1201ELNS1_3gpuE5ELNS1_3repE0EEENS1_30default_config_static_selectorELNS0_4arch9wavefront6targetE1EEEvT1_,"axG",@progbits,_ZN7rocprim17ROCPRIM_400000_NS6detail17trampoline_kernelINS0_14default_configENS1_27scan_by_key_config_selectorIiiEEZZNS1_16scan_by_key_implILNS1_25lookback_scan_determinismE0ELb0ES3_N6thrust23THRUST_200600_302600_NS16reverse_iteratorIPKiEESD_NSA_IPiEEiN6hipcub16HIPCUB_304000_NS3MaxENSH_8EqualityEiEE10hipError_tPvRmT2_T3_T4_T5_mT6_T7_P12ihipStream_tbENKUlT_T0_E_clISt17integral_constantIbLb0EES10_EEDaSV_SW_EUlSV_E_NS1_11comp_targetILNS1_3genE10ELNS1_11target_archE1201ELNS1_3gpuE5ELNS1_3repE0EEENS1_30default_config_static_selectorELNS0_4arch9wavefront6targetE1EEEvT1_,comdat
.Lfunc_end54:
	.size	_ZN7rocprim17ROCPRIM_400000_NS6detail17trampoline_kernelINS0_14default_configENS1_27scan_by_key_config_selectorIiiEEZZNS1_16scan_by_key_implILNS1_25lookback_scan_determinismE0ELb0ES3_N6thrust23THRUST_200600_302600_NS16reverse_iteratorIPKiEESD_NSA_IPiEEiN6hipcub16HIPCUB_304000_NS3MaxENSH_8EqualityEiEE10hipError_tPvRmT2_T3_T4_T5_mT6_T7_P12ihipStream_tbENKUlT_T0_E_clISt17integral_constantIbLb0EES10_EEDaSV_SW_EUlSV_E_NS1_11comp_targetILNS1_3genE10ELNS1_11target_archE1201ELNS1_3gpuE5ELNS1_3repE0EEENS1_30default_config_static_selectorELNS0_4arch9wavefront6targetE1EEEvT1_, .Lfunc_end54-_ZN7rocprim17ROCPRIM_400000_NS6detail17trampoline_kernelINS0_14default_configENS1_27scan_by_key_config_selectorIiiEEZZNS1_16scan_by_key_implILNS1_25lookback_scan_determinismE0ELb0ES3_N6thrust23THRUST_200600_302600_NS16reverse_iteratorIPKiEESD_NSA_IPiEEiN6hipcub16HIPCUB_304000_NS3MaxENSH_8EqualityEiEE10hipError_tPvRmT2_T3_T4_T5_mT6_T7_P12ihipStream_tbENKUlT_T0_E_clISt17integral_constantIbLb0EES10_EEDaSV_SW_EUlSV_E_NS1_11comp_targetILNS1_3genE10ELNS1_11target_archE1201ELNS1_3gpuE5ELNS1_3repE0EEENS1_30default_config_static_selectorELNS0_4arch9wavefront6targetE1EEEvT1_
                                        ; -- End function
	.set _ZN7rocprim17ROCPRIM_400000_NS6detail17trampoline_kernelINS0_14default_configENS1_27scan_by_key_config_selectorIiiEEZZNS1_16scan_by_key_implILNS1_25lookback_scan_determinismE0ELb0ES3_N6thrust23THRUST_200600_302600_NS16reverse_iteratorIPKiEESD_NSA_IPiEEiN6hipcub16HIPCUB_304000_NS3MaxENSH_8EqualityEiEE10hipError_tPvRmT2_T3_T4_T5_mT6_T7_P12ihipStream_tbENKUlT_T0_E_clISt17integral_constantIbLb0EES10_EEDaSV_SW_EUlSV_E_NS1_11comp_targetILNS1_3genE10ELNS1_11target_archE1201ELNS1_3gpuE5ELNS1_3repE0EEENS1_30default_config_static_selectorELNS0_4arch9wavefront6targetE1EEEvT1_.num_vgpr, 0
	.set _ZN7rocprim17ROCPRIM_400000_NS6detail17trampoline_kernelINS0_14default_configENS1_27scan_by_key_config_selectorIiiEEZZNS1_16scan_by_key_implILNS1_25lookback_scan_determinismE0ELb0ES3_N6thrust23THRUST_200600_302600_NS16reverse_iteratorIPKiEESD_NSA_IPiEEiN6hipcub16HIPCUB_304000_NS3MaxENSH_8EqualityEiEE10hipError_tPvRmT2_T3_T4_T5_mT6_T7_P12ihipStream_tbENKUlT_T0_E_clISt17integral_constantIbLb0EES10_EEDaSV_SW_EUlSV_E_NS1_11comp_targetILNS1_3genE10ELNS1_11target_archE1201ELNS1_3gpuE5ELNS1_3repE0EEENS1_30default_config_static_selectorELNS0_4arch9wavefront6targetE1EEEvT1_.num_agpr, 0
	.set _ZN7rocprim17ROCPRIM_400000_NS6detail17trampoline_kernelINS0_14default_configENS1_27scan_by_key_config_selectorIiiEEZZNS1_16scan_by_key_implILNS1_25lookback_scan_determinismE0ELb0ES3_N6thrust23THRUST_200600_302600_NS16reverse_iteratorIPKiEESD_NSA_IPiEEiN6hipcub16HIPCUB_304000_NS3MaxENSH_8EqualityEiEE10hipError_tPvRmT2_T3_T4_T5_mT6_T7_P12ihipStream_tbENKUlT_T0_E_clISt17integral_constantIbLb0EES10_EEDaSV_SW_EUlSV_E_NS1_11comp_targetILNS1_3genE10ELNS1_11target_archE1201ELNS1_3gpuE5ELNS1_3repE0EEENS1_30default_config_static_selectorELNS0_4arch9wavefront6targetE1EEEvT1_.numbered_sgpr, 0
	.set _ZN7rocprim17ROCPRIM_400000_NS6detail17trampoline_kernelINS0_14default_configENS1_27scan_by_key_config_selectorIiiEEZZNS1_16scan_by_key_implILNS1_25lookback_scan_determinismE0ELb0ES3_N6thrust23THRUST_200600_302600_NS16reverse_iteratorIPKiEESD_NSA_IPiEEiN6hipcub16HIPCUB_304000_NS3MaxENSH_8EqualityEiEE10hipError_tPvRmT2_T3_T4_T5_mT6_T7_P12ihipStream_tbENKUlT_T0_E_clISt17integral_constantIbLb0EES10_EEDaSV_SW_EUlSV_E_NS1_11comp_targetILNS1_3genE10ELNS1_11target_archE1201ELNS1_3gpuE5ELNS1_3repE0EEENS1_30default_config_static_selectorELNS0_4arch9wavefront6targetE1EEEvT1_.num_named_barrier, 0
	.set _ZN7rocprim17ROCPRIM_400000_NS6detail17trampoline_kernelINS0_14default_configENS1_27scan_by_key_config_selectorIiiEEZZNS1_16scan_by_key_implILNS1_25lookback_scan_determinismE0ELb0ES3_N6thrust23THRUST_200600_302600_NS16reverse_iteratorIPKiEESD_NSA_IPiEEiN6hipcub16HIPCUB_304000_NS3MaxENSH_8EqualityEiEE10hipError_tPvRmT2_T3_T4_T5_mT6_T7_P12ihipStream_tbENKUlT_T0_E_clISt17integral_constantIbLb0EES10_EEDaSV_SW_EUlSV_E_NS1_11comp_targetILNS1_3genE10ELNS1_11target_archE1201ELNS1_3gpuE5ELNS1_3repE0EEENS1_30default_config_static_selectorELNS0_4arch9wavefront6targetE1EEEvT1_.private_seg_size, 0
	.set _ZN7rocprim17ROCPRIM_400000_NS6detail17trampoline_kernelINS0_14default_configENS1_27scan_by_key_config_selectorIiiEEZZNS1_16scan_by_key_implILNS1_25lookback_scan_determinismE0ELb0ES3_N6thrust23THRUST_200600_302600_NS16reverse_iteratorIPKiEESD_NSA_IPiEEiN6hipcub16HIPCUB_304000_NS3MaxENSH_8EqualityEiEE10hipError_tPvRmT2_T3_T4_T5_mT6_T7_P12ihipStream_tbENKUlT_T0_E_clISt17integral_constantIbLb0EES10_EEDaSV_SW_EUlSV_E_NS1_11comp_targetILNS1_3genE10ELNS1_11target_archE1201ELNS1_3gpuE5ELNS1_3repE0EEENS1_30default_config_static_selectorELNS0_4arch9wavefront6targetE1EEEvT1_.uses_vcc, 0
	.set _ZN7rocprim17ROCPRIM_400000_NS6detail17trampoline_kernelINS0_14default_configENS1_27scan_by_key_config_selectorIiiEEZZNS1_16scan_by_key_implILNS1_25lookback_scan_determinismE0ELb0ES3_N6thrust23THRUST_200600_302600_NS16reverse_iteratorIPKiEESD_NSA_IPiEEiN6hipcub16HIPCUB_304000_NS3MaxENSH_8EqualityEiEE10hipError_tPvRmT2_T3_T4_T5_mT6_T7_P12ihipStream_tbENKUlT_T0_E_clISt17integral_constantIbLb0EES10_EEDaSV_SW_EUlSV_E_NS1_11comp_targetILNS1_3genE10ELNS1_11target_archE1201ELNS1_3gpuE5ELNS1_3repE0EEENS1_30default_config_static_selectorELNS0_4arch9wavefront6targetE1EEEvT1_.uses_flat_scratch, 0
	.set _ZN7rocprim17ROCPRIM_400000_NS6detail17trampoline_kernelINS0_14default_configENS1_27scan_by_key_config_selectorIiiEEZZNS1_16scan_by_key_implILNS1_25lookback_scan_determinismE0ELb0ES3_N6thrust23THRUST_200600_302600_NS16reverse_iteratorIPKiEESD_NSA_IPiEEiN6hipcub16HIPCUB_304000_NS3MaxENSH_8EqualityEiEE10hipError_tPvRmT2_T3_T4_T5_mT6_T7_P12ihipStream_tbENKUlT_T0_E_clISt17integral_constantIbLb0EES10_EEDaSV_SW_EUlSV_E_NS1_11comp_targetILNS1_3genE10ELNS1_11target_archE1201ELNS1_3gpuE5ELNS1_3repE0EEENS1_30default_config_static_selectorELNS0_4arch9wavefront6targetE1EEEvT1_.has_dyn_sized_stack, 0
	.set _ZN7rocprim17ROCPRIM_400000_NS6detail17trampoline_kernelINS0_14default_configENS1_27scan_by_key_config_selectorIiiEEZZNS1_16scan_by_key_implILNS1_25lookback_scan_determinismE0ELb0ES3_N6thrust23THRUST_200600_302600_NS16reverse_iteratorIPKiEESD_NSA_IPiEEiN6hipcub16HIPCUB_304000_NS3MaxENSH_8EqualityEiEE10hipError_tPvRmT2_T3_T4_T5_mT6_T7_P12ihipStream_tbENKUlT_T0_E_clISt17integral_constantIbLb0EES10_EEDaSV_SW_EUlSV_E_NS1_11comp_targetILNS1_3genE10ELNS1_11target_archE1201ELNS1_3gpuE5ELNS1_3repE0EEENS1_30default_config_static_selectorELNS0_4arch9wavefront6targetE1EEEvT1_.has_recursion, 0
	.set _ZN7rocprim17ROCPRIM_400000_NS6detail17trampoline_kernelINS0_14default_configENS1_27scan_by_key_config_selectorIiiEEZZNS1_16scan_by_key_implILNS1_25lookback_scan_determinismE0ELb0ES3_N6thrust23THRUST_200600_302600_NS16reverse_iteratorIPKiEESD_NSA_IPiEEiN6hipcub16HIPCUB_304000_NS3MaxENSH_8EqualityEiEE10hipError_tPvRmT2_T3_T4_T5_mT6_T7_P12ihipStream_tbENKUlT_T0_E_clISt17integral_constantIbLb0EES10_EEDaSV_SW_EUlSV_E_NS1_11comp_targetILNS1_3genE10ELNS1_11target_archE1201ELNS1_3gpuE5ELNS1_3repE0EEENS1_30default_config_static_selectorELNS0_4arch9wavefront6targetE1EEEvT1_.has_indirect_call, 0
	.section	.AMDGPU.csdata,"",@progbits
; Kernel info:
; codeLenInByte = 0
; TotalNumSgprs: 6
; NumVgprs: 0
; NumAgprs: 0
; TotalNumVgprs: 0
; ScratchSize: 0
; MemoryBound: 0
; FloatMode: 240
; IeeeMode: 1
; LDSByteSize: 0 bytes/workgroup (compile time only)
; SGPRBlocks: 0
; VGPRBlocks: 0
; NumSGPRsForWavesPerEU: 6
; NumVGPRsForWavesPerEU: 1
; AccumOffset: 4
; Occupancy: 8
; WaveLimiterHint : 0
; COMPUTE_PGM_RSRC2:SCRATCH_EN: 0
; COMPUTE_PGM_RSRC2:USER_SGPR: 2
; COMPUTE_PGM_RSRC2:TRAP_HANDLER: 0
; COMPUTE_PGM_RSRC2:TGID_X_EN: 1
; COMPUTE_PGM_RSRC2:TGID_Y_EN: 0
; COMPUTE_PGM_RSRC2:TGID_Z_EN: 0
; COMPUTE_PGM_RSRC2:TIDIG_COMP_CNT: 0
; COMPUTE_PGM_RSRC3_GFX90A:ACCUM_OFFSET: 0
; COMPUTE_PGM_RSRC3_GFX90A:TG_SPLIT: 0
	.section	.text._ZN7rocprim17ROCPRIM_400000_NS6detail17trampoline_kernelINS0_14default_configENS1_27scan_by_key_config_selectorIiiEEZZNS1_16scan_by_key_implILNS1_25lookback_scan_determinismE0ELb0ES3_N6thrust23THRUST_200600_302600_NS16reverse_iteratorIPKiEESD_NSA_IPiEEiN6hipcub16HIPCUB_304000_NS3MaxENSH_8EqualityEiEE10hipError_tPvRmT2_T3_T4_T5_mT6_T7_P12ihipStream_tbENKUlT_T0_E_clISt17integral_constantIbLb0EES10_EEDaSV_SW_EUlSV_E_NS1_11comp_targetILNS1_3genE5ELNS1_11target_archE942ELNS1_3gpuE9ELNS1_3repE0EEENS1_30default_config_static_selectorELNS0_4arch9wavefront6targetE1EEEvT1_,"axG",@progbits,_ZN7rocprim17ROCPRIM_400000_NS6detail17trampoline_kernelINS0_14default_configENS1_27scan_by_key_config_selectorIiiEEZZNS1_16scan_by_key_implILNS1_25lookback_scan_determinismE0ELb0ES3_N6thrust23THRUST_200600_302600_NS16reverse_iteratorIPKiEESD_NSA_IPiEEiN6hipcub16HIPCUB_304000_NS3MaxENSH_8EqualityEiEE10hipError_tPvRmT2_T3_T4_T5_mT6_T7_P12ihipStream_tbENKUlT_T0_E_clISt17integral_constantIbLb0EES10_EEDaSV_SW_EUlSV_E_NS1_11comp_targetILNS1_3genE5ELNS1_11target_archE942ELNS1_3gpuE9ELNS1_3repE0EEENS1_30default_config_static_selectorELNS0_4arch9wavefront6targetE1EEEvT1_,comdat
	.protected	_ZN7rocprim17ROCPRIM_400000_NS6detail17trampoline_kernelINS0_14default_configENS1_27scan_by_key_config_selectorIiiEEZZNS1_16scan_by_key_implILNS1_25lookback_scan_determinismE0ELb0ES3_N6thrust23THRUST_200600_302600_NS16reverse_iteratorIPKiEESD_NSA_IPiEEiN6hipcub16HIPCUB_304000_NS3MaxENSH_8EqualityEiEE10hipError_tPvRmT2_T3_T4_T5_mT6_T7_P12ihipStream_tbENKUlT_T0_E_clISt17integral_constantIbLb0EES10_EEDaSV_SW_EUlSV_E_NS1_11comp_targetILNS1_3genE5ELNS1_11target_archE942ELNS1_3gpuE9ELNS1_3repE0EEENS1_30default_config_static_selectorELNS0_4arch9wavefront6targetE1EEEvT1_ ; -- Begin function _ZN7rocprim17ROCPRIM_400000_NS6detail17trampoline_kernelINS0_14default_configENS1_27scan_by_key_config_selectorIiiEEZZNS1_16scan_by_key_implILNS1_25lookback_scan_determinismE0ELb0ES3_N6thrust23THRUST_200600_302600_NS16reverse_iteratorIPKiEESD_NSA_IPiEEiN6hipcub16HIPCUB_304000_NS3MaxENSH_8EqualityEiEE10hipError_tPvRmT2_T3_T4_T5_mT6_T7_P12ihipStream_tbENKUlT_T0_E_clISt17integral_constantIbLb0EES10_EEDaSV_SW_EUlSV_E_NS1_11comp_targetILNS1_3genE5ELNS1_11target_archE942ELNS1_3gpuE9ELNS1_3repE0EEENS1_30default_config_static_selectorELNS0_4arch9wavefront6targetE1EEEvT1_
	.globl	_ZN7rocprim17ROCPRIM_400000_NS6detail17trampoline_kernelINS0_14default_configENS1_27scan_by_key_config_selectorIiiEEZZNS1_16scan_by_key_implILNS1_25lookback_scan_determinismE0ELb0ES3_N6thrust23THRUST_200600_302600_NS16reverse_iteratorIPKiEESD_NSA_IPiEEiN6hipcub16HIPCUB_304000_NS3MaxENSH_8EqualityEiEE10hipError_tPvRmT2_T3_T4_T5_mT6_T7_P12ihipStream_tbENKUlT_T0_E_clISt17integral_constantIbLb0EES10_EEDaSV_SW_EUlSV_E_NS1_11comp_targetILNS1_3genE5ELNS1_11target_archE942ELNS1_3gpuE9ELNS1_3repE0EEENS1_30default_config_static_selectorELNS0_4arch9wavefront6targetE1EEEvT1_
	.p2align	8
	.type	_ZN7rocprim17ROCPRIM_400000_NS6detail17trampoline_kernelINS0_14default_configENS1_27scan_by_key_config_selectorIiiEEZZNS1_16scan_by_key_implILNS1_25lookback_scan_determinismE0ELb0ES3_N6thrust23THRUST_200600_302600_NS16reverse_iteratorIPKiEESD_NSA_IPiEEiN6hipcub16HIPCUB_304000_NS3MaxENSH_8EqualityEiEE10hipError_tPvRmT2_T3_T4_T5_mT6_T7_P12ihipStream_tbENKUlT_T0_E_clISt17integral_constantIbLb0EES10_EEDaSV_SW_EUlSV_E_NS1_11comp_targetILNS1_3genE5ELNS1_11target_archE942ELNS1_3gpuE9ELNS1_3repE0EEENS1_30default_config_static_selectorELNS0_4arch9wavefront6targetE1EEEvT1_,@function
_ZN7rocprim17ROCPRIM_400000_NS6detail17trampoline_kernelINS0_14default_configENS1_27scan_by_key_config_selectorIiiEEZZNS1_16scan_by_key_implILNS1_25lookback_scan_determinismE0ELb0ES3_N6thrust23THRUST_200600_302600_NS16reverse_iteratorIPKiEESD_NSA_IPiEEiN6hipcub16HIPCUB_304000_NS3MaxENSH_8EqualityEiEE10hipError_tPvRmT2_T3_T4_T5_mT6_T7_P12ihipStream_tbENKUlT_T0_E_clISt17integral_constantIbLb0EES10_EEDaSV_SW_EUlSV_E_NS1_11comp_targetILNS1_3genE5ELNS1_11target_archE942ELNS1_3gpuE9ELNS1_3repE0EEENS1_30default_config_static_selectorELNS0_4arch9wavefront6targetE1EEEvT1_: ; @_ZN7rocprim17ROCPRIM_400000_NS6detail17trampoline_kernelINS0_14default_configENS1_27scan_by_key_config_selectorIiiEEZZNS1_16scan_by_key_implILNS1_25lookback_scan_determinismE0ELb0ES3_N6thrust23THRUST_200600_302600_NS16reverse_iteratorIPKiEESD_NSA_IPiEEiN6hipcub16HIPCUB_304000_NS3MaxENSH_8EqualityEiEE10hipError_tPvRmT2_T3_T4_T5_mT6_T7_P12ihipStream_tbENKUlT_T0_E_clISt17integral_constantIbLb0EES10_EEDaSV_SW_EUlSV_E_NS1_11comp_targetILNS1_3genE5ELNS1_11target_archE942ELNS1_3gpuE9ELNS1_3repE0EEENS1_30default_config_static_selectorELNS0_4arch9wavefront6targetE1EEEvT1_
; %bb.0:
	.section	.rodata,"a",@progbits
	.p2align	6, 0x0
	.amdhsa_kernel _ZN7rocprim17ROCPRIM_400000_NS6detail17trampoline_kernelINS0_14default_configENS1_27scan_by_key_config_selectorIiiEEZZNS1_16scan_by_key_implILNS1_25lookback_scan_determinismE0ELb0ES3_N6thrust23THRUST_200600_302600_NS16reverse_iteratorIPKiEESD_NSA_IPiEEiN6hipcub16HIPCUB_304000_NS3MaxENSH_8EqualityEiEE10hipError_tPvRmT2_T3_T4_T5_mT6_T7_P12ihipStream_tbENKUlT_T0_E_clISt17integral_constantIbLb0EES10_EEDaSV_SW_EUlSV_E_NS1_11comp_targetILNS1_3genE5ELNS1_11target_archE942ELNS1_3gpuE9ELNS1_3repE0EEENS1_30default_config_static_selectorELNS0_4arch9wavefront6targetE1EEEvT1_
		.amdhsa_group_segment_fixed_size 0
		.amdhsa_private_segment_fixed_size 0
		.amdhsa_kernarg_size 112
		.amdhsa_user_sgpr_count 2
		.amdhsa_user_sgpr_dispatch_ptr 0
		.amdhsa_user_sgpr_queue_ptr 0
		.amdhsa_user_sgpr_kernarg_segment_ptr 1
		.amdhsa_user_sgpr_dispatch_id 0
		.amdhsa_user_sgpr_kernarg_preload_length 0
		.amdhsa_user_sgpr_kernarg_preload_offset 0
		.amdhsa_user_sgpr_private_segment_size 0
		.amdhsa_uses_dynamic_stack 0
		.amdhsa_enable_private_segment 0
		.amdhsa_system_sgpr_workgroup_id_x 1
		.amdhsa_system_sgpr_workgroup_id_y 0
		.amdhsa_system_sgpr_workgroup_id_z 0
		.amdhsa_system_sgpr_workgroup_info 0
		.amdhsa_system_vgpr_workitem_id 0
		.amdhsa_next_free_vgpr 1
		.amdhsa_next_free_sgpr 0
		.amdhsa_accum_offset 4
		.amdhsa_reserve_vcc 0
		.amdhsa_float_round_mode_32 0
		.amdhsa_float_round_mode_16_64 0
		.amdhsa_float_denorm_mode_32 3
		.amdhsa_float_denorm_mode_16_64 3
		.amdhsa_dx10_clamp 1
		.amdhsa_ieee_mode 1
		.amdhsa_fp16_overflow 0
		.amdhsa_tg_split 0
		.amdhsa_exception_fp_ieee_invalid_op 0
		.amdhsa_exception_fp_denorm_src 0
		.amdhsa_exception_fp_ieee_div_zero 0
		.amdhsa_exception_fp_ieee_overflow 0
		.amdhsa_exception_fp_ieee_underflow 0
		.amdhsa_exception_fp_ieee_inexact 0
		.amdhsa_exception_int_div_zero 0
	.end_amdhsa_kernel
	.section	.text._ZN7rocprim17ROCPRIM_400000_NS6detail17trampoline_kernelINS0_14default_configENS1_27scan_by_key_config_selectorIiiEEZZNS1_16scan_by_key_implILNS1_25lookback_scan_determinismE0ELb0ES3_N6thrust23THRUST_200600_302600_NS16reverse_iteratorIPKiEESD_NSA_IPiEEiN6hipcub16HIPCUB_304000_NS3MaxENSH_8EqualityEiEE10hipError_tPvRmT2_T3_T4_T5_mT6_T7_P12ihipStream_tbENKUlT_T0_E_clISt17integral_constantIbLb0EES10_EEDaSV_SW_EUlSV_E_NS1_11comp_targetILNS1_3genE5ELNS1_11target_archE942ELNS1_3gpuE9ELNS1_3repE0EEENS1_30default_config_static_selectorELNS0_4arch9wavefront6targetE1EEEvT1_,"axG",@progbits,_ZN7rocprim17ROCPRIM_400000_NS6detail17trampoline_kernelINS0_14default_configENS1_27scan_by_key_config_selectorIiiEEZZNS1_16scan_by_key_implILNS1_25lookback_scan_determinismE0ELb0ES3_N6thrust23THRUST_200600_302600_NS16reverse_iteratorIPKiEESD_NSA_IPiEEiN6hipcub16HIPCUB_304000_NS3MaxENSH_8EqualityEiEE10hipError_tPvRmT2_T3_T4_T5_mT6_T7_P12ihipStream_tbENKUlT_T0_E_clISt17integral_constantIbLb0EES10_EEDaSV_SW_EUlSV_E_NS1_11comp_targetILNS1_3genE5ELNS1_11target_archE942ELNS1_3gpuE9ELNS1_3repE0EEENS1_30default_config_static_selectorELNS0_4arch9wavefront6targetE1EEEvT1_,comdat
.Lfunc_end55:
	.size	_ZN7rocprim17ROCPRIM_400000_NS6detail17trampoline_kernelINS0_14default_configENS1_27scan_by_key_config_selectorIiiEEZZNS1_16scan_by_key_implILNS1_25lookback_scan_determinismE0ELb0ES3_N6thrust23THRUST_200600_302600_NS16reverse_iteratorIPKiEESD_NSA_IPiEEiN6hipcub16HIPCUB_304000_NS3MaxENSH_8EqualityEiEE10hipError_tPvRmT2_T3_T4_T5_mT6_T7_P12ihipStream_tbENKUlT_T0_E_clISt17integral_constantIbLb0EES10_EEDaSV_SW_EUlSV_E_NS1_11comp_targetILNS1_3genE5ELNS1_11target_archE942ELNS1_3gpuE9ELNS1_3repE0EEENS1_30default_config_static_selectorELNS0_4arch9wavefront6targetE1EEEvT1_, .Lfunc_end55-_ZN7rocprim17ROCPRIM_400000_NS6detail17trampoline_kernelINS0_14default_configENS1_27scan_by_key_config_selectorIiiEEZZNS1_16scan_by_key_implILNS1_25lookback_scan_determinismE0ELb0ES3_N6thrust23THRUST_200600_302600_NS16reverse_iteratorIPKiEESD_NSA_IPiEEiN6hipcub16HIPCUB_304000_NS3MaxENSH_8EqualityEiEE10hipError_tPvRmT2_T3_T4_T5_mT6_T7_P12ihipStream_tbENKUlT_T0_E_clISt17integral_constantIbLb0EES10_EEDaSV_SW_EUlSV_E_NS1_11comp_targetILNS1_3genE5ELNS1_11target_archE942ELNS1_3gpuE9ELNS1_3repE0EEENS1_30default_config_static_selectorELNS0_4arch9wavefront6targetE1EEEvT1_
                                        ; -- End function
	.set _ZN7rocprim17ROCPRIM_400000_NS6detail17trampoline_kernelINS0_14default_configENS1_27scan_by_key_config_selectorIiiEEZZNS1_16scan_by_key_implILNS1_25lookback_scan_determinismE0ELb0ES3_N6thrust23THRUST_200600_302600_NS16reverse_iteratorIPKiEESD_NSA_IPiEEiN6hipcub16HIPCUB_304000_NS3MaxENSH_8EqualityEiEE10hipError_tPvRmT2_T3_T4_T5_mT6_T7_P12ihipStream_tbENKUlT_T0_E_clISt17integral_constantIbLb0EES10_EEDaSV_SW_EUlSV_E_NS1_11comp_targetILNS1_3genE5ELNS1_11target_archE942ELNS1_3gpuE9ELNS1_3repE0EEENS1_30default_config_static_selectorELNS0_4arch9wavefront6targetE1EEEvT1_.num_vgpr, 0
	.set _ZN7rocprim17ROCPRIM_400000_NS6detail17trampoline_kernelINS0_14default_configENS1_27scan_by_key_config_selectorIiiEEZZNS1_16scan_by_key_implILNS1_25lookback_scan_determinismE0ELb0ES3_N6thrust23THRUST_200600_302600_NS16reverse_iteratorIPKiEESD_NSA_IPiEEiN6hipcub16HIPCUB_304000_NS3MaxENSH_8EqualityEiEE10hipError_tPvRmT2_T3_T4_T5_mT6_T7_P12ihipStream_tbENKUlT_T0_E_clISt17integral_constantIbLb0EES10_EEDaSV_SW_EUlSV_E_NS1_11comp_targetILNS1_3genE5ELNS1_11target_archE942ELNS1_3gpuE9ELNS1_3repE0EEENS1_30default_config_static_selectorELNS0_4arch9wavefront6targetE1EEEvT1_.num_agpr, 0
	.set _ZN7rocprim17ROCPRIM_400000_NS6detail17trampoline_kernelINS0_14default_configENS1_27scan_by_key_config_selectorIiiEEZZNS1_16scan_by_key_implILNS1_25lookback_scan_determinismE0ELb0ES3_N6thrust23THRUST_200600_302600_NS16reverse_iteratorIPKiEESD_NSA_IPiEEiN6hipcub16HIPCUB_304000_NS3MaxENSH_8EqualityEiEE10hipError_tPvRmT2_T3_T4_T5_mT6_T7_P12ihipStream_tbENKUlT_T0_E_clISt17integral_constantIbLb0EES10_EEDaSV_SW_EUlSV_E_NS1_11comp_targetILNS1_3genE5ELNS1_11target_archE942ELNS1_3gpuE9ELNS1_3repE0EEENS1_30default_config_static_selectorELNS0_4arch9wavefront6targetE1EEEvT1_.numbered_sgpr, 0
	.set _ZN7rocprim17ROCPRIM_400000_NS6detail17trampoline_kernelINS0_14default_configENS1_27scan_by_key_config_selectorIiiEEZZNS1_16scan_by_key_implILNS1_25lookback_scan_determinismE0ELb0ES3_N6thrust23THRUST_200600_302600_NS16reverse_iteratorIPKiEESD_NSA_IPiEEiN6hipcub16HIPCUB_304000_NS3MaxENSH_8EqualityEiEE10hipError_tPvRmT2_T3_T4_T5_mT6_T7_P12ihipStream_tbENKUlT_T0_E_clISt17integral_constantIbLb0EES10_EEDaSV_SW_EUlSV_E_NS1_11comp_targetILNS1_3genE5ELNS1_11target_archE942ELNS1_3gpuE9ELNS1_3repE0EEENS1_30default_config_static_selectorELNS0_4arch9wavefront6targetE1EEEvT1_.num_named_barrier, 0
	.set _ZN7rocprim17ROCPRIM_400000_NS6detail17trampoline_kernelINS0_14default_configENS1_27scan_by_key_config_selectorIiiEEZZNS1_16scan_by_key_implILNS1_25lookback_scan_determinismE0ELb0ES3_N6thrust23THRUST_200600_302600_NS16reverse_iteratorIPKiEESD_NSA_IPiEEiN6hipcub16HIPCUB_304000_NS3MaxENSH_8EqualityEiEE10hipError_tPvRmT2_T3_T4_T5_mT6_T7_P12ihipStream_tbENKUlT_T0_E_clISt17integral_constantIbLb0EES10_EEDaSV_SW_EUlSV_E_NS1_11comp_targetILNS1_3genE5ELNS1_11target_archE942ELNS1_3gpuE9ELNS1_3repE0EEENS1_30default_config_static_selectorELNS0_4arch9wavefront6targetE1EEEvT1_.private_seg_size, 0
	.set _ZN7rocprim17ROCPRIM_400000_NS6detail17trampoline_kernelINS0_14default_configENS1_27scan_by_key_config_selectorIiiEEZZNS1_16scan_by_key_implILNS1_25lookback_scan_determinismE0ELb0ES3_N6thrust23THRUST_200600_302600_NS16reverse_iteratorIPKiEESD_NSA_IPiEEiN6hipcub16HIPCUB_304000_NS3MaxENSH_8EqualityEiEE10hipError_tPvRmT2_T3_T4_T5_mT6_T7_P12ihipStream_tbENKUlT_T0_E_clISt17integral_constantIbLb0EES10_EEDaSV_SW_EUlSV_E_NS1_11comp_targetILNS1_3genE5ELNS1_11target_archE942ELNS1_3gpuE9ELNS1_3repE0EEENS1_30default_config_static_selectorELNS0_4arch9wavefront6targetE1EEEvT1_.uses_vcc, 0
	.set _ZN7rocprim17ROCPRIM_400000_NS6detail17trampoline_kernelINS0_14default_configENS1_27scan_by_key_config_selectorIiiEEZZNS1_16scan_by_key_implILNS1_25lookback_scan_determinismE0ELb0ES3_N6thrust23THRUST_200600_302600_NS16reverse_iteratorIPKiEESD_NSA_IPiEEiN6hipcub16HIPCUB_304000_NS3MaxENSH_8EqualityEiEE10hipError_tPvRmT2_T3_T4_T5_mT6_T7_P12ihipStream_tbENKUlT_T0_E_clISt17integral_constantIbLb0EES10_EEDaSV_SW_EUlSV_E_NS1_11comp_targetILNS1_3genE5ELNS1_11target_archE942ELNS1_3gpuE9ELNS1_3repE0EEENS1_30default_config_static_selectorELNS0_4arch9wavefront6targetE1EEEvT1_.uses_flat_scratch, 0
	.set _ZN7rocprim17ROCPRIM_400000_NS6detail17trampoline_kernelINS0_14default_configENS1_27scan_by_key_config_selectorIiiEEZZNS1_16scan_by_key_implILNS1_25lookback_scan_determinismE0ELb0ES3_N6thrust23THRUST_200600_302600_NS16reverse_iteratorIPKiEESD_NSA_IPiEEiN6hipcub16HIPCUB_304000_NS3MaxENSH_8EqualityEiEE10hipError_tPvRmT2_T3_T4_T5_mT6_T7_P12ihipStream_tbENKUlT_T0_E_clISt17integral_constantIbLb0EES10_EEDaSV_SW_EUlSV_E_NS1_11comp_targetILNS1_3genE5ELNS1_11target_archE942ELNS1_3gpuE9ELNS1_3repE0EEENS1_30default_config_static_selectorELNS0_4arch9wavefront6targetE1EEEvT1_.has_dyn_sized_stack, 0
	.set _ZN7rocprim17ROCPRIM_400000_NS6detail17trampoline_kernelINS0_14default_configENS1_27scan_by_key_config_selectorIiiEEZZNS1_16scan_by_key_implILNS1_25lookback_scan_determinismE0ELb0ES3_N6thrust23THRUST_200600_302600_NS16reverse_iteratorIPKiEESD_NSA_IPiEEiN6hipcub16HIPCUB_304000_NS3MaxENSH_8EqualityEiEE10hipError_tPvRmT2_T3_T4_T5_mT6_T7_P12ihipStream_tbENKUlT_T0_E_clISt17integral_constantIbLb0EES10_EEDaSV_SW_EUlSV_E_NS1_11comp_targetILNS1_3genE5ELNS1_11target_archE942ELNS1_3gpuE9ELNS1_3repE0EEENS1_30default_config_static_selectorELNS0_4arch9wavefront6targetE1EEEvT1_.has_recursion, 0
	.set _ZN7rocprim17ROCPRIM_400000_NS6detail17trampoline_kernelINS0_14default_configENS1_27scan_by_key_config_selectorIiiEEZZNS1_16scan_by_key_implILNS1_25lookback_scan_determinismE0ELb0ES3_N6thrust23THRUST_200600_302600_NS16reverse_iteratorIPKiEESD_NSA_IPiEEiN6hipcub16HIPCUB_304000_NS3MaxENSH_8EqualityEiEE10hipError_tPvRmT2_T3_T4_T5_mT6_T7_P12ihipStream_tbENKUlT_T0_E_clISt17integral_constantIbLb0EES10_EEDaSV_SW_EUlSV_E_NS1_11comp_targetILNS1_3genE5ELNS1_11target_archE942ELNS1_3gpuE9ELNS1_3repE0EEENS1_30default_config_static_selectorELNS0_4arch9wavefront6targetE1EEEvT1_.has_indirect_call, 0
	.section	.AMDGPU.csdata,"",@progbits
; Kernel info:
; codeLenInByte = 0
; TotalNumSgprs: 6
; NumVgprs: 0
; NumAgprs: 0
; TotalNumVgprs: 0
; ScratchSize: 0
; MemoryBound: 0
; FloatMode: 240
; IeeeMode: 1
; LDSByteSize: 0 bytes/workgroup (compile time only)
; SGPRBlocks: 0
; VGPRBlocks: 0
; NumSGPRsForWavesPerEU: 6
; NumVGPRsForWavesPerEU: 1
; AccumOffset: 4
; Occupancy: 8
; WaveLimiterHint : 0
; COMPUTE_PGM_RSRC2:SCRATCH_EN: 0
; COMPUTE_PGM_RSRC2:USER_SGPR: 2
; COMPUTE_PGM_RSRC2:TRAP_HANDLER: 0
; COMPUTE_PGM_RSRC2:TGID_X_EN: 1
; COMPUTE_PGM_RSRC2:TGID_Y_EN: 0
; COMPUTE_PGM_RSRC2:TGID_Z_EN: 0
; COMPUTE_PGM_RSRC2:TIDIG_COMP_CNT: 0
; COMPUTE_PGM_RSRC3_GFX90A:ACCUM_OFFSET: 0
; COMPUTE_PGM_RSRC3_GFX90A:TG_SPLIT: 0
	.section	.text._ZN7rocprim17ROCPRIM_400000_NS6detail17trampoline_kernelINS0_14default_configENS1_27scan_by_key_config_selectorIiiEEZZNS1_16scan_by_key_implILNS1_25lookback_scan_determinismE0ELb0ES3_N6thrust23THRUST_200600_302600_NS16reverse_iteratorIPKiEESD_NSA_IPiEEiN6hipcub16HIPCUB_304000_NS3MaxENSH_8EqualityEiEE10hipError_tPvRmT2_T3_T4_T5_mT6_T7_P12ihipStream_tbENKUlT_T0_E_clISt17integral_constantIbLb0EES10_EEDaSV_SW_EUlSV_E_NS1_11comp_targetILNS1_3genE4ELNS1_11target_archE910ELNS1_3gpuE8ELNS1_3repE0EEENS1_30default_config_static_selectorELNS0_4arch9wavefront6targetE1EEEvT1_,"axG",@progbits,_ZN7rocprim17ROCPRIM_400000_NS6detail17trampoline_kernelINS0_14default_configENS1_27scan_by_key_config_selectorIiiEEZZNS1_16scan_by_key_implILNS1_25lookback_scan_determinismE0ELb0ES3_N6thrust23THRUST_200600_302600_NS16reverse_iteratorIPKiEESD_NSA_IPiEEiN6hipcub16HIPCUB_304000_NS3MaxENSH_8EqualityEiEE10hipError_tPvRmT2_T3_T4_T5_mT6_T7_P12ihipStream_tbENKUlT_T0_E_clISt17integral_constantIbLb0EES10_EEDaSV_SW_EUlSV_E_NS1_11comp_targetILNS1_3genE4ELNS1_11target_archE910ELNS1_3gpuE8ELNS1_3repE0EEENS1_30default_config_static_selectorELNS0_4arch9wavefront6targetE1EEEvT1_,comdat
	.protected	_ZN7rocprim17ROCPRIM_400000_NS6detail17trampoline_kernelINS0_14default_configENS1_27scan_by_key_config_selectorIiiEEZZNS1_16scan_by_key_implILNS1_25lookback_scan_determinismE0ELb0ES3_N6thrust23THRUST_200600_302600_NS16reverse_iteratorIPKiEESD_NSA_IPiEEiN6hipcub16HIPCUB_304000_NS3MaxENSH_8EqualityEiEE10hipError_tPvRmT2_T3_T4_T5_mT6_T7_P12ihipStream_tbENKUlT_T0_E_clISt17integral_constantIbLb0EES10_EEDaSV_SW_EUlSV_E_NS1_11comp_targetILNS1_3genE4ELNS1_11target_archE910ELNS1_3gpuE8ELNS1_3repE0EEENS1_30default_config_static_selectorELNS0_4arch9wavefront6targetE1EEEvT1_ ; -- Begin function _ZN7rocprim17ROCPRIM_400000_NS6detail17trampoline_kernelINS0_14default_configENS1_27scan_by_key_config_selectorIiiEEZZNS1_16scan_by_key_implILNS1_25lookback_scan_determinismE0ELb0ES3_N6thrust23THRUST_200600_302600_NS16reverse_iteratorIPKiEESD_NSA_IPiEEiN6hipcub16HIPCUB_304000_NS3MaxENSH_8EqualityEiEE10hipError_tPvRmT2_T3_T4_T5_mT6_T7_P12ihipStream_tbENKUlT_T0_E_clISt17integral_constantIbLb0EES10_EEDaSV_SW_EUlSV_E_NS1_11comp_targetILNS1_3genE4ELNS1_11target_archE910ELNS1_3gpuE8ELNS1_3repE0EEENS1_30default_config_static_selectorELNS0_4arch9wavefront6targetE1EEEvT1_
	.globl	_ZN7rocprim17ROCPRIM_400000_NS6detail17trampoline_kernelINS0_14default_configENS1_27scan_by_key_config_selectorIiiEEZZNS1_16scan_by_key_implILNS1_25lookback_scan_determinismE0ELb0ES3_N6thrust23THRUST_200600_302600_NS16reverse_iteratorIPKiEESD_NSA_IPiEEiN6hipcub16HIPCUB_304000_NS3MaxENSH_8EqualityEiEE10hipError_tPvRmT2_T3_T4_T5_mT6_T7_P12ihipStream_tbENKUlT_T0_E_clISt17integral_constantIbLb0EES10_EEDaSV_SW_EUlSV_E_NS1_11comp_targetILNS1_3genE4ELNS1_11target_archE910ELNS1_3gpuE8ELNS1_3repE0EEENS1_30default_config_static_selectorELNS0_4arch9wavefront6targetE1EEEvT1_
	.p2align	8
	.type	_ZN7rocprim17ROCPRIM_400000_NS6detail17trampoline_kernelINS0_14default_configENS1_27scan_by_key_config_selectorIiiEEZZNS1_16scan_by_key_implILNS1_25lookback_scan_determinismE0ELb0ES3_N6thrust23THRUST_200600_302600_NS16reverse_iteratorIPKiEESD_NSA_IPiEEiN6hipcub16HIPCUB_304000_NS3MaxENSH_8EqualityEiEE10hipError_tPvRmT2_T3_T4_T5_mT6_T7_P12ihipStream_tbENKUlT_T0_E_clISt17integral_constantIbLb0EES10_EEDaSV_SW_EUlSV_E_NS1_11comp_targetILNS1_3genE4ELNS1_11target_archE910ELNS1_3gpuE8ELNS1_3repE0EEENS1_30default_config_static_selectorELNS0_4arch9wavefront6targetE1EEEvT1_,@function
_ZN7rocprim17ROCPRIM_400000_NS6detail17trampoline_kernelINS0_14default_configENS1_27scan_by_key_config_selectorIiiEEZZNS1_16scan_by_key_implILNS1_25lookback_scan_determinismE0ELb0ES3_N6thrust23THRUST_200600_302600_NS16reverse_iteratorIPKiEESD_NSA_IPiEEiN6hipcub16HIPCUB_304000_NS3MaxENSH_8EqualityEiEE10hipError_tPvRmT2_T3_T4_T5_mT6_T7_P12ihipStream_tbENKUlT_T0_E_clISt17integral_constantIbLb0EES10_EEDaSV_SW_EUlSV_E_NS1_11comp_targetILNS1_3genE4ELNS1_11target_archE910ELNS1_3gpuE8ELNS1_3repE0EEENS1_30default_config_static_selectorELNS0_4arch9wavefront6targetE1EEEvT1_: ; @_ZN7rocprim17ROCPRIM_400000_NS6detail17trampoline_kernelINS0_14default_configENS1_27scan_by_key_config_selectorIiiEEZZNS1_16scan_by_key_implILNS1_25lookback_scan_determinismE0ELb0ES3_N6thrust23THRUST_200600_302600_NS16reverse_iteratorIPKiEESD_NSA_IPiEEiN6hipcub16HIPCUB_304000_NS3MaxENSH_8EqualityEiEE10hipError_tPvRmT2_T3_T4_T5_mT6_T7_P12ihipStream_tbENKUlT_T0_E_clISt17integral_constantIbLb0EES10_EEDaSV_SW_EUlSV_E_NS1_11comp_targetILNS1_3genE4ELNS1_11target_archE910ELNS1_3gpuE8ELNS1_3repE0EEENS1_30default_config_static_selectorELNS0_4arch9wavefront6targetE1EEEvT1_
; %bb.0:
	.section	.rodata,"a",@progbits
	.p2align	6, 0x0
	.amdhsa_kernel _ZN7rocprim17ROCPRIM_400000_NS6detail17trampoline_kernelINS0_14default_configENS1_27scan_by_key_config_selectorIiiEEZZNS1_16scan_by_key_implILNS1_25lookback_scan_determinismE0ELb0ES3_N6thrust23THRUST_200600_302600_NS16reverse_iteratorIPKiEESD_NSA_IPiEEiN6hipcub16HIPCUB_304000_NS3MaxENSH_8EqualityEiEE10hipError_tPvRmT2_T3_T4_T5_mT6_T7_P12ihipStream_tbENKUlT_T0_E_clISt17integral_constantIbLb0EES10_EEDaSV_SW_EUlSV_E_NS1_11comp_targetILNS1_3genE4ELNS1_11target_archE910ELNS1_3gpuE8ELNS1_3repE0EEENS1_30default_config_static_selectorELNS0_4arch9wavefront6targetE1EEEvT1_
		.amdhsa_group_segment_fixed_size 0
		.amdhsa_private_segment_fixed_size 0
		.amdhsa_kernarg_size 112
		.amdhsa_user_sgpr_count 2
		.amdhsa_user_sgpr_dispatch_ptr 0
		.amdhsa_user_sgpr_queue_ptr 0
		.amdhsa_user_sgpr_kernarg_segment_ptr 1
		.amdhsa_user_sgpr_dispatch_id 0
		.amdhsa_user_sgpr_kernarg_preload_length 0
		.amdhsa_user_sgpr_kernarg_preload_offset 0
		.amdhsa_user_sgpr_private_segment_size 0
		.amdhsa_uses_dynamic_stack 0
		.amdhsa_enable_private_segment 0
		.amdhsa_system_sgpr_workgroup_id_x 1
		.amdhsa_system_sgpr_workgroup_id_y 0
		.amdhsa_system_sgpr_workgroup_id_z 0
		.amdhsa_system_sgpr_workgroup_info 0
		.amdhsa_system_vgpr_workitem_id 0
		.amdhsa_next_free_vgpr 1
		.amdhsa_next_free_sgpr 0
		.amdhsa_accum_offset 4
		.amdhsa_reserve_vcc 0
		.amdhsa_float_round_mode_32 0
		.amdhsa_float_round_mode_16_64 0
		.amdhsa_float_denorm_mode_32 3
		.amdhsa_float_denorm_mode_16_64 3
		.amdhsa_dx10_clamp 1
		.amdhsa_ieee_mode 1
		.amdhsa_fp16_overflow 0
		.amdhsa_tg_split 0
		.amdhsa_exception_fp_ieee_invalid_op 0
		.amdhsa_exception_fp_denorm_src 0
		.amdhsa_exception_fp_ieee_div_zero 0
		.amdhsa_exception_fp_ieee_overflow 0
		.amdhsa_exception_fp_ieee_underflow 0
		.amdhsa_exception_fp_ieee_inexact 0
		.amdhsa_exception_int_div_zero 0
	.end_amdhsa_kernel
	.section	.text._ZN7rocprim17ROCPRIM_400000_NS6detail17trampoline_kernelINS0_14default_configENS1_27scan_by_key_config_selectorIiiEEZZNS1_16scan_by_key_implILNS1_25lookback_scan_determinismE0ELb0ES3_N6thrust23THRUST_200600_302600_NS16reverse_iteratorIPKiEESD_NSA_IPiEEiN6hipcub16HIPCUB_304000_NS3MaxENSH_8EqualityEiEE10hipError_tPvRmT2_T3_T4_T5_mT6_T7_P12ihipStream_tbENKUlT_T0_E_clISt17integral_constantIbLb0EES10_EEDaSV_SW_EUlSV_E_NS1_11comp_targetILNS1_3genE4ELNS1_11target_archE910ELNS1_3gpuE8ELNS1_3repE0EEENS1_30default_config_static_selectorELNS0_4arch9wavefront6targetE1EEEvT1_,"axG",@progbits,_ZN7rocprim17ROCPRIM_400000_NS6detail17trampoline_kernelINS0_14default_configENS1_27scan_by_key_config_selectorIiiEEZZNS1_16scan_by_key_implILNS1_25lookback_scan_determinismE0ELb0ES3_N6thrust23THRUST_200600_302600_NS16reverse_iteratorIPKiEESD_NSA_IPiEEiN6hipcub16HIPCUB_304000_NS3MaxENSH_8EqualityEiEE10hipError_tPvRmT2_T3_T4_T5_mT6_T7_P12ihipStream_tbENKUlT_T0_E_clISt17integral_constantIbLb0EES10_EEDaSV_SW_EUlSV_E_NS1_11comp_targetILNS1_3genE4ELNS1_11target_archE910ELNS1_3gpuE8ELNS1_3repE0EEENS1_30default_config_static_selectorELNS0_4arch9wavefront6targetE1EEEvT1_,comdat
.Lfunc_end56:
	.size	_ZN7rocprim17ROCPRIM_400000_NS6detail17trampoline_kernelINS0_14default_configENS1_27scan_by_key_config_selectorIiiEEZZNS1_16scan_by_key_implILNS1_25lookback_scan_determinismE0ELb0ES3_N6thrust23THRUST_200600_302600_NS16reverse_iteratorIPKiEESD_NSA_IPiEEiN6hipcub16HIPCUB_304000_NS3MaxENSH_8EqualityEiEE10hipError_tPvRmT2_T3_T4_T5_mT6_T7_P12ihipStream_tbENKUlT_T0_E_clISt17integral_constantIbLb0EES10_EEDaSV_SW_EUlSV_E_NS1_11comp_targetILNS1_3genE4ELNS1_11target_archE910ELNS1_3gpuE8ELNS1_3repE0EEENS1_30default_config_static_selectorELNS0_4arch9wavefront6targetE1EEEvT1_, .Lfunc_end56-_ZN7rocprim17ROCPRIM_400000_NS6detail17trampoline_kernelINS0_14default_configENS1_27scan_by_key_config_selectorIiiEEZZNS1_16scan_by_key_implILNS1_25lookback_scan_determinismE0ELb0ES3_N6thrust23THRUST_200600_302600_NS16reverse_iteratorIPKiEESD_NSA_IPiEEiN6hipcub16HIPCUB_304000_NS3MaxENSH_8EqualityEiEE10hipError_tPvRmT2_T3_T4_T5_mT6_T7_P12ihipStream_tbENKUlT_T0_E_clISt17integral_constantIbLb0EES10_EEDaSV_SW_EUlSV_E_NS1_11comp_targetILNS1_3genE4ELNS1_11target_archE910ELNS1_3gpuE8ELNS1_3repE0EEENS1_30default_config_static_selectorELNS0_4arch9wavefront6targetE1EEEvT1_
                                        ; -- End function
	.set _ZN7rocprim17ROCPRIM_400000_NS6detail17trampoline_kernelINS0_14default_configENS1_27scan_by_key_config_selectorIiiEEZZNS1_16scan_by_key_implILNS1_25lookback_scan_determinismE0ELb0ES3_N6thrust23THRUST_200600_302600_NS16reverse_iteratorIPKiEESD_NSA_IPiEEiN6hipcub16HIPCUB_304000_NS3MaxENSH_8EqualityEiEE10hipError_tPvRmT2_T3_T4_T5_mT6_T7_P12ihipStream_tbENKUlT_T0_E_clISt17integral_constantIbLb0EES10_EEDaSV_SW_EUlSV_E_NS1_11comp_targetILNS1_3genE4ELNS1_11target_archE910ELNS1_3gpuE8ELNS1_3repE0EEENS1_30default_config_static_selectorELNS0_4arch9wavefront6targetE1EEEvT1_.num_vgpr, 0
	.set _ZN7rocprim17ROCPRIM_400000_NS6detail17trampoline_kernelINS0_14default_configENS1_27scan_by_key_config_selectorIiiEEZZNS1_16scan_by_key_implILNS1_25lookback_scan_determinismE0ELb0ES3_N6thrust23THRUST_200600_302600_NS16reverse_iteratorIPKiEESD_NSA_IPiEEiN6hipcub16HIPCUB_304000_NS3MaxENSH_8EqualityEiEE10hipError_tPvRmT2_T3_T4_T5_mT6_T7_P12ihipStream_tbENKUlT_T0_E_clISt17integral_constantIbLb0EES10_EEDaSV_SW_EUlSV_E_NS1_11comp_targetILNS1_3genE4ELNS1_11target_archE910ELNS1_3gpuE8ELNS1_3repE0EEENS1_30default_config_static_selectorELNS0_4arch9wavefront6targetE1EEEvT1_.num_agpr, 0
	.set _ZN7rocprim17ROCPRIM_400000_NS6detail17trampoline_kernelINS0_14default_configENS1_27scan_by_key_config_selectorIiiEEZZNS1_16scan_by_key_implILNS1_25lookback_scan_determinismE0ELb0ES3_N6thrust23THRUST_200600_302600_NS16reverse_iteratorIPKiEESD_NSA_IPiEEiN6hipcub16HIPCUB_304000_NS3MaxENSH_8EqualityEiEE10hipError_tPvRmT2_T3_T4_T5_mT6_T7_P12ihipStream_tbENKUlT_T0_E_clISt17integral_constantIbLb0EES10_EEDaSV_SW_EUlSV_E_NS1_11comp_targetILNS1_3genE4ELNS1_11target_archE910ELNS1_3gpuE8ELNS1_3repE0EEENS1_30default_config_static_selectorELNS0_4arch9wavefront6targetE1EEEvT1_.numbered_sgpr, 0
	.set _ZN7rocprim17ROCPRIM_400000_NS6detail17trampoline_kernelINS0_14default_configENS1_27scan_by_key_config_selectorIiiEEZZNS1_16scan_by_key_implILNS1_25lookback_scan_determinismE0ELb0ES3_N6thrust23THRUST_200600_302600_NS16reverse_iteratorIPKiEESD_NSA_IPiEEiN6hipcub16HIPCUB_304000_NS3MaxENSH_8EqualityEiEE10hipError_tPvRmT2_T3_T4_T5_mT6_T7_P12ihipStream_tbENKUlT_T0_E_clISt17integral_constantIbLb0EES10_EEDaSV_SW_EUlSV_E_NS1_11comp_targetILNS1_3genE4ELNS1_11target_archE910ELNS1_3gpuE8ELNS1_3repE0EEENS1_30default_config_static_selectorELNS0_4arch9wavefront6targetE1EEEvT1_.num_named_barrier, 0
	.set _ZN7rocprim17ROCPRIM_400000_NS6detail17trampoline_kernelINS0_14default_configENS1_27scan_by_key_config_selectorIiiEEZZNS1_16scan_by_key_implILNS1_25lookback_scan_determinismE0ELb0ES3_N6thrust23THRUST_200600_302600_NS16reverse_iteratorIPKiEESD_NSA_IPiEEiN6hipcub16HIPCUB_304000_NS3MaxENSH_8EqualityEiEE10hipError_tPvRmT2_T3_T4_T5_mT6_T7_P12ihipStream_tbENKUlT_T0_E_clISt17integral_constantIbLb0EES10_EEDaSV_SW_EUlSV_E_NS1_11comp_targetILNS1_3genE4ELNS1_11target_archE910ELNS1_3gpuE8ELNS1_3repE0EEENS1_30default_config_static_selectorELNS0_4arch9wavefront6targetE1EEEvT1_.private_seg_size, 0
	.set _ZN7rocprim17ROCPRIM_400000_NS6detail17trampoline_kernelINS0_14default_configENS1_27scan_by_key_config_selectorIiiEEZZNS1_16scan_by_key_implILNS1_25lookback_scan_determinismE0ELb0ES3_N6thrust23THRUST_200600_302600_NS16reverse_iteratorIPKiEESD_NSA_IPiEEiN6hipcub16HIPCUB_304000_NS3MaxENSH_8EqualityEiEE10hipError_tPvRmT2_T3_T4_T5_mT6_T7_P12ihipStream_tbENKUlT_T0_E_clISt17integral_constantIbLb0EES10_EEDaSV_SW_EUlSV_E_NS1_11comp_targetILNS1_3genE4ELNS1_11target_archE910ELNS1_3gpuE8ELNS1_3repE0EEENS1_30default_config_static_selectorELNS0_4arch9wavefront6targetE1EEEvT1_.uses_vcc, 0
	.set _ZN7rocprim17ROCPRIM_400000_NS6detail17trampoline_kernelINS0_14default_configENS1_27scan_by_key_config_selectorIiiEEZZNS1_16scan_by_key_implILNS1_25lookback_scan_determinismE0ELb0ES3_N6thrust23THRUST_200600_302600_NS16reverse_iteratorIPKiEESD_NSA_IPiEEiN6hipcub16HIPCUB_304000_NS3MaxENSH_8EqualityEiEE10hipError_tPvRmT2_T3_T4_T5_mT6_T7_P12ihipStream_tbENKUlT_T0_E_clISt17integral_constantIbLb0EES10_EEDaSV_SW_EUlSV_E_NS1_11comp_targetILNS1_3genE4ELNS1_11target_archE910ELNS1_3gpuE8ELNS1_3repE0EEENS1_30default_config_static_selectorELNS0_4arch9wavefront6targetE1EEEvT1_.uses_flat_scratch, 0
	.set _ZN7rocprim17ROCPRIM_400000_NS6detail17trampoline_kernelINS0_14default_configENS1_27scan_by_key_config_selectorIiiEEZZNS1_16scan_by_key_implILNS1_25lookback_scan_determinismE0ELb0ES3_N6thrust23THRUST_200600_302600_NS16reverse_iteratorIPKiEESD_NSA_IPiEEiN6hipcub16HIPCUB_304000_NS3MaxENSH_8EqualityEiEE10hipError_tPvRmT2_T3_T4_T5_mT6_T7_P12ihipStream_tbENKUlT_T0_E_clISt17integral_constantIbLb0EES10_EEDaSV_SW_EUlSV_E_NS1_11comp_targetILNS1_3genE4ELNS1_11target_archE910ELNS1_3gpuE8ELNS1_3repE0EEENS1_30default_config_static_selectorELNS0_4arch9wavefront6targetE1EEEvT1_.has_dyn_sized_stack, 0
	.set _ZN7rocprim17ROCPRIM_400000_NS6detail17trampoline_kernelINS0_14default_configENS1_27scan_by_key_config_selectorIiiEEZZNS1_16scan_by_key_implILNS1_25lookback_scan_determinismE0ELb0ES3_N6thrust23THRUST_200600_302600_NS16reverse_iteratorIPKiEESD_NSA_IPiEEiN6hipcub16HIPCUB_304000_NS3MaxENSH_8EqualityEiEE10hipError_tPvRmT2_T3_T4_T5_mT6_T7_P12ihipStream_tbENKUlT_T0_E_clISt17integral_constantIbLb0EES10_EEDaSV_SW_EUlSV_E_NS1_11comp_targetILNS1_3genE4ELNS1_11target_archE910ELNS1_3gpuE8ELNS1_3repE0EEENS1_30default_config_static_selectorELNS0_4arch9wavefront6targetE1EEEvT1_.has_recursion, 0
	.set _ZN7rocprim17ROCPRIM_400000_NS6detail17trampoline_kernelINS0_14default_configENS1_27scan_by_key_config_selectorIiiEEZZNS1_16scan_by_key_implILNS1_25lookback_scan_determinismE0ELb0ES3_N6thrust23THRUST_200600_302600_NS16reverse_iteratorIPKiEESD_NSA_IPiEEiN6hipcub16HIPCUB_304000_NS3MaxENSH_8EqualityEiEE10hipError_tPvRmT2_T3_T4_T5_mT6_T7_P12ihipStream_tbENKUlT_T0_E_clISt17integral_constantIbLb0EES10_EEDaSV_SW_EUlSV_E_NS1_11comp_targetILNS1_3genE4ELNS1_11target_archE910ELNS1_3gpuE8ELNS1_3repE0EEENS1_30default_config_static_selectorELNS0_4arch9wavefront6targetE1EEEvT1_.has_indirect_call, 0
	.section	.AMDGPU.csdata,"",@progbits
; Kernel info:
; codeLenInByte = 0
; TotalNumSgprs: 6
; NumVgprs: 0
; NumAgprs: 0
; TotalNumVgprs: 0
; ScratchSize: 0
; MemoryBound: 0
; FloatMode: 240
; IeeeMode: 1
; LDSByteSize: 0 bytes/workgroup (compile time only)
; SGPRBlocks: 0
; VGPRBlocks: 0
; NumSGPRsForWavesPerEU: 6
; NumVGPRsForWavesPerEU: 1
; AccumOffset: 4
; Occupancy: 8
; WaveLimiterHint : 0
; COMPUTE_PGM_RSRC2:SCRATCH_EN: 0
; COMPUTE_PGM_RSRC2:USER_SGPR: 2
; COMPUTE_PGM_RSRC2:TRAP_HANDLER: 0
; COMPUTE_PGM_RSRC2:TGID_X_EN: 1
; COMPUTE_PGM_RSRC2:TGID_Y_EN: 0
; COMPUTE_PGM_RSRC2:TGID_Z_EN: 0
; COMPUTE_PGM_RSRC2:TIDIG_COMP_CNT: 0
; COMPUTE_PGM_RSRC3_GFX90A:ACCUM_OFFSET: 0
; COMPUTE_PGM_RSRC3_GFX90A:TG_SPLIT: 0
	.section	.text._ZN7rocprim17ROCPRIM_400000_NS6detail17trampoline_kernelINS0_14default_configENS1_27scan_by_key_config_selectorIiiEEZZNS1_16scan_by_key_implILNS1_25lookback_scan_determinismE0ELb0ES3_N6thrust23THRUST_200600_302600_NS16reverse_iteratorIPKiEESD_NSA_IPiEEiN6hipcub16HIPCUB_304000_NS3MaxENSH_8EqualityEiEE10hipError_tPvRmT2_T3_T4_T5_mT6_T7_P12ihipStream_tbENKUlT_T0_E_clISt17integral_constantIbLb0EES10_EEDaSV_SW_EUlSV_E_NS1_11comp_targetILNS1_3genE3ELNS1_11target_archE908ELNS1_3gpuE7ELNS1_3repE0EEENS1_30default_config_static_selectorELNS0_4arch9wavefront6targetE1EEEvT1_,"axG",@progbits,_ZN7rocprim17ROCPRIM_400000_NS6detail17trampoline_kernelINS0_14default_configENS1_27scan_by_key_config_selectorIiiEEZZNS1_16scan_by_key_implILNS1_25lookback_scan_determinismE0ELb0ES3_N6thrust23THRUST_200600_302600_NS16reverse_iteratorIPKiEESD_NSA_IPiEEiN6hipcub16HIPCUB_304000_NS3MaxENSH_8EqualityEiEE10hipError_tPvRmT2_T3_T4_T5_mT6_T7_P12ihipStream_tbENKUlT_T0_E_clISt17integral_constantIbLb0EES10_EEDaSV_SW_EUlSV_E_NS1_11comp_targetILNS1_3genE3ELNS1_11target_archE908ELNS1_3gpuE7ELNS1_3repE0EEENS1_30default_config_static_selectorELNS0_4arch9wavefront6targetE1EEEvT1_,comdat
	.protected	_ZN7rocprim17ROCPRIM_400000_NS6detail17trampoline_kernelINS0_14default_configENS1_27scan_by_key_config_selectorIiiEEZZNS1_16scan_by_key_implILNS1_25lookback_scan_determinismE0ELb0ES3_N6thrust23THRUST_200600_302600_NS16reverse_iteratorIPKiEESD_NSA_IPiEEiN6hipcub16HIPCUB_304000_NS3MaxENSH_8EqualityEiEE10hipError_tPvRmT2_T3_T4_T5_mT6_T7_P12ihipStream_tbENKUlT_T0_E_clISt17integral_constantIbLb0EES10_EEDaSV_SW_EUlSV_E_NS1_11comp_targetILNS1_3genE3ELNS1_11target_archE908ELNS1_3gpuE7ELNS1_3repE0EEENS1_30default_config_static_selectorELNS0_4arch9wavefront6targetE1EEEvT1_ ; -- Begin function _ZN7rocprim17ROCPRIM_400000_NS6detail17trampoline_kernelINS0_14default_configENS1_27scan_by_key_config_selectorIiiEEZZNS1_16scan_by_key_implILNS1_25lookback_scan_determinismE0ELb0ES3_N6thrust23THRUST_200600_302600_NS16reverse_iteratorIPKiEESD_NSA_IPiEEiN6hipcub16HIPCUB_304000_NS3MaxENSH_8EqualityEiEE10hipError_tPvRmT2_T3_T4_T5_mT6_T7_P12ihipStream_tbENKUlT_T0_E_clISt17integral_constantIbLb0EES10_EEDaSV_SW_EUlSV_E_NS1_11comp_targetILNS1_3genE3ELNS1_11target_archE908ELNS1_3gpuE7ELNS1_3repE0EEENS1_30default_config_static_selectorELNS0_4arch9wavefront6targetE1EEEvT1_
	.globl	_ZN7rocprim17ROCPRIM_400000_NS6detail17trampoline_kernelINS0_14default_configENS1_27scan_by_key_config_selectorIiiEEZZNS1_16scan_by_key_implILNS1_25lookback_scan_determinismE0ELb0ES3_N6thrust23THRUST_200600_302600_NS16reverse_iteratorIPKiEESD_NSA_IPiEEiN6hipcub16HIPCUB_304000_NS3MaxENSH_8EqualityEiEE10hipError_tPvRmT2_T3_T4_T5_mT6_T7_P12ihipStream_tbENKUlT_T0_E_clISt17integral_constantIbLb0EES10_EEDaSV_SW_EUlSV_E_NS1_11comp_targetILNS1_3genE3ELNS1_11target_archE908ELNS1_3gpuE7ELNS1_3repE0EEENS1_30default_config_static_selectorELNS0_4arch9wavefront6targetE1EEEvT1_
	.p2align	8
	.type	_ZN7rocprim17ROCPRIM_400000_NS6detail17trampoline_kernelINS0_14default_configENS1_27scan_by_key_config_selectorIiiEEZZNS1_16scan_by_key_implILNS1_25lookback_scan_determinismE0ELb0ES3_N6thrust23THRUST_200600_302600_NS16reverse_iteratorIPKiEESD_NSA_IPiEEiN6hipcub16HIPCUB_304000_NS3MaxENSH_8EqualityEiEE10hipError_tPvRmT2_T3_T4_T5_mT6_T7_P12ihipStream_tbENKUlT_T0_E_clISt17integral_constantIbLb0EES10_EEDaSV_SW_EUlSV_E_NS1_11comp_targetILNS1_3genE3ELNS1_11target_archE908ELNS1_3gpuE7ELNS1_3repE0EEENS1_30default_config_static_selectorELNS0_4arch9wavefront6targetE1EEEvT1_,@function
_ZN7rocprim17ROCPRIM_400000_NS6detail17trampoline_kernelINS0_14default_configENS1_27scan_by_key_config_selectorIiiEEZZNS1_16scan_by_key_implILNS1_25lookback_scan_determinismE0ELb0ES3_N6thrust23THRUST_200600_302600_NS16reverse_iteratorIPKiEESD_NSA_IPiEEiN6hipcub16HIPCUB_304000_NS3MaxENSH_8EqualityEiEE10hipError_tPvRmT2_T3_T4_T5_mT6_T7_P12ihipStream_tbENKUlT_T0_E_clISt17integral_constantIbLb0EES10_EEDaSV_SW_EUlSV_E_NS1_11comp_targetILNS1_3genE3ELNS1_11target_archE908ELNS1_3gpuE7ELNS1_3repE0EEENS1_30default_config_static_selectorELNS0_4arch9wavefront6targetE1EEEvT1_: ; @_ZN7rocprim17ROCPRIM_400000_NS6detail17trampoline_kernelINS0_14default_configENS1_27scan_by_key_config_selectorIiiEEZZNS1_16scan_by_key_implILNS1_25lookback_scan_determinismE0ELb0ES3_N6thrust23THRUST_200600_302600_NS16reverse_iteratorIPKiEESD_NSA_IPiEEiN6hipcub16HIPCUB_304000_NS3MaxENSH_8EqualityEiEE10hipError_tPvRmT2_T3_T4_T5_mT6_T7_P12ihipStream_tbENKUlT_T0_E_clISt17integral_constantIbLb0EES10_EEDaSV_SW_EUlSV_E_NS1_11comp_targetILNS1_3genE3ELNS1_11target_archE908ELNS1_3gpuE7ELNS1_3repE0EEENS1_30default_config_static_selectorELNS0_4arch9wavefront6targetE1EEEvT1_
; %bb.0:
	.section	.rodata,"a",@progbits
	.p2align	6, 0x0
	.amdhsa_kernel _ZN7rocprim17ROCPRIM_400000_NS6detail17trampoline_kernelINS0_14default_configENS1_27scan_by_key_config_selectorIiiEEZZNS1_16scan_by_key_implILNS1_25lookback_scan_determinismE0ELb0ES3_N6thrust23THRUST_200600_302600_NS16reverse_iteratorIPKiEESD_NSA_IPiEEiN6hipcub16HIPCUB_304000_NS3MaxENSH_8EqualityEiEE10hipError_tPvRmT2_T3_T4_T5_mT6_T7_P12ihipStream_tbENKUlT_T0_E_clISt17integral_constantIbLb0EES10_EEDaSV_SW_EUlSV_E_NS1_11comp_targetILNS1_3genE3ELNS1_11target_archE908ELNS1_3gpuE7ELNS1_3repE0EEENS1_30default_config_static_selectorELNS0_4arch9wavefront6targetE1EEEvT1_
		.amdhsa_group_segment_fixed_size 0
		.amdhsa_private_segment_fixed_size 0
		.amdhsa_kernarg_size 112
		.amdhsa_user_sgpr_count 2
		.amdhsa_user_sgpr_dispatch_ptr 0
		.amdhsa_user_sgpr_queue_ptr 0
		.amdhsa_user_sgpr_kernarg_segment_ptr 1
		.amdhsa_user_sgpr_dispatch_id 0
		.amdhsa_user_sgpr_kernarg_preload_length 0
		.amdhsa_user_sgpr_kernarg_preload_offset 0
		.amdhsa_user_sgpr_private_segment_size 0
		.amdhsa_uses_dynamic_stack 0
		.amdhsa_enable_private_segment 0
		.amdhsa_system_sgpr_workgroup_id_x 1
		.amdhsa_system_sgpr_workgroup_id_y 0
		.amdhsa_system_sgpr_workgroup_id_z 0
		.amdhsa_system_sgpr_workgroup_info 0
		.amdhsa_system_vgpr_workitem_id 0
		.amdhsa_next_free_vgpr 1
		.amdhsa_next_free_sgpr 0
		.amdhsa_accum_offset 4
		.amdhsa_reserve_vcc 0
		.amdhsa_float_round_mode_32 0
		.amdhsa_float_round_mode_16_64 0
		.amdhsa_float_denorm_mode_32 3
		.amdhsa_float_denorm_mode_16_64 3
		.amdhsa_dx10_clamp 1
		.amdhsa_ieee_mode 1
		.amdhsa_fp16_overflow 0
		.amdhsa_tg_split 0
		.amdhsa_exception_fp_ieee_invalid_op 0
		.amdhsa_exception_fp_denorm_src 0
		.amdhsa_exception_fp_ieee_div_zero 0
		.amdhsa_exception_fp_ieee_overflow 0
		.amdhsa_exception_fp_ieee_underflow 0
		.amdhsa_exception_fp_ieee_inexact 0
		.amdhsa_exception_int_div_zero 0
	.end_amdhsa_kernel
	.section	.text._ZN7rocprim17ROCPRIM_400000_NS6detail17trampoline_kernelINS0_14default_configENS1_27scan_by_key_config_selectorIiiEEZZNS1_16scan_by_key_implILNS1_25lookback_scan_determinismE0ELb0ES3_N6thrust23THRUST_200600_302600_NS16reverse_iteratorIPKiEESD_NSA_IPiEEiN6hipcub16HIPCUB_304000_NS3MaxENSH_8EqualityEiEE10hipError_tPvRmT2_T3_T4_T5_mT6_T7_P12ihipStream_tbENKUlT_T0_E_clISt17integral_constantIbLb0EES10_EEDaSV_SW_EUlSV_E_NS1_11comp_targetILNS1_3genE3ELNS1_11target_archE908ELNS1_3gpuE7ELNS1_3repE0EEENS1_30default_config_static_selectorELNS0_4arch9wavefront6targetE1EEEvT1_,"axG",@progbits,_ZN7rocprim17ROCPRIM_400000_NS6detail17trampoline_kernelINS0_14default_configENS1_27scan_by_key_config_selectorIiiEEZZNS1_16scan_by_key_implILNS1_25lookback_scan_determinismE0ELb0ES3_N6thrust23THRUST_200600_302600_NS16reverse_iteratorIPKiEESD_NSA_IPiEEiN6hipcub16HIPCUB_304000_NS3MaxENSH_8EqualityEiEE10hipError_tPvRmT2_T3_T4_T5_mT6_T7_P12ihipStream_tbENKUlT_T0_E_clISt17integral_constantIbLb0EES10_EEDaSV_SW_EUlSV_E_NS1_11comp_targetILNS1_3genE3ELNS1_11target_archE908ELNS1_3gpuE7ELNS1_3repE0EEENS1_30default_config_static_selectorELNS0_4arch9wavefront6targetE1EEEvT1_,comdat
.Lfunc_end57:
	.size	_ZN7rocprim17ROCPRIM_400000_NS6detail17trampoline_kernelINS0_14default_configENS1_27scan_by_key_config_selectorIiiEEZZNS1_16scan_by_key_implILNS1_25lookback_scan_determinismE0ELb0ES3_N6thrust23THRUST_200600_302600_NS16reverse_iteratorIPKiEESD_NSA_IPiEEiN6hipcub16HIPCUB_304000_NS3MaxENSH_8EqualityEiEE10hipError_tPvRmT2_T3_T4_T5_mT6_T7_P12ihipStream_tbENKUlT_T0_E_clISt17integral_constantIbLb0EES10_EEDaSV_SW_EUlSV_E_NS1_11comp_targetILNS1_3genE3ELNS1_11target_archE908ELNS1_3gpuE7ELNS1_3repE0EEENS1_30default_config_static_selectorELNS0_4arch9wavefront6targetE1EEEvT1_, .Lfunc_end57-_ZN7rocprim17ROCPRIM_400000_NS6detail17trampoline_kernelINS0_14default_configENS1_27scan_by_key_config_selectorIiiEEZZNS1_16scan_by_key_implILNS1_25lookback_scan_determinismE0ELb0ES3_N6thrust23THRUST_200600_302600_NS16reverse_iteratorIPKiEESD_NSA_IPiEEiN6hipcub16HIPCUB_304000_NS3MaxENSH_8EqualityEiEE10hipError_tPvRmT2_T3_T4_T5_mT6_T7_P12ihipStream_tbENKUlT_T0_E_clISt17integral_constantIbLb0EES10_EEDaSV_SW_EUlSV_E_NS1_11comp_targetILNS1_3genE3ELNS1_11target_archE908ELNS1_3gpuE7ELNS1_3repE0EEENS1_30default_config_static_selectorELNS0_4arch9wavefront6targetE1EEEvT1_
                                        ; -- End function
	.set _ZN7rocprim17ROCPRIM_400000_NS6detail17trampoline_kernelINS0_14default_configENS1_27scan_by_key_config_selectorIiiEEZZNS1_16scan_by_key_implILNS1_25lookback_scan_determinismE0ELb0ES3_N6thrust23THRUST_200600_302600_NS16reverse_iteratorIPKiEESD_NSA_IPiEEiN6hipcub16HIPCUB_304000_NS3MaxENSH_8EqualityEiEE10hipError_tPvRmT2_T3_T4_T5_mT6_T7_P12ihipStream_tbENKUlT_T0_E_clISt17integral_constantIbLb0EES10_EEDaSV_SW_EUlSV_E_NS1_11comp_targetILNS1_3genE3ELNS1_11target_archE908ELNS1_3gpuE7ELNS1_3repE0EEENS1_30default_config_static_selectorELNS0_4arch9wavefront6targetE1EEEvT1_.num_vgpr, 0
	.set _ZN7rocprim17ROCPRIM_400000_NS6detail17trampoline_kernelINS0_14default_configENS1_27scan_by_key_config_selectorIiiEEZZNS1_16scan_by_key_implILNS1_25lookback_scan_determinismE0ELb0ES3_N6thrust23THRUST_200600_302600_NS16reverse_iteratorIPKiEESD_NSA_IPiEEiN6hipcub16HIPCUB_304000_NS3MaxENSH_8EqualityEiEE10hipError_tPvRmT2_T3_T4_T5_mT6_T7_P12ihipStream_tbENKUlT_T0_E_clISt17integral_constantIbLb0EES10_EEDaSV_SW_EUlSV_E_NS1_11comp_targetILNS1_3genE3ELNS1_11target_archE908ELNS1_3gpuE7ELNS1_3repE0EEENS1_30default_config_static_selectorELNS0_4arch9wavefront6targetE1EEEvT1_.num_agpr, 0
	.set _ZN7rocprim17ROCPRIM_400000_NS6detail17trampoline_kernelINS0_14default_configENS1_27scan_by_key_config_selectorIiiEEZZNS1_16scan_by_key_implILNS1_25lookback_scan_determinismE0ELb0ES3_N6thrust23THRUST_200600_302600_NS16reverse_iteratorIPKiEESD_NSA_IPiEEiN6hipcub16HIPCUB_304000_NS3MaxENSH_8EqualityEiEE10hipError_tPvRmT2_T3_T4_T5_mT6_T7_P12ihipStream_tbENKUlT_T0_E_clISt17integral_constantIbLb0EES10_EEDaSV_SW_EUlSV_E_NS1_11comp_targetILNS1_3genE3ELNS1_11target_archE908ELNS1_3gpuE7ELNS1_3repE0EEENS1_30default_config_static_selectorELNS0_4arch9wavefront6targetE1EEEvT1_.numbered_sgpr, 0
	.set _ZN7rocprim17ROCPRIM_400000_NS6detail17trampoline_kernelINS0_14default_configENS1_27scan_by_key_config_selectorIiiEEZZNS1_16scan_by_key_implILNS1_25lookback_scan_determinismE0ELb0ES3_N6thrust23THRUST_200600_302600_NS16reverse_iteratorIPKiEESD_NSA_IPiEEiN6hipcub16HIPCUB_304000_NS3MaxENSH_8EqualityEiEE10hipError_tPvRmT2_T3_T4_T5_mT6_T7_P12ihipStream_tbENKUlT_T0_E_clISt17integral_constantIbLb0EES10_EEDaSV_SW_EUlSV_E_NS1_11comp_targetILNS1_3genE3ELNS1_11target_archE908ELNS1_3gpuE7ELNS1_3repE0EEENS1_30default_config_static_selectorELNS0_4arch9wavefront6targetE1EEEvT1_.num_named_barrier, 0
	.set _ZN7rocprim17ROCPRIM_400000_NS6detail17trampoline_kernelINS0_14default_configENS1_27scan_by_key_config_selectorIiiEEZZNS1_16scan_by_key_implILNS1_25lookback_scan_determinismE0ELb0ES3_N6thrust23THRUST_200600_302600_NS16reverse_iteratorIPKiEESD_NSA_IPiEEiN6hipcub16HIPCUB_304000_NS3MaxENSH_8EqualityEiEE10hipError_tPvRmT2_T3_T4_T5_mT6_T7_P12ihipStream_tbENKUlT_T0_E_clISt17integral_constantIbLb0EES10_EEDaSV_SW_EUlSV_E_NS1_11comp_targetILNS1_3genE3ELNS1_11target_archE908ELNS1_3gpuE7ELNS1_3repE0EEENS1_30default_config_static_selectorELNS0_4arch9wavefront6targetE1EEEvT1_.private_seg_size, 0
	.set _ZN7rocprim17ROCPRIM_400000_NS6detail17trampoline_kernelINS0_14default_configENS1_27scan_by_key_config_selectorIiiEEZZNS1_16scan_by_key_implILNS1_25lookback_scan_determinismE0ELb0ES3_N6thrust23THRUST_200600_302600_NS16reverse_iteratorIPKiEESD_NSA_IPiEEiN6hipcub16HIPCUB_304000_NS3MaxENSH_8EqualityEiEE10hipError_tPvRmT2_T3_T4_T5_mT6_T7_P12ihipStream_tbENKUlT_T0_E_clISt17integral_constantIbLb0EES10_EEDaSV_SW_EUlSV_E_NS1_11comp_targetILNS1_3genE3ELNS1_11target_archE908ELNS1_3gpuE7ELNS1_3repE0EEENS1_30default_config_static_selectorELNS0_4arch9wavefront6targetE1EEEvT1_.uses_vcc, 0
	.set _ZN7rocprim17ROCPRIM_400000_NS6detail17trampoline_kernelINS0_14default_configENS1_27scan_by_key_config_selectorIiiEEZZNS1_16scan_by_key_implILNS1_25lookback_scan_determinismE0ELb0ES3_N6thrust23THRUST_200600_302600_NS16reverse_iteratorIPKiEESD_NSA_IPiEEiN6hipcub16HIPCUB_304000_NS3MaxENSH_8EqualityEiEE10hipError_tPvRmT2_T3_T4_T5_mT6_T7_P12ihipStream_tbENKUlT_T0_E_clISt17integral_constantIbLb0EES10_EEDaSV_SW_EUlSV_E_NS1_11comp_targetILNS1_3genE3ELNS1_11target_archE908ELNS1_3gpuE7ELNS1_3repE0EEENS1_30default_config_static_selectorELNS0_4arch9wavefront6targetE1EEEvT1_.uses_flat_scratch, 0
	.set _ZN7rocprim17ROCPRIM_400000_NS6detail17trampoline_kernelINS0_14default_configENS1_27scan_by_key_config_selectorIiiEEZZNS1_16scan_by_key_implILNS1_25lookback_scan_determinismE0ELb0ES3_N6thrust23THRUST_200600_302600_NS16reverse_iteratorIPKiEESD_NSA_IPiEEiN6hipcub16HIPCUB_304000_NS3MaxENSH_8EqualityEiEE10hipError_tPvRmT2_T3_T4_T5_mT6_T7_P12ihipStream_tbENKUlT_T0_E_clISt17integral_constantIbLb0EES10_EEDaSV_SW_EUlSV_E_NS1_11comp_targetILNS1_3genE3ELNS1_11target_archE908ELNS1_3gpuE7ELNS1_3repE0EEENS1_30default_config_static_selectorELNS0_4arch9wavefront6targetE1EEEvT1_.has_dyn_sized_stack, 0
	.set _ZN7rocprim17ROCPRIM_400000_NS6detail17trampoline_kernelINS0_14default_configENS1_27scan_by_key_config_selectorIiiEEZZNS1_16scan_by_key_implILNS1_25lookback_scan_determinismE0ELb0ES3_N6thrust23THRUST_200600_302600_NS16reverse_iteratorIPKiEESD_NSA_IPiEEiN6hipcub16HIPCUB_304000_NS3MaxENSH_8EqualityEiEE10hipError_tPvRmT2_T3_T4_T5_mT6_T7_P12ihipStream_tbENKUlT_T0_E_clISt17integral_constantIbLb0EES10_EEDaSV_SW_EUlSV_E_NS1_11comp_targetILNS1_3genE3ELNS1_11target_archE908ELNS1_3gpuE7ELNS1_3repE0EEENS1_30default_config_static_selectorELNS0_4arch9wavefront6targetE1EEEvT1_.has_recursion, 0
	.set _ZN7rocprim17ROCPRIM_400000_NS6detail17trampoline_kernelINS0_14default_configENS1_27scan_by_key_config_selectorIiiEEZZNS1_16scan_by_key_implILNS1_25lookback_scan_determinismE0ELb0ES3_N6thrust23THRUST_200600_302600_NS16reverse_iteratorIPKiEESD_NSA_IPiEEiN6hipcub16HIPCUB_304000_NS3MaxENSH_8EqualityEiEE10hipError_tPvRmT2_T3_T4_T5_mT6_T7_P12ihipStream_tbENKUlT_T0_E_clISt17integral_constantIbLb0EES10_EEDaSV_SW_EUlSV_E_NS1_11comp_targetILNS1_3genE3ELNS1_11target_archE908ELNS1_3gpuE7ELNS1_3repE0EEENS1_30default_config_static_selectorELNS0_4arch9wavefront6targetE1EEEvT1_.has_indirect_call, 0
	.section	.AMDGPU.csdata,"",@progbits
; Kernel info:
; codeLenInByte = 0
; TotalNumSgprs: 6
; NumVgprs: 0
; NumAgprs: 0
; TotalNumVgprs: 0
; ScratchSize: 0
; MemoryBound: 0
; FloatMode: 240
; IeeeMode: 1
; LDSByteSize: 0 bytes/workgroup (compile time only)
; SGPRBlocks: 0
; VGPRBlocks: 0
; NumSGPRsForWavesPerEU: 6
; NumVGPRsForWavesPerEU: 1
; AccumOffset: 4
; Occupancy: 8
; WaveLimiterHint : 0
; COMPUTE_PGM_RSRC2:SCRATCH_EN: 0
; COMPUTE_PGM_RSRC2:USER_SGPR: 2
; COMPUTE_PGM_RSRC2:TRAP_HANDLER: 0
; COMPUTE_PGM_RSRC2:TGID_X_EN: 1
; COMPUTE_PGM_RSRC2:TGID_Y_EN: 0
; COMPUTE_PGM_RSRC2:TGID_Z_EN: 0
; COMPUTE_PGM_RSRC2:TIDIG_COMP_CNT: 0
; COMPUTE_PGM_RSRC3_GFX90A:ACCUM_OFFSET: 0
; COMPUTE_PGM_RSRC3_GFX90A:TG_SPLIT: 0
	.section	.text._ZN7rocprim17ROCPRIM_400000_NS6detail17trampoline_kernelINS0_14default_configENS1_27scan_by_key_config_selectorIiiEEZZNS1_16scan_by_key_implILNS1_25lookback_scan_determinismE0ELb0ES3_N6thrust23THRUST_200600_302600_NS16reverse_iteratorIPKiEESD_NSA_IPiEEiN6hipcub16HIPCUB_304000_NS3MaxENSH_8EqualityEiEE10hipError_tPvRmT2_T3_T4_T5_mT6_T7_P12ihipStream_tbENKUlT_T0_E_clISt17integral_constantIbLb0EES10_EEDaSV_SW_EUlSV_E_NS1_11comp_targetILNS1_3genE2ELNS1_11target_archE906ELNS1_3gpuE6ELNS1_3repE0EEENS1_30default_config_static_selectorELNS0_4arch9wavefront6targetE1EEEvT1_,"axG",@progbits,_ZN7rocprim17ROCPRIM_400000_NS6detail17trampoline_kernelINS0_14default_configENS1_27scan_by_key_config_selectorIiiEEZZNS1_16scan_by_key_implILNS1_25lookback_scan_determinismE0ELb0ES3_N6thrust23THRUST_200600_302600_NS16reverse_iteratorIPKiEESD_NSA_IPiEEiN6hipcub16HIPCUB_304000_NS3MaxENSH_8EqualityEiEE10hipError_tPvRmT2_T3_T4_T5_mT6_T7_P12ihipStream_tbENKUlT_T0_E_clISt17integral_constantIbLb0EES10_EEDaSV_SW_EUlSV_E_NS1_11comp_targetILNS1_3genE2ELNS1_11target_archE906ELNS1_3gpuE6ELNS1_3repE0EEENS1_30default_config_static_selectorELNS0_4arch9wavefront6targetE1EEEvT1_,comdat
	.protected	_ZN7rocprim17ROCPRIM_400000_NS6detail17trampoline_kernelINS0_14default_configENS1_27scan_by_key_config_selectorIiiEEZZNS1_16scan_by_key_implILNS1_25lookback_scan_determinismE0ELb0ES3_N6thrust23THRUST_200600_302600_NS16reverse_iteratorIPKiEESD_NSA_IPiEEiN6hipcub16HIPCUB_304000_NS3MaxENSH_8EqualityEiEE10hipError_tPvRmT2_T3_T4_T5_mT6_T7_P12ihipStream_tbENKUlT_T0_E_clISt17integral_constantIbLb0EES10_EEDaSV_SW_EUlSV_E_NS1_11comp_targetILNS1_3genE2ELNS1_11target_archE906ELNS1_3gpuE6ELNS1_3repE0EEENS1_30default_config_static_selectorELNS0_4arch9wavefront6targetE1EEEvT1_ ; -- Begin function _ZN7rocprim17ROCPRIM_400000_NS6detail17trampoline_kernelINS0_14default_configENS1_27scan_by_key_config_selectorIiiEEZZNS1_16scan_by_key_implILNS1_25lookback_scan_determinismE0ELb0ES3_N6thrust23THRUST_200600_302600_NS16reverse_iteratorIPKiEESD_NSA_IPiEEiN6hipcub16HIPCUB_304000_NS3MaxENSH_8EqualityEiEE10hipError_tPvRmT2_T3_T4_T5_mT6_T7_P12ihipStream_tbENKUlT_T0_E_clISt17integral_constantIbLb0EES10_EEDaSV_SW_EUlSV_E_NS1_11comp_targetILNS1_3genE2ELNS1_11target_archE906ELNS1_3gpuE6ELNS1_3repE0EEENS1_30default_config_static_selectorELNS0_4arch9wavefront6targetE1EEEvT1_
	.globl	_ZN7rocprim17ROCPRIM_400000_NS6detail17trampoline_kernelINS0_14default_configENS1_27scan_by_key_config_selectorIiiEEZZNS1_16scan_by_key_implILNS1_25lookback_scan_determinismE0ELb0ES3_N6thrust23THRUST_200600_302600_NS16reverse_iteratorIPKiEESD_NSA_IPiEEiN6hipcub16HIPCUB_304000_NS3MaxENSH_8EqualityEiEE10hipError_tPvRmT2_T3_T4_T5_mT6_T7_P12ihipStream_tbENKUlT_T0_E_clISt17integral_constantIbLb0EES10_EEDaSV_SW_EUlSV_E_NS1_11comp_targetILNS1_3genE2ELNS1_11target_archE906ELNS1_3gpuE6ELNS1_3repE0EEENS1_30default_config_static_selectorELNS0_4arch9wavefront6targetE1EEEvT1_
	.p2align	8
	.type	_ZN7rocprim17ROCPRIM_400000_NS6detail17trampoline_kernelINS0_14default_configENS1_27scan_by_key_config_selectorIiiEEZZNS1_16scan_by_key_implILNS1_25lookback_scan_determinismE0ELb0ES3_N6thrust23THRUST_200600_302600_NS16reverse_iteratorIPKiEESD_NSA_IPiEEiN6hipcub16HIPCUB_304000_NS3MaxENSH_8EqualityEiEE10hipError_tPvRmT2_T3_T4_T5_mT6_T7_P12ihipStream_tbENKUlT_T0_E_clISt17integral_constantIbLb0EES10_EEDaSV_SW_EUlSV_E_NS1_11comp_targetILNS1_3genE2ELNS1_11target_archE906ELNS1_3gpuE6ELNS1_3repE0EEENS1_30default_config_static_selectorELNS0_4arch9wavefront6targetE1EEEvT1_,@function
_ZN7rocprim17ROCPRIM_400000_NS6detail17trampoline_kernelINS0_14default_configENS1_27scan_by_key_config_selectorIiiEEZZNS1_16scan_by_key_implILNS1_25lookback_scan_determinismE0ELb0ES3_N6thrust23THRUST_200600_302600_NS16reverse_iteratorIPKiEESD_NSA_IPiEEiN6hipcub16HIPCUB_304000_NS3MaxENSH_8EqualityEiEE10hipError_tPvRmT2_T3_T4_T5_mT6_T7_P12ihipStream_tbENKUlT_T0_E_clISt17integral_constantIbLb0EES10_EEDaSV_SW_EUlSV_E_NS1_11comp_targetILNS1_3genE2ELNS1_11target_archE906ELNS1_3gpuE6ELNS1_3repE0EEENS1_30default_config_static_selectorELNS0_4arch9wavefront6targetE1EEEvT1_: ; @_ZN7rocprim17ROCPRIM_400000_NS6detail17trampoline_kernelINS0_14default_configENS1_27scan_by_key_config_selectorIiiEEZZNS1_16scan_by_key_implILNS1_25lookback_scan_determinismE0ELb0ES3_N6thrust23THRUST_200600_302600_NS16reverse_iteratorIPKiEESD_NSA_IPiEEiN6hipcub16HIPCUB_304000_NS3MaxENSH_8EqualityEiEE10hipError_tPvRmT2_T3_T4_T5_mT6_T7_P12ihipStream_tbENKUlT_T0_E_clISt17integral_constantIbLb0EES10_EEDaSV_SW_EUlSV_E_NS1_11comp_targetILNS1_3genE2ELNS1_11target_archE906ELNS1_3gpuE6ELNS1_3repE0EEENS1_30default_config_static_selectorELNS0_4arch9wavefront6targetE1EEEvT1_
; %bb.0:
	.section	.rodata,"a",@progbits
	.p2align	6, 0x0
	.amdhsa_kernel _ZN7rocprim17ROCPRIM_400000_NS6detail17trampoline_kernelINS0_14default_configENS1_27scan_by_key_config_selectorIiiEEZZNS1_16scan_by_key_implILNS1_25lookback_scan_determinismE0ELb0ES3_N6thrust23THRUST_200600_302600_NS16reverse_iteratorIPKiEESD_NSA_IPiEEiN6hipcub16HIPCUB_304000_NS3MaxENSH_8EqualityEiEE10hipError_tPvRmT2_T3_T4_T5_mT6_T7_P12ihipStream_tbENKUlT_T0_E_clISt17integral_constantIbLb0EES10_EEDaSV_SW_EUlSV_E_NS1_11comp_targetILNS1_3genE2ELNS1_11target_archE906ELNS1_3gpuE6ELNS1_3repE0EEENS1_30default_config_static_selectorELNS0_4arch9wavefront6targetE1EEEvT1_
		.amdhsa_group_segment_fixed_size 0
		.amdhsa_private_segment_fixed_size 0
		.amdhsa_kernarg_size 112
		.amdhsa_user_sgpr_count 2
		.amdhsa_user_sgpr_dispatch_ptr 0
		.amdhsa_user_sgpr_queue_ptr 0
		.amdhsa_user_sgpr_kernarg_segment_ptr 1
		.amdhsa_user_sgpr_dispatch_id 0
		.amdhsa_user_sgpr_kernarg_preload_length 0
		.amdhsa_user_sgpr_kernarg_preload_offset 0
		.amdhsa_user_sgpr_private_segment_size 0
		.amdhsa_uses_dynamic_stack 0
		.amdhsa_enable_private_segment 0
		.amdhsa_system_sgpr_workgroup_id_x 1
		.amdhsa_system_sgpr_workgroup_id_y 0
		.amdhsa_system_sgpr_workgroup_id_z 0
		.amdhsa_system_sgpr_workgroup_info 0
		.amdhsa_system_vgpr_workitem_id 0
		.amdhsa_next_free_vgpr 1
		.amdhsa_next_free_sgpr 0
		.amdhsa_accum_offset 4
		.amdhsa_reserve_vcc 0
		.amdhsa_float_round_mode_32 0
		.amdhsa_float_round_mode_16_64 0
		.amdhsa_float_denorm_mode_32 3
		.amdhsa_float_denorm_mode_16_64 3
		.amdhsa_dx10_clamp 1
		.amdhsa_ieee_mode 1
		.amdhsa_fp16_overflow 0
		.amdhsa_tg_split 0
		.amdhsa_exception_fp_ieee_invalid_op 0
		.amdhsa_exception_fp_denorm_src 0
		.amdhsa_exception_fp_ieee_div_zero 0
		.amdhsa_exception_fp_ieee_overflow 0
		.amdhsa_exception_fp_ieee_underflow 0
		.amdhsa_exception_fp_ieee_inexact 0
		.amdhsa_exception_int_div_zero 0
	.end_amdhsa_kernel
	.section	.text._ZN7rocprim17ROCPRIM_400000_NS6detail17trampoline_kernelINS0_14default_configENS1_27scan_by_key_config_selectorIiiEEZZNS1_16scan_by_key_implILNS1_25lookback_scan_determinismE0ELb0ES3_N6thrust23THRUST_200600_302600_NS16reverse_iteratorIPKiEESD_NSA_IPiEEiN6hipcub16HIPCUB_304000_NS3MaxENSH_8EqualityEiEE10hipError_tPvRmT2_T3_T4_T5_mT6_T7_P12ihipStream_tbENKUlT_T0_E_clISt17integral_constantIbLb0EES10_EEDaSV_SW_EUlSV_E_NS1_11comp_targetILNS1_3genE2ELNS1_11target_archE906ELNS1_3gpuE6ELNS1_3repE0EEENS1_30default_config_static_selectorELNS0_4arch9wavefront6targetE1EEEvT1_,"axG",@progbits,_ZN7rocprim17ROCPRIM_400000_NS6detail17trampoline_kernelINS0_14default_configENS1_27scan_by_key_config_selectorIiiEEZZNS1_16scan_by_key_implILNS1_25lookback_scan_determinismE0ELb0ES3_N6thrust23THRUST_200600_302600_NS16reverse_iteratorIPKiEESD_NSA_IPiEEiN6hipcub16HIPCUB_304000_NS3MaxENSH_8EqualityEiEE10hipError_tPvRmT2_T3_T4_T5_mT6_T7_P12ihipStream_tbENKUlT_T0_E_clISt17integral_constantIbLb0EES10_EEDaSV_SW_EUlSV_E_NS1_11comp_targetILNS1_3genE2ELNS1_11target_archE906ELNS1_3gpuE6ELNS1_3repE0EEENS1_30default_config_static_selectorELNS0_4arch9wavefront6targetE1EEEvT1_,comdat
.Lfunc_end58:
	.size	_ZN7rocprim17ROCPRIM_400000_NS6detail17trampoline_kernelINS0_14default_configENS1_27scan_by_key_config_selectorIiiEEZZNS1_16scan_by_key_implILNS1_25lookback_scan_determinismE0ELb0ES3_N6thrust23THRUST_200600_302600_NS16reverse_iteratorIPKiEESD_NSA_IPiEEiN6hipcub16HIPCUB_304000_NS3MaxENSH_8EqualityEiEE10hipError_tPvRmT2_T3_T4_T5_mT6_T7_P12ihipStream_tbENKUlT_T0_E_clISt17integral_constantIbLb0EES10_EEDaSV_SW_EUlSV_E_NS1_11comp_targetILNS1_3genE2ELNS1_11target_archE906ELNS1_3gpuE6ELNS1_3repE0EEENS1_30default_config_static_selectorELNS0_4arch9wavefront6targetE1EEEvT1_, .Lfunc_end58-_ZN7rocprim17ROCPRIM_400000_NS6detail17trampoline_kernelINS0_14default_configENS1_27scan_by_key_config_selectorIiiEEZZNS1_16scan_by_key_implILNS1_25lookback_scan_determinismE0ELb0ES3_N6thrust23THRUST_200600_302600_NS16reverse_iteratorIPKiEESD_NSA_IPiEEiN6hipcub16HIPCUB_304000_NS3MaxENSH_8EqualityEiEE10hipError_tPvRmT2_T3_T4_T5_mT6_T7_P12ihipStream_tbENKUlT_T0_E_clISt17integral_constantIbLb0EES10_EEDaSV_SW_EUlSV_E_NS1_11comp_targetILNS1_3genE2ELNS1_11target_archE906ELNS1_3gpuE6ELNS1_3repE0EEENS1_30default_config_static_selectorELNS0_4arch9wavefront6targetE1EEEvT1_
                                        ; -- End function
	.set _ZN7rocprim17ROCPRIM_400000_NS6detail17trampoline_kernelINS0_14default_configENS1_27scan_by_key_config_selectorIiiEEZZNS1_16scan_by_key_implILNS1_25lookback_scan_determinismE0ELb0ES3_N6thrust23THRUST_200600_302600_NS16reverse_iteratorIPKiEESD_NSA_IPiEEiN6hipcub16HIPCUB_304000_NS3MaxENSH_8EqualityEiEE10hipError_tPvRmT2_T3_T4_T5_mT6_T7_P12ihipStream_tbENKUlT_T0_E_clISt17integral_constantIbLb0EES10_EEDaSV_SW_EUlSV_E_NS1_11comp_targetILNS1_3genE2ELNS1_11target_archE906ELNS1_3gpuE6ELNS1_3repE0EEENS1_30default_config_static_selectorELNS0_4arch9wavefront6targetE1EEEvT1_.num_vgpr, 0
	.set _ZN7rocprim17ROCPRIM_400000_NS6detail17trampoline_kernelINS0_14default_configENS1_27scan_by_key_config_selectorIiiEEZZNS1_16scan_by_key_implILNS1_25lookback_scan_determinismE0ELb0ES3_N6thrust23THRUST_200600_302600_NS16reverse_iteratorIPKiEESD_NSA_IPiEEiN6hipcub16HIPCUB_304000_NS3MaxENSH_8EqualityEiEE10hipError_tPvRmT2_T3_T4_T5_mT6_T7_P12ihipStream_tbENKUlT_T0_E_clISt17integral_constantIbLb0EES10_EEDaSV_SW_EUlSV_E_NS1_11comp_targetILNS1_3genE2ELNS1_11target_archE906ELNS1_3gpuE6ELNS1_3repE0EEENS1_30default_config_static_selectorELNS0_4arch9wavefront6targetE1EEEvT1_.num_agpr, 0
	.set _ZN7rocprim17ROCPRIM_400000_NS6detail17trampoline_kernelINS0_14default_configENS1_27scan_by_key_config_selectorIiiEEZZNS1_16scan_by_key_implILNS1_25lookback_scan_determinismE0ELb0ES3_N6thrust23THRUST_200600_302600_NS16reverse_iteratorIPKiEESD_NSA_IPiEEiN6hipcub16HIPCUB_304000_NS3MaxENSH_8EqualityEiEE10hipError_tPvRmT2_T3_T4_T5_mT6_T7_P12ihipStream_tbENKUlT_T0_E_clISt17integral_constantIbLb0EES10_EEDaSV_SW_EUlSV_E_NS1_11comp_targetILNS1_3genE2ELNS1_11target_archE906ELNS1_3gpuE6ELNS1_3repE0EEENS1_30default_config_static_selectorELNS0_4arch9wavefront6targetE1EEEvT1_.numbered_sgpr, 0
	.set _ZN7rocprim17ROCPRIM_400000_NS6detail17trampoline_kernelINS0_14default_configENS1_27scan_by_key_config_selectorIiiEEZZNS1_16scan_by_key_implILNS1_25lookback_scan_determinismE0ELb0ES3_N6thrust23THRUST_200600_302600_NS16reverse_iteratorIPKiEESD_NSA_IPiEEiN6hipcub16HIPCUB_304000_NS3MaxENSH_8EqualityEiEE10hipError_tPvRmT2_T3_T4_T5_mT6_T7_P12ihipStream_tbENKUlT_T0_E_clISt17integral_constantIbLb0EES10_EEDaSV_SW_EUlSV_E_NS1_11comp_targetILNS1_3genE2ELNS1_11target_archE906ELNS1_3gpuE6ELNS1_3repE0EEENS1_30default_config_static_selectorELNS0_4arch9wavefront6targetE1EEEvT1_.num_named_barrier, 0
	.set _ZN7rocprim17ROCPRIM_400000_NS6detail17trampoline_kernelINS0_14default_configENS1_27scan_by_key_config_selectorIiiEEZZNS1_16scan_by_key_implILNS1_25lookback_scan_determinismE0ELb0ES3_N6thrust23THRUST_200600_302600_NS16reverse_iteratorIPKiEESD_NSA_IPiEEiN6hipcub16HIPCUB_304000_NS3MaxENSH_8EqualityEiEE10hipError_tPvRmT2_T3_T4_T5_mT6_T7_P12ihipStream_tbENKUlT_T0_E_clISt17integral_constantIbLb0EES10_EEDaSV_SW_EUlSV_E_NS1_11comp_targetILNS1_3genE2ELNS1_11target_archE906ELNS1_3gpuE6ELNS1_3repE0EEENS1_30default_config_static_selectorELNS0_4arch9wavefront6targetE1EEEvT1_.private_seg_size, 0
	.set _ZN7rocprim17ROCPRIM_400000_NS6detail17trampoline_kernelINS0_14default_configENS1_27scan_by_key_config_selectorIiiEEZZNS1_16scan_by_key_implILNS1_25lookback_scan_determinismE0ELb0ES3_N6thrust23THRUST_200600_302600_NS16reverse_iteratorIPKiEESD_NSA_IPiEEiN6hipcub16HIPCUB_304000_NS3MaxENSH_8EqualityEiEE10hipError_tPvRmT2_T3_T4_T5_mT6_T7_P12ihipStream_tbENKUlT_T0_E_clISt17integral_constantIbLb0EES10_EEDaSV_SW_EUlSV_E_NS1_11comp_targetILNS1_3genE2ELNS1_11target_archE906ELNS1_3gpuE6ELNS1_3repE0EEENS1_30default_config_static_selectorELNS0_4arch9wavefront6targetE1EEEvT1_.uses_vcc, 0
	.set _ZN7rocprim17ROCPRIM_400000_NS6detail17trampoline_kernelINS0_14default_configENS1_27scan_by_key_config_selectorIiiEEZZNS1_16scan_by_key_implILNS1_25lookback_scan_determinismE0ELb0ES3_N6thrust23THRUST_200600_302600_NS16reverse_iteratorIPKiEESD_NSA_IPiEEiN6hipcub16HIPCUB_304000_NS3MaxENSH_8EqualityEiEE10hipError_tPvRmT2_T3_T4_T5_mT6_T7_P12ihipStream_tbENKUlT_T0_E_clISt17integral_constantIbLb0EES10_EEDaSV_SW_EUlSV_E_NS1_11comp_targetILNS1_3genE2ELNS1_11target_archE906ELNS1_3gpuE6ELNS1_3repE0EEENS1_30default_config_static_selectorELNS0_4arch9wavefront6targetE1EEEvT1_.uses_flat_scratch, 0
	.set _ZN7rocprim17ROCPRIM_400000_NS6detail17trampoline_kernelINS0_14default_configENS1_27scan_by_key_config_selectorIiiEEZZNS1_16scan_by_key_implILNS1_25lookback_scan_determinismE0ELb0ES3_N6thrust23THRUST_200600_302600_NS16reverse_iteratorIPKiEESD_NSA_IPiEEiN6hipcub16HIPCUB_304000_NS3MaxENSH_8EqualityEiEE10hipError_tPvRmT2_T3_T4_T5_mT6_T7_P12ihipStream_tbENKUlT_T0_E_clISt17integral_constantIbLb0EES10_EEDaSV_SW_EUlSV_E_NS1_11comp_targetILNS1_3genE2ELNS1_11target_archE906ELNS1_3gpuE6ELNS1_3repE0EEENS1_30default_config_static_selectorELNS0_4arch9wavefront6targetE1EEEvT1_.has_dyn_sized_stack, 0
	.set _ZN7rocprim17ROCPRIM_400000_NS6detail17trampoline_kernelINS0_14default_configENS1_27scan_by_key_config_selectorIiiEEZZNS1_16scan_by_key_implILNS1_25lookback_scan_determinismE0ELb0ES3_N6thrust23THRUST_200600_302600_NS16reverse_iteratorIPKiEESD_NSA_IPiEEiN6hipcub16HIPCUB_304000_NS3MaxENSH_8EqualityEiEE10hipError_tPvRmT2_T3_T4_T5_mT6_T7_P12ihipStream_tbENKUlT_T0_E_clISt17integral_constantIbLb0EES10_EEDaSV_SW_EUlSV_E_NS1_11comp_targetILNS1_3genE2ELNS1_11target_archE906ELNS1_3gpuE6ELNS1_3repE0EEENS1_30default_config_static_selectorELNS0_4arch9wavefront6targetE1EEEvT1_.has_recursion, 0
	.set _ZN7rocprim17ROCPRIM_400000_NS6detail17trampoline_kernelINS0_14default_configENS1_27scan_by_key_config_selectorIiiEEZZNS1_16scan_by_key_implILNS1_25lookback_scan_determinismE0ELb0ES3_N6thrust23THRUST_200600_302600_NS16reverse_iteratorIPKiEESD_NSA_IPiEEiN6hipcub16HIPCUB_304000_NS3MaxENSH_8EqualityEiEE10hipError_tPvRmT2_T3_T4_T5_mT6_T7_P12ihipStream_tbENKUlT_T0_E_clISt17integral_constantIbLb0EES10_EEDaSV_SW_EUlSV_E_NS1_11comp_targetILNS1_3genE2ELNS1_11target_archE906ELNS1_3gpuE6ELNS1_3repE0EEENS1_30default_config_static_selectorELNS0_4arch9wavefront6targetE1EEEvT1_.has_indirect_call, 0
	.section	.AMDGPU.csdata,"",@progbits
; Kernel info:
; codeLenInByte = 0
; TotalNumSgprs: 6
; NumVgprs: 0
; NumAgprs: 0
; TotalNumVgprs: 0
; ScratchSize: 0
; MemoryBound: 0
; FloatMode: 240
; IeeeMode: 1
; LDSByteSize: 0 bytes/workgroup (compile time only)
; SGPRBlocks: 0
; VGPRBlocks: 0
; NumSGPRsForWavesPerEU: 6
; NumVGPRsForWavesPerEU: 1
; AccumOffset: 4
; Occupancy: 8
; WaveLimiterHint : 0
; COMPUTE_PGM_RSRC2:SCRATCH_EN: 0
; COMPUTE_PGM_RSRC2:USER_SGPR: 2
; COMPUTE_PGM_RSRC2:TRAP_HANDLER: 0
; COMPUTE_PGM_RSRC2:TGID_X_EN: 1
; COMPUTE_PGM_RSRC2:TGID_Y_EN: 0
; COMPUTE_PGM_RSRC2:TGID_Z_EN: 0
; COMPUTE_PGM_RSRC2:TIDIG_COMP_CNT: 0
; COMPUTE_PGM_RSRC3_GFX90A:ACCUM_OFFSET: 0
; COMPUTE_PGM_RSRC3_GFX90A:TG_SPLIT: 0
	.section	.text._ZN7rocprim17ROCPRIM_400000_NS6detail17trampoline_kernelINS0_14default_configENS1_27scan_by_key_config_selectorIiiEEZZNS1_16scan_by_key_implILNS1_25lookback_scan_determinismE0ELb0ES3_N6thrust23THRUST_200600_302600_NS16reverse_iteratorIPKiEESD_NSA_IPiEEiN6hipcub16HIPCUB_304000_NS3MaxENSH_8EqualityEiEE10hipError_tPvRmT2_T3_T4_T5_mT6_T7_P12ihipStream_tbENKUlT_T0_E_clISt17integral_constantIbLb0EES10_EEDaSV_SW_EUlSV_E_NS1_11comp_targetILNS1_3genE10ELNS1_11target_archE1200ELNS1_3gpuE4ELNS1_3repE0EEENS1_30default_config_static_selectorELNS0_4arch9wavefront6targetE1EEEvT1_,"axG",@progbits,_ZN7rocprim17ROCPRIM_400000_NS6detail17trampoline_kernelINS0_14default_configENS1_27scan_by_key_config_selectorIiiEEZZNS1_16scan_by_key_implILNS1_25lookback_scan_determinismE0ELb0ES3_N6thrust23THRUST_200600_302600_NS16reverse_iteratorIPKiEESD_NSA_IPiEEiN6hipcub16HIPCUB_304000_NS3MaxENSH_8EqualityEiEE10hipError_tPvRmT2_T3_T4_T5_mT6_T7_P12ihipStream_tbENKUlT_T0_E_clISt17integral_constantIbLb0EES10_EEDaSV_SW_EUlSV_E_NS1_11comp_targetILNS1_3genE10ELNS1_11target_archE1200ELNS1_3gpuE4ELNS1_3repE0EEENS1_30default_config_static_selectorELNS0_4arch9wavefront6targetE1EEEvT1_,comdat
	.protected	_ZN7rocprim17ROCPRIM_400000_NS6detail17trampoline_kernelINS0_14default_configENS1_27scan_by_key_config_selectorIiiEEZZNS1_16scan_by_key_implILNS1_25lookback_scan_determinismE0ELb0ES3_N6thrust23THRUST_200600_302600_NS16reverse_iteratorIPKiEESD_NSA_IPiEEiN6hipcub16HIPCUB_304000_NS3MaxENSH_8EqualityEiEE10hipError_tPvRmT2_T3_T4_T5_mT6_T7_P12ihipStream_tbENKUlT_T0_E_clISt17integral_constantIbLb0EES10_EEDaSV_SW_EUlSV_E_NS1_11comp_targetILNS1_3genE10ELNS1_11target_archE1200ELNS1_3gpuE4ELNS1_3repE0EEENS1_30default_config_static_selectorELNS0_4arch9wavefront6targetE1EEEvT1_ ; -- Begin function _ZN7rocprim17ROCPRIM_400000_NS6detail17trampoline_kernelINS0_14default_configENS1_27scan_by_key_config_selectorIiiEEZZNS1_16scan_by_key_implILNS1_25lookback_scan_determinismE0ELb0ES3_N6thrust23THRUST_200600_302600_NS16reverse_iteratorIPKiEESD_NSA_IPiEEiN6hipcub16HIPCUB_304000_NS3MaxENSH_8EqualityEiEE10hipError_tPvRmT2_T3_T4_T5_mT6_T7_P12ihipStream_tbENKUlT_T0_E_clISt17integral_constantIbLb0EES10_EEDaSV_SW_EUlSV_E_NS1_11comp_targetILNS1_3genE10ELNS1_11target_archE1200ELNS1_3gpuE4ELNS1_3repE0EEENS1_30default_config_static_selectorELNS0_4arch9wavefront6targetE1EEEvT1_
	.globl	_ZN7rocprim17ROCPRIM_400000_NS6detail17trampoline_kernelINS0_14default_configENS1_27scan_by_key_config_selectorIiiEEZZNS1_16scan_by_key_implILNS1_25lookback_scan_determinismE0ELb0ES3_N6thrust23THRUST_200600_302600_NS16reverse_iteratorIPKiEESD_NSA_IPiEEiN6hipcub16HIPCUB_304000_NS3MaxENSH_8EqualityEiEE10hipError_tPvRmT2_T3_T4_T5_mT6_T7_P12ihipStream_tbENKUlT_T0_E_clISt17integral_constantIbLb0EES10_EEDaSV_SW_EUlSV_E_NS1_11comp_targetILNS1_3genE10ELNS1_11target_archE1200ELNS1_3gpuE4ELNS1_3repE0EEENS1_30default_config_static_selectorELNS0_4arch9wavefront6targetE1EEEvT1_
	.p2align	8
	.type	_ZN7rocprim17ROCPRIM_400000_NS6detail17trampoline_kernelINS0_14default_configENS1_27scan_by_key_config_selectorIiiEEZZNS1_16scan_by_key_implILNS1_25lookback_scan_determinismE0ELb0ES3_N6thrust23THRUST_200600_302600_NS16reverse_iteratorIPKiEESD_NSA_IPiEEiN6hipcub16HIPCUB_304000_NS3MaxENSH_8EqualityEiEE10hipError_tPvRmT2_T3_T4_T5_mT6_T7_P12ihipStream_tbENKUlT_T0_E_clISt17integral_constantIbLb0EES10_EEDaSV_SW_EUlSV_E_NS1_11comp_targetILNS1_3genE10ELNS1_11target_archE1200ELNS1_3gpuE4ELNS1_3repE0EEENS1_30default_config_static_selectorELNS0_4arch9wavefront6targetE1EEEvT1_,@function
_ZN7rocprim17ROCPRIM_400000_NS6detail17trampoline_kernelINS0_14default_configENS1_27scan_by_key_config_selectorIiiEEZZNS1_16scan_by_key_implILNS1_25lookback_scan_determinismE0ELb0ES3_N6thrust23THRUST_200600_302600_NS16reverse_iteratorIPKiEESD_NSA_IPiEEiN6hipcub16HIPCUB_304000_NS3MaxENSH_8EqualityEiEE10hipError_tPvRmT2_T3_T4_T5_mT6_T7_P12ihipStream_tbENKUlT_T0_E_clISt17integral_constantIbLb0EES10_EEDaSV_SW_EUlSV_E_NS1_11comp_targetILNS1_3genE10ELNS1_11target_archE1200ELNS1_3gpuE4ELNS1_3repE0EEENS1_30default_config_static_selectorELNS0_4arch9wavefront6targetE1EEEvT1_: ; @_ZN7rocprim17ROCPRIM_400000_NS6detail17trampoline_kernelINS0_14default_configENS1_27scan_by_key_config_selectorIiiEEZZNS1_16scan_by_key_implILNS1_25lookback_scan_determinismE0ELb0ES3_N6thrust23THRUST_200600_302600_NS16reverse_iteratorIPKiEESD_NSA_IPiEEiN6hipcub16HIPCUB_304000_NS3MaxENSH_8EqualityEiEE10hipError_tPvRmT2_T3_T4_T5_mT6_T7_P12ihipStream_tbENKUlT_T0_E_clISt17integral_constantIbLb0EES10_EEDaSV_SW_EUlSV_E_NS1_11comp_targetILNS1_3genE10ELNS1_11target_archE1200ELNS1_3gpuE4ELNS1_3repE0EEENS1_30default_config_static_selectorELNS0_4arch9wavefront6targetE1EEEvT1_
; %bb.0:
	.section	.rodata,"a",@progbits
	.p2align	6, 0x0
	.amdhsa_kernel _ZN7rocprim17ROCPRIM_400000_NS6detail17trampoline_kernelINS0_14default_configENS1_27scan_by_key_config_selectorIiiEEZZNS1_16scan_by_key_implILNS1_25lookback_scan_determinismE0ELb0ES3_N6thrust23THRUST_200600_302600_NS16reverse_iteratorIPKiEESD_NSA_IPiEEiN6hipcub16HIPCUB_304000_NS3MaxENSH_8EqualityEiEE10hipError_tPvRmT2_T3_T4_T5_mT6_T7_P12ihipStream_tbENKUlT_T0_E_clISt17integral_constantIbLb0EES10_EEDaSV_SW_EUlSV_E_NS1_11comp_targetILNS1_3genE10ELNS1_11target_archE1200ELNS1_3gpuE4ELNS1_3repE0EEENS1_30default_config_static_selectorELNS0_4arch9wavefront6targetE1EEEvT1_
		.amdhsa_group_segment_fixed_size 0
		.amdhsa_private_segment_fixed_size 0
		.amdhsa_kernarg_size 112
		.amdhsa_user_sgpr_count 2
		.amdhsa_user_sgpr_dispatch_ptr 0
		.amdhsa_user_sgpr_queue_ptr 0
		.amdhsa_user_sgpr_kernarg_segment_ptr 1
		.amdhsa_user_sgpr_dispatch_id 0
		.amdhsa_user_sgpr_kernarg_preload_length 0
		.amdhsa_user_sgpr_kernarg_preload_offset 0
		.amdhsa_user_sgpr_private_segment_size 0
		.amdhsa_uses_dynamic_stack 0
		.amdhsa_enable_private_segment 0
		.amdhsa_system_sgpr_workgroup_id_x 1
		.amdhsa_system_sgpr_workgroup_id_y 0
		.amdhsa_system_sgpr_workgroup_id_z 0
		.amdhsa_system_sgpr_workgroup_info 0
		.amdhsa_system_vgpr_workitem_id 0
		.amdhsa_next_free_vgpr 1
		.amdhsa_next_free_sgpr 0
		.amdhsa_accum_offset 4
		.amdhsa_reserve_vcc 0
		.amdhsa_float_round_mode_32 0
		.amdhsa_float_round_mode_16_64 0
		.amdhsa_float_denorm_mode_32 3
		.amdhsa_float_denorm_mode_16_64 3
		.amdhsa_dx10_clamp 1
		.amdhsa_ieee_mode 1
		.amdhsa_fp16_overflow 0
		.amdhsa_tg_split 0
		.amdhsa_exception_fp_ieee_invalid_op 0
		.amdhsa_exception_fp_denorm_src 0
		.amdhsa_exception_fp_ieee_div_zero 0
		.amdhsa_exception_fp_ieee_overflow 0
		.amdhsa_exception_fp_ieee_underflow 0
		.amdhsa_exception_fp_ieee_inexact 0
		.amdhsa_exception_int_div_zero 0
	.end_amdhsa_kernel
	.section	.text._ZN7rocprim17ROCPRIM_400000_NS6detail17trampoline_kernelINS0_14default_configENS1_27scan_by_key_config_selectorIiiEEZZNS1_16scan_by_key_implILNS1_25lookback_scan_determinismE0ELb0ES3_N6thrust23THRUST_200600_302600_NS16reverse_iteratorIPKiEESD_NSA_IPiEEiN6hipcub16HIPCUB_304000_NS3MaxENSH_8EqualityEiEE10hipError_tPvRmT2_T3_T4_T5_mT6_T7_P12ihipStream_tbENKUlT_T0_E_clISt17integral_constantIbLb0EES10_EEDaSV_SW_EUlSV_E_NS1_11comp_targetILNS1_3genE10ELNS1_11target_archE1200ELNS1_3gpuE4ELNS1_3repE0EEENS1_30default_config_static_selectorELNS0_4arch9wavefront6targetE1EEEvT1_,"axG",@progbits,_ZN7rocprim17ROCPRIM_400000_NS6detail17trampoline_kernelINS0_14default_configENS1_27scan_by_key_config_selectorIiiEEZZNS1_16scan_by_key_implILNS1_25lookback_scan_determinismE0ELb0ES3_N6thrust23THRUST_200600_302600_NS16reverse_iteratorIPKiEESD_NSA_IPiEEiN6hipcub16HIPCUB_304000_NS3MaxENSH_8EqualityEiEE10hipError_tPvRmT2_T3_T4_T5_mT6_T7_P12ihipStream_tbENKUlT_T0_E_clISt17integral_constantIbLb0EES10_EEDaSV_SW_EUlSV_E_NS1_11comp_targetILNS1_3genE10ELNS1_11target_archE1200ELNS1_3gpuE4ELNS1_3repE0EEENS1_30default_config_static_selectorELNS0_4arch9wavefront6targetE1EEEvT1_,comdat
.Lfunc_end59:
	.size	_ZN7rocprim17ROCPRIM_400000_NS6detail17trampoline_kernelINS0_14default_configENS1_27scan_by_key_config_selectorIiiEEZZNS1_16scan_by_key_implILNS1_25lookback_scan_determinismE0ELb0ES3_N6thrust23THRUST_200600_302600_NS16reverse_iteratorIPKiEESD_NSA_IPiEEiN6hipcub16HIPCUB_304000_NS3MaxENSH_8EqualityEiEE10hipError_tPvRmT2_T3_T4_T5_mT6_T7_P12ihipStream_tbENKUlT_T0_E_clISt17integral_constantIbLb0EES10_EEDaSV_SW_EUlSV_E_NS1_11comp_targetILNS1_3genE10ELNS1_11target_archE1200ELNS1_3gpuE4ELNS1_3repE0EEENS1_30default_config_static_selectorELNS0_4arch9wavefront6targetE1EEEvT1_, .Lfunc_end59-_ZN7rocprim17ROCPRIM_400000_NS6detail17trampoline_kernelINS0_14default_configENS1_27scan_by_key_config_selectorIiiEEZZNS1_16scan_by_key_implILNS1_25lookback_scan_determinismE0ELb0ES3_N6thrust23THRUST_200600_302600_NS16reverse_iteratorIPKiEESD_NSA_IPiEEiN6hipcub16HIPCUB_304000_NS3MaxENSH_8EqualityEiEE10hipError_tPvRmT2_T3_T4_T5_mT6_T7_P12ihipStream_tbENKUlT_T0_E_clISt17integral_constantIbLb0EES10_EEDaSV_SW_EUlSV_E_NS1_11comp_targetILNS1_3genE10ELNS1_11target_archE1200ELNS1_3gpuE4ELNS1_3repE0EEENS1_30default_config_static_selectorELNS0_4arch9wavefront6targetE1EEEvT1_
                                        ; -- End function
	.set _ZN7rocprim17ROCPRIM_400000_NS6detail17trampoline_kernelINS0_14default_configENS1_27scan_by_key_config_selectorIiiEEZZNS1_16scan_by_key_implILNS1_25lookback_scan_determinismE0ELb0ES3_N6thrust23THRUST_200600_302600_NS16reverse_iteratorIPKiEESD_NSA_IPiEEiN6hipcub16HIPCUB_304000_NS3MaxENSH_8EqualityEiEE10hipError_tPvRmT2_T3_T4_T5_mT6_T7_P12ihipStream_tbENKUlT_T0_E_clISt17integral_constantIbLb0EES10_EEDaSV_SW_EUlSV_E_NS1_11comp_targetILNS1_3genE10ELNS1_11target_archE1200ELNS1_3gpuE4ELNS1_3repE0EEENS1_30default_config_static_selectorELNS0_4arch9wavefront6targetE1EEEvT1_.num_vgpr, 0
	.set _ZN7rocprim17ROCPRIM_400000_NS6detail17trampoline_kernelINS0_14default_configENS1_27scan_by_key_config_selectorIiiEEZZNS1_16scan_by_key_implILNS1_25lookback_scan_determinismE0ELb0ES3_N6thrust23THRUST_200600_302600_NS16reverse_iteratorIPKiEESD_NSA_IPiEEiN6hipcub16HIPCUB_304000_NS3MaxENSH_8EqualityEiEE10hipError_tPvRmT2_T3_T4_T5_mT6_T7_P12ihipStream_tbENKUlT_T0_E_clISt17integral_constantIbLb0EES10_EEDaSV_SW_EUlSV_E_NS1_11comp_targetILNS1_3genE10ELNS1_11target_archE1200ELNS1_3gpuE4ELNS1_3repE0EEENS1_30default_config_static_selectorELNS0_4arch9wavefront6targetE1EEEvT1_.num_agpr, 0
	.set _ZN7rocprim17ROCPRIM_400000_NS6detail17trampoline_kernelINS0_14default_configENS1_27scan_by_key_config_selectorIiiEEZZNS1_16scan_by_key_implILNS1_25lookback_scan_determinismE0ELb0ES3_N6thrust23THRUST_200600_302600_NS16reverse_iteratorIPKiEESD_NSA_IPiEEiN6hipcub16HIPCUB_304000_NS3MaxENSH_8EqualityEiEE10hipError_tPvRmT2_T3_T4_T5_mT6_T7_P12ihipStream_tbENKUlT_T0_E_clISt17integral_constantIbLb0EES10_EEDaSV_SW_EUlSV_E_NS1_11comp_targetILNS1_3genE10ELNS1_11target_archE1200ELNS1_3gpuE4ELNS1_3repE0EEENS1_30default_config_static_selectorELNS0_4arch9wavefront6targetE1EEEvT1_.numbered_sgpr, 0
	.set _ZN7rocprim17ROCPRIM_400000_NS6detail17trampoline_kernelINS0_14default_configENS1_27scan_by_key_config_selectorIiiEEZZNS1_16scan_by_key_implILNS1_25lookback_scan_determinismE0ELb0ES3_N6thrust23THRUST_200600_302600_NS16reverse_iteratorIPKiEESD_NSA_IPiEEiN6hipcub16HIPCUB_304000_NS3MaxENSH_8EqualityEiEE10hipError_tPvRmT2_T3_T4_T5_mT6_T7_P12ihipStream_tbENKUlT_T0_E_clISt17integral_constantIbLb0EES10_EEDaSV_SW_EUlSV_E_NS1_11comp_targetILNS1_3genE10ELNS1_11target_archE1200ELNS1_3gpuE4ELNS1_3repE0EEENS1_30default_config_static_selectorELNS0_4arch9wavefront6targetE1EEEvT1_.num_named_barrier, 0
	.set _ZN7rocprim17ROCPRIM_400000_NS6detail17trampoline_kernelINS0_14default_configENS1_27scan_by_key_config_selectorIiiEEZZNS1_16scan_by_key_implILNS1_25lookback_scan_determinismE0ELb0ES3_N6thrust23THRUST_200600_302600_NS16reverse_iteratorIPKiEESD_NSA_IPiEEiN6hipcub16HIPCUB_304000_NS3MaxENSH_8EqualityEiEE10hipError_tPvRmT2_T3_T4_T5_mT6_T7_P12ihipStream_tbENKUlT_T0_E_clISt17integral_constantIbLb0EES10_EEDaSV_SW_EUlSV_E_NS1_11comp_targetILNS1_3genE10ELNS1_11target_archE1200ELNS1_3gpuE4ELNS1_3repE0EEENS1_30default_config_static_selectorELNS0_4arch9wavefront6targetE1EEEvT1_.private_seg_size, 0
	.set _ZN7rocprim17ROCPRIM_400000_NS6detail17trampoline_kernelINS0_14default_configENS1_27scan_by_key_config_selectorIiiEEZZNS1_16scan_by_key_implILNS1_25lookback_scan_determinismE0ELb0ES3_N6thrust23THRUST_200600_302600_NS16reverse_iteratorIPKiEESD_NSA_IPiEEiN6hipcub16HIPCUB_304000_NS3MaxENSH_8EqualityEiEE10hipError_tPvRmT2_T3_T4_T5_mT6_T7_P12ihipStream_tbENKUlT_T0_E_clISt17integral_constantIbLb0EES10_EEDaSV_SW_EUlSV_E_NS1_11comp_targetILNS1_3genE10ELNS1_11target_archE1200ELNS1_3gpuE4ELNS1_3repE0EEENS1_30default_config_static_selectorELNS0_4arch9wavefront6targetE1EEEvT1_.uses_vcc, 0
	.set _ZN7rocprim17ROCPRIM_400000_NS6detail17trampoline_kernelINS0_14default_configENS1_27scan_by_key_config_selectorIiiEEZZNS1_16scan_by_key_implILNS1_25lookback_scan_determinismE0ELb0ES3_N6thrust23THRUST_200600_302600_NS16reverse_iteratorIPKiEESD_NSA_IPiEEiN6hipcub16HIPCUB_304000_NS3MaxENSH_8EqualityEiEE10hipError_tPvRmT2_T3_T4_T5_mT6_T7_P12ihipStream_tbENKUlT_T0_E_clISt17integral_constantIbLb0EES10_EEDaSV_SW_EUlSV_E_NS1_11comp_targetILNS1_3genE10ELNS1_11target_archE1200ELNS1_3gpuE4ELNS1_3repE0EEENS1_30default_config_static_selectorELNS0_4arch9wavefront6targetE1EEEvT1_.uses_flat_scratch, 0
	.set _ZN7rocprim17ROCPRIM_400000_NS6detail17trampoline_kernelINS0_14default_configENS1_27scan_by_key_config_selectorIiiEEZZNS1_16scan_by_key_implILNS1_25lookback_scan_determinismE0ELb0ES3_N6thrust23THRUST_200600_302600_NS16reverse_iteratorIPKiEESD_NSA_IPiEEiN6hipcub16HIPCUB_304000_NS3MaxENSH_8EqualityEiEE10hipError_tPvRmT2_T3_T4_T5_mT6_T7_P12ihipStream_tbENKUlT_T0_E_clISt17integral_constantIbLb0EES10_EEDaSV_SW_EUlSV_E_NS1_11comp_targetILNS1_3genE10ELNS1_11target_archE1200ELNS1_3gpuE4ELNS1_3repE0EEENS1_30default_config_static_selectorELNS0_4arch9wavefront6targetE1EEEvT1_.has_dyn_sized_stack, 0
	.set _ZN7rocprim17ROCPRIM_400000_NS6detail17trampoline_kernelINS0_14default_configENS1_27scan_by_key_config_selectorIiiEEZZNS1_16scan_by_key_implILNS1_25lookback_scan_determinismE0ELb0ES3_N6thrust23THRUST_200600_302600_NS16reverse_iteratorIPKiEESD_NSA_IPiEEiN6hipcub16HIPCUB_304000_NS3MaxENSH_8EqualityEiEE10hipError_tPvRmT2_T3_T4_T5_mT6_T7_P12ihipStream_tbENKUlT_T0_E_clISt17integral_constantIbLb0EES10_EEDaSV_SW_EUlSV_E_NS1_11comp_targetILNS1_3genE10ELNS1_11target_archE1200ELNS1_3gpuE4ELNS1_3repE0EEENS1_30default_config_static_selectorELNS0_4arch9wavefront6targetE1EEEvT1_.has_recursion, 0
	.set _ZN7rocprim17ROCPRIM_400000_NS6detail17trampoline_kernelINS0_14default_configENS1_27scan_by_key_config_selectorIiiEEZZNS1_16scan_by_key_implILNS1_25lookback_scan_determinismE0ELb0ES3_N6thrust23THRUST_200600_302600_NS16reverse_iteratorIPKiEESD_NSA_IPiEEiN6hipcub16HIPCUB_304000_NS3MaxENSH_8EqualityEiEE10hipError_tPvRmT2_T3_T4_T5_mT6_T7_P12ihipStream_tbENKUlT_T0_E_clISt17integral_constantIbLb0EES10_EEDaSV_SW_EUlSV_E_NS1_11comp_targetILNS1_3genE10ELNS1_11target_archE1200ELNS1_3gpuE4ELNS1_3repE0EEENS1_30default_config_static_selectorELNS0_4arch9wavefront6targetE1EEEvT1_.has_indirect_call, 0
	.section	.AMDGPU.csdata,"",@progbits
; Kernel info:
; codeLenInByte = 0
; TotalNumSgprs: 6
; NumVgprs: 0
; NumAgprs: 0
; TotalNumVgprs: 0
; ScratchSize: 0
; MemoryBound: 0
; FloatMode: 240
; IeeeMode: 1
; LDSByteSize: 0 bytes/workgroup (compile time only)
; SGPRBlocks: 0
; VGPRBlocks: 0
; NumSGPRsForWavesPerEU: 6
; NumVGPRsForWavesPerEU: 1
; AccumOffset: 4
; Occupancy: 8
; WaveLimiterHint : 0
; COMPUTE_PGM_RSRC2:SCRATCH_EN: 0
; COMPUTE_PGM_RSRC2:USER_SGPR: 2
; COMPUTE_PGM_RSRC2:TRAP_HANDLER: 0
; COMPUTE_PGM_RSRC2:TGID_X_EN: 1
; COMPUTE_PGM_RSRC2:TGID_Y_EN: 0
; COMPUTE_PGM_RSRC2:TGID_Z_EN: 0
; COMPUTE_PGM_RSRC2:TIDIG_COMP_CNT: 0
; COMPUTE_PGM_RSRC3_GFX90A:ACCUM_OFFSET: 0
; COMPUTE_PGM_RSRC3_GFX90A:TG_SPLIT: 0
	.section	.text._ZN7rocprim17ROCPRIM_400000_NS6detail17trampoline_kernelINS0_14default_configENS1_27scan_by_key_config_selectorIiiEEZZNS1_16scan_by_key_implILNS1_25lookback_scan_determinismE0ELb0ES3_N6thrust23THRUST_200600_302600_NS16reverse_iteratorIPKiEESD_NSA_IPiEEiN6hipcub16HIPCUB_304000_NS3MaxENSH_8EqualityEiEE10hipError_tPvRmT2_T3_T4_T5_mT6_T7_P12ihipStream_tbENKUlT_T0_E_clISt17integral_constantIbLb0EES10_EEDaSV_SW_EUlSV_E_NS1_11comp_targetILNS1_3genE9ELNS1_11target_archE1100ELNS1_3gpuE3ELNS1_3repE0EEENS1_30default_config_static_selectorELNS0_4arch9wavefront6targetE1EEEvT1_,"axG",@progbits,_ZN7rocprim17ROCPRIM_400000_NS6detail17trampoline_kernelINS0_14default_configENS1_27scan_by_key_config_selectorIiiEEZZNS1_16scan_by_key_implILNS1_25lookback_scan_determinismE0ELb0ES3_N6thrust23THRUST_200600_302600_NS16reverse_iteratorIPKiEESD_NSA_IPiEEiN6hipcub16HIPCUB_304000_NS3MaxENSH_8EqualityEiEE10hipError_tPvRmT2_T3_T4_T5_mT6_T7_P12ihipStream_tbENKUlT_T0_E_clISt17integral_constantIbLb0EES10_EEDaSV_SW_EUlSV_E_NS1_11comp_targetILNS1_3genE9ELNS1_11target_archE1100ELNS1_3gpuE3ELNS1_3repE0EEENS1_30default_config_static_selectorELNS0_4arch9wavefront6targetE1EEEvT1_,comdat
	.protected	_ZN7rocprim17ROCPRIM_400000_NS6detail17trampoline_kernelINS0_14default_configENS1_27scan_by_key_config_selectorIiiEEZZNS1_16scan_by_key_implILNS1_25lookback_scan_determinismE0ELb0ES3_N6thrust23THRUST_200600_302600_NS16reverse_iteratorIPKiEESD_NSA_IPiEEiN6hipcub16HIPCUB_304000_NS3MaxENSH_8EqualityEiEE10hipError_tPvRmT2_T3_T4_T5_mT6_T7_P12ihipStream_tbENKUlT_T0_E_clISt17integral_constantIbLb0EES10_EEDaSV_SW_EUlSV_E_NS1_11comp_targetILNS1_3genE9ELNS1_11target_archE1100ELNS1_3gpuE3ELNS1_3repE0EEENS1_30default_config_static_selectorELNS0_4arch9wavefront6targetE1EEEvT1_ ; -- Begin function _ZN7rocprim17ROCPRIM_400000_NS6detail17trampoline_kernelINS0_14default_configENS1_27scan_by_key_config_selectorIiiEEZZNS1_16scan_by_key_implILNS1_25lookback_scan_determinismE0ELb0ES3_N6thrust23THRUST_200600_302600_NS16reverse_iteratorIPKiEESD_NSA_IPiEEiN6hipcub16HIPCUB_304000_NS3MaxENSH_8EqualityEiEE10hipError_tPvRmT2_T3_T4_T5_mT6_T7_P12ihipStream_tbENKUlT_T0_E_clISt17integral_constantIbLb0EES10_EEDaSV_SW_EUlSV_E_NS1_11comp_targetILNS1_3genE9ELNS1_11target_archE1100ELNS1_3gpuE3ELNS1_3repE0EEENS1_30default_config_static_selectorELNS0_4arch9wavefront6targetE1EEEvT1_
	.globl	_ZN7rocprim17ROCPRIM_400000_NS6detail17trampoline_kernelINS0_14default_configENS1_27scan_by_key_config_selectorIiiEEZZNS1_16scan_by_key_implILNS1_25lookback_scan_determinismE0ELb0ES3_N6thrust23THRUST_200600_302600_NS16reverse_iteratorIPKiEESD_NSA_IPiEEiN6hipcub16HIPCUB_304000_NS3MaxENSH_8EqualityEiEE10hipError_tPvRmT2_T3_T4_T5_mT6_T7_P12ihipStream_tbENKUlT_T0_E_clISt17integral_constantIbLb0EES10_EEDaSV_SW_EUlSV_E_NS1_11comp_targetILNS1_3genE9ELNS1_11target_archE1100ELNS1_3gpuE3ELNS1_3repE0EEENS1_30default_config_static_selectorELNS0_4arch9wavefront6targetE1EEEvT1_
	.p2align	8
	.type	_ZN7rocprim17ROCPRIM_400000_NS6detail17trampoline_kernelINS0_14default_configENS1_27scan_by_key_config_selectorIiiEEZZNS1_16scan_by_key_implILNS1_25lookback_scan_determinismE0ELb0ES3_N6thrust23THRUST_200600_302600_NS16reverse_iteratorIPKiEESD_NSA_IPiEEiN6hipcub16HIPCUB_304000_NS3MaxENSH_8EqualityEiEE10hipError_tPvRmT2_T3_T4_T5_mT6_T7_P12ihipStream_tbENKUlT_T0_E_clISt17integral_constantIbLb0EES10_EEDaSV_SW_EUlSV_E_NS1_11comp_targetILNS1_3genE9ELNS1_11target_archE1100ELNS1_3gpuE3ELNS1_3repE0EEENS1_30default_config_static_selectorELNS0_4arch9wavefront6targetE1EEEvT1_,@function
_ZN7rocprim17ROCPRIM_400000_NS6detail17trampoline_kernelINS0_14default_configENS1_27scan_by_key_config_selectorIiiEEZZNS1_16scan_by_key_implILNS1_25lookback_scan_determinismE0ELb0ES3_N6thrust23THRUST_200600_302600_NS16reverse_iteratorIPKiEESD_NSA_IPiEEiN6hipcub16HIPCUB_304000_NS3MaxENSH_8EqualityEiEE10hipError_tPvRmT2_T3_T4_T5_mT6_T7_P12ihipStream_tbENKUlT_T0_E_clISt17integral_constantIbLb0EES10_EEDaSV_SW_EUlSV_E_NS1_11comp_targetILNS1_3genE9ELNS1_11target_archE1100ELNS1_3gpuE3ELNS1_3repE0EEENS1_30default_config_static_selectorELNS0_4arch9wavefront6targetE1EEEvT1_: ; @_ZN7rocprim17ROCPRIM_400000_NS6detail17trampoline_kernelINS0_14default_configENS1_27scan_by_key_config_selectorIiiEEZZNS1_16scan_by_key_implILNS1_25lookback_scan_determinismE0ELb0ES3_N6thrust23THRUST_200600_302600_NS16reverse_iteratorIPKiEESD_NSA_IPiEEiN6hipcub16HIPCUB_304000_NS3MaxENSH_8EqualityEiEE10hipError_tPvRmT2_T3_T4_T5_mT6_T7_P12ihipStream_tbENKUlT_T0_E_clISt17integral_constantIbLb0EES10_EEDaSV_SW_EUlSV_E_NS1_11comp_targetILNS1_3genE9ELNS1_11target_archE1100ELNS1_3gpuE3ELNS1_3repE0EEENS1_30default_config_static_selectorELNS0_4arch9wavefront6targetE1EEEvT1_
; %bb.0:
	.section	.rodata,"a",@progbits
	.p2align	6, 0x0
	.amdhsa_kernel _ZN7rocprim17ROCPRIM_400000_NS6detail17trampoline_kernelINS0_14default_configENS1_27scan_by_key_config_selectorIiiEEZZNS1_16scan_by_key_implILNS1_25lookback_scan_determinismE0ELb0ES3_N6thrust23THRUST_200600_302600_NS16reverse_iteratorIPKiEESD_NSA_IPiEEiN6hipcub16HIPCUB_304000_NS3MaxENSH_8EqualityEiEE10hipError_tPvRmT2_T3_T4_T5_mT6_T7_P12ihipStream_tbENKUlT_T0_E_clISt17integral_constantIbLb0EES10_EEDaSV_SW_EUlSV_E_NS1_11comp_targetILNS1_3genE9ELNS1_11target_archE1100ELNS1_3gpuE3ELNS1_3repE0EEENS1_30default_config_static_selectorELNS0_4arch9wavefront6targetE1EEEvT1_
		.amdhsa_group_segment_fixed_size 0
		.amdhsa_private_segment_fixed_size 0
		.amdhsa_kernarg_size 112
		.amdhsa_user_sgpr_count 2
		.amdhsa_user_sgpr_dispatch_ptr 0
		.amdhsa_user_sgpr_queue_ptr 0
		.amdhsa_user_sgpr_kernarg_segment_ptr 1
		.amdhsa_user_sgpr_dispatch_id 0
		.amdhsa_user_sgpr_kernarg_preload_length 0
		.amdhsa_user_sgpr_kernarg_preload_offset 0
		.amdhsa_user_sgpr_private_segment_size 0
		.amdhsa_uses_dynamic_stack 0
		.amdhsa_enable_private_segment 0
		.amdhsa_system_sgpr_workgroup_id_x 1
		.amdhsa_system_sgpr_workgroup_id_y 0
		.amdhsa_system_sgpr_workgroup_id_z 0
		.amdhsa_system_sgpr_workgroup_info 0
		.amdhsa_system_vgpr_workitem_id 0
		.amdhsa_next_free_vgpr 1
		.amdhsa_next_free_sgpr 0
		.amdhsa_accum_offset 4
		.amdhsa_reserve_vcc 0
		.amdhsa_float_round_mode_32 0
		.amdhsa_float_round_mode_16_64 0
		.amdhsa_float_denorm_mode_32 3
		.amdhsa_float_denorm_mode_16_64 3
		.amdhsa_dx10_clamp 1
		.amdhsa_ieee_mode 1
		.amdhsa_fp16_overflow 0
		.amdhsa_tg_split 0
		.amdhsa_exception_fp_ieee_invalid_op 0
		.amdhsa_exception_fp_denorm_src 0
		.amdhsa_exception_fp_ieee_div_zero 0
		.amdhsa_exception_fp_ieee_overflow 0
		.amdhsa_exception_fp_ieee_underflow 0
		.amdhsa_exception_fp_ieee_inexact 0
		.amdhsa_exception_int_div_zero 0
	.end_amdhsa_kernel
	.section	.text._ZN7rocprim17ROCPRIM_400000_NS6detail17trampoline_kernelINS0_14default_configENS1_27scan_by_key_config_selectorIiiEEZZNS1_16scan_by_key_implILNS1_25lookback_scan_determinismE0ELb0ES3_N6thrust23THRUST_200600_302600_NS16reverse_iteratorIPKiEESD_NSA_IPiEEiN6hipcub16HIPCUB_304000_NS3MaxENSH_8EqualityEiEE10hipError_tPvRmT2_T3_T4_T5_mT6_T7_P12ihipStream_tbENKUlT_T0_E_clISt17integral_constantIbLb0EES10_EEDaSV_SW_EUlSV_E_NS1_11comp_targetILNS1_3genE9ELNS1_11target_archE1100ELNS1_3gpuE3ELNS1_3repE0EEENS1_30default_config_static_selectorELNS0_4arch9wavefront6targetE1EEEvT1_,"axG",@progbits,_ZN7rocprim17ROCPRIM_400000_NS6detail17trampoline_kernelINS0_14default_configENS1_27scan_by_key_config_selectorIiiEEZZNS1_16scan_by_key_implILNS1_25lookback_scan_determinismE0ELb0ES3_N6thrust23THRUST_200600_302600_NS16reverse_iteratorIPKiEESD_NSA_IPiEEiN6hipcub16HIPCUB_304000_NS3MaxENSH_8EqualityEiEE10hipError_tPvRmT2_T3_T4_T5_mT6_T7_P12ihipStream_tbENKUlT_T0_E_clISt17integral_constantIbLb0EES10_EEDaSV_SW_EUlSV_E_NS1_11comp_targetILNS1_3genE9ELNS1_11target_archE1100ELNS1_3gpuE3ELNS1_3repE0EEENS1_30default_config_static_selectorELNS0_4arch9wavefront6targetE1EEEvT1_,comdat
.Lfunc_end60:
	.size	_ZN7rocprim17ROCPRIM_400000_NS6detail17trampoline_kernelINS0_14default_configENS1_27scan_by_key_config_selectorIiiEEZZNS1_16scan_by_key_implILNS1_25lookback_scan_determinismE0ELb0ES3_N6thrust23THRUST_200600_302600_NS16reverse_iteratorIPKiEESD_NSA_IPiEEiN6hipcub16HIPCUB_304000_NS3MaxENSH_8EqualityEiEE10hipError_tPvRmT2_T3_T4_T5_mT6_T7_P12ihipStream_tbENKUlT_T0_E_clISt17integral_constantIbLb0EES10_EEDaSV_SW_EUlSV_E_NS1_11comp_targetILNS1_3genE9ELNS1_11target_archE1100ELNS1_3gpuE3ELNS1_3repE0EEENS1_30default_config_static_selectorELNS0_4arch9wavefront6targetE1EEEvT1_, .Lfunc_end60-_ZN7rocprim17ROCPRIM_400000_NS6detail17trampoline_kernelINS0_14default_configENS1_27scan_by_key_config_selectorIiiEEZZNS1_16scan_by_key_implILNS1_25lookback_scan_determinismE0ELb0ES3_N6thrust23THRUST_200600_302600_NS16reverse_iteratorIPKiEESD_NSA_IPiEEiN6hipcub16HIPCUB_304000_NS3MaxENSH_8EqualityEiEE10hipError_tPvRmT2_T3_T4_T5_mT6_T7_P12ihipStream_tbENKUlT_T0_E_clISt17integral_constantIbLb0EES10_EEDaSV_SW_EUlSV_E_NS1_11comp_targetILNS1_3genE9ELNS1_11target_archE1100ELNS1_3gpuE3ELNS1_3repE0EEENS1_30default_config_static_selectorELNS0_4arch9wavefront6targetE1EEEvT1_
                                        ; -- End function
	.set _ZN7rocprim17ROCPRIM_400000_NS6detail17trampoline_kernelINS0_14default_configENS1_27scan_by_key_config_selectorIiiEEZZNS1_16scan_by_key_implILNS1_25lookback_scan_determinismE0ELb0ES3_N6thrust23THRUST_200600_302600_NS16reverse_iteratorIPKiEESD_NSA_IPiEEiN6hipcub16HIPCUB_304000_NS3MaxENSH_8EqualityEiEE10hipError_tPvRmT2_T3_T4_T5_mT6_T7_P12ihipStream_tbENKUlT_T0_E_clISt17integral_constantIbLb0EES10_EEDaSV_SW_EUlSV_E_NS1_11comp_targetILNS1_3genE9ELNS1_11target_archE1100ELNS1_3gpuE3ELNS1_3repE0EEENS1_30default_config_static_selectorELNS0_4arch9wavefront6targetE1EEEvT1_.num_vgpr, 0
	.set _ZN7rocprim17ROCPRIM_400000_NS6detail17trampoline_kernelINS0_14default_configENS1_27scan_by_key_config_selectorIiiEEZZNS1_16scan_by_key_implILNS1_25lookback_scan_determinismE0ELb0ES3_N6thrust23THRUST_200600_302600_NS16reverse_iteratorIPKiEESD_NSA_IPiEEiN6hipcub16HIPCUB_304000_NS3MaxENSH_8EqualityEiEE10hipError_tPvRmT2_T3_T4_T5_mT6_T7_P12ihipStream_tbENKUlT_T0_E_clISt17integral_constantIbLb0EES10_EEDaSV_SW_EUlSV_E_NS1_11comp_targetILNS1_3genE9ELNS1_11target_archE1100ELNS1_3gpuE3ELNS1_3repE0EEENS1_30default_config_static_selectorELNS0_4arch9wavefront6targetE1EEEvT1_.num_agpr, 0
	.set _ZN7rocprim17ROCPRIM_400000_NS6detail17trampoline_kernelINS0_14default_configENS1_27scan_by_key_config_selectorIiiEEZZNS1_16scan_by_key_implILNS1_25lookback_scan_determinismE0ELb0ES3_N6thrust23THRUST_200600_302600_NS16reverse_iteratorIPKiEESD_NSA_IPiEEiN6hipcub16HIPCUB_304000_NS3MaxENSH_8EqualityEiEE10hipError_tPvRmT2_T3_T4_T5_mT6_T7_P12ihipStream_tbENKUlT_T0_E_clISt17integral_constantIbLb0EES10_EEDaSV_SW_EUlSV_E_NS1_11comp_targetILNS1_3genE9ELNS1_11target_archE1100ELNS1_3gpuE3ELNS1_3repE0EEENS1_30default_config_static_selectorELNS0_4arch9wavefront6targetE1EEEvT1_.numbered_sgpr, 0
	.set _ZN7rocprim17ROCPRIM_400000_NS6detail17trampoline_kernelINS0_14default_configENS1_27scan_by_key_config_selectorIiiEEZZNS1_16scan_by_key_implILNS1_25lookback_scan_determinismE0ELb0ES3_N6thrust23THRUST_200600_302600_NS16reverse_iteratorIPKiEESD_NSA_IPiEEiN6hipcub16HIPCUB_304000_NS3MaxENSH_8EqualityEiEE10hipError_tPvRmT2_T3_T4_T5_mT6_T7_P12ihipStream_tbENKUlT_T0_E_clISt17integral_constantIbLb0EES10_EEDaSV_SW_EUlSV_E_NS1_11comp_targetILNS1_3genE9ELNS1_11target_archE1100ELNS1_3gpuE3ELNS1_3repE0EEENS1_30default_config_static_selectorELNS0_4arch9wavefront6targetE1EEEvT1_.num_named_barrier, 0
	.set _ZN7rocprim17ROCPRIM_400000_NS6detail17trampoline_kernelINS0_14default_configENS1_27scan_by_key_config_selectorIiiEEZZNS1_16scan_by_key_implILNS1_25lookback_scan_determinismE0ELb0ES3_N6thrust23THRUST_200600_302600_NS16reverse_iteratorIPKiEESD_NSA_IPiEEiN6hipcub16HIPCUB_304000_NS3MaxENSH_8EqualityEiEE10hipError_tPvRmT2_T3_T4_T5_mT6_T7_P12ihipStream_tbENKUlT_T0_E_clISt17integral_constantIbLb0EES10_EEDaSV_SW_EUlSV_E_NS1_11comp_targetILNS1_3genE9ELNS1_11target_archE1100ELNS1_3gpuE3ELNS1_3repE0EEENS1_30default_config_static_selectorELNS0_4arch9wavefront6targetE1EEEvT1_.private_seg_size, 0
	.set _ZN7rocprim17ROCPRIM_400000_NS6detail17trampoline_kernelINS0_14default_configENS1_27scan_by_key_config_selectorIiiEEZZNS1_16scan_by_key_implILNS1_25lookback_scan_determinismE0ELb0ES3_N6thrust23THRUST_200600_302600_NS16reverse_iteratorIPKiEESD_NSA_IPiEEiN6hipcub16HIPCUB_304000_NS3MaxENSH_8EqualityEiEE10hipError_tPvRmT2_T3_T4_T5_mT6_T7_P12ihipStream_tbENKUlT_T0_E_clISt17integral_constantIbLb0EES10_EEDaSV_SW_EUlSV_E_NS1_11comp_targetILNS1_3genE9ELNS1_11target_archE1100ELNS1_3gpuE3ELNS1_3repE0EEENS1_30default_config_static_selectorELNS0_4arch9wavefront6targetE1EEEvT1_.uses_vcc, 0
	.set _ZN7rocprim17ROCPRIM_400000_NS6detail17trampoline_kernelINS0_14default_configENS1_27scan_by_key_config_selectorIiiEEZZNS1_16scan_by_key_implILNS1_25lookback_scan_determinismE0ELb0ES3_N6thrust23THRUST_200600_302600_NS16reverse_iteratorIPKiEESD_NSA_IPiEEiN6hipcub16HIPCUB_304000_NS3MaxENSH_8EqualityEiEE10hipError_tPvRmT2_T3_T4_T5_mT6_T7_P12ihipStream_tbENKUlT_T0_E_clISt17integral_constantIbLb0EES10_EEDaSV_SW_EUlSV_E_NS1_11comp_targetILNS1_3genE9ELNS1_11target_archE1100ELNS1_3gpuE3ELNS1_3repE0EEENS1_30default_config_static_selectorELNS0_4arch9wavefront6targetE1EEEvT1_.uses_flat_scratch, 0
	.set _ZN7rocprim17ROCPRIM_400000_NS6detail17trampoline_kernelINS0_14default_configENS1_27scan_by_key_config_selectorIiiEEZZNS1_16scan_by_key_implILNS1_25lookback_scan_determinismE0ELb0ES3_N6thrust23THRUST_200600_302600_NS16reverse_iteratorIPKiEESD_NSA_IPiEEiN6hipcub16HIPCUB_304000_NS3MaxENSH_8EqualityEiEE10hipError_tPvRmT2_T3_T4_T5_mT6_T7_P12ihipStream_tbENKUlT_T0_E_clISt17integral_constantIbLb0EES10_EEDaSV_SW_EUlSV_E_NS1_11comp_targetILNS1_3genE9ELNS1_11target_archE1100ELNS1_3gpuE3ELNS1_3repE0EEENS1_30default_config_static_selectorELNS0_4arch9wavefront6targetE1EEEvT1_.has_dyn_sized_stack, 0
	.set _ZN7rocprim17ROCPRIM_400000_NS6detail17trampoline_kernelINS0_14default_configENS1_27scan_by_key_config_selectorIiiEEZZNS1_16scan_by_key_implILNS1_25lookback_scan_determinismE0ELb0ES3_N6thrust23THRUST_200600_302600_NS16reverse_iteratorIPKiEESD_NSA_IPiEEiN6hipcub16HIPCUB_304000_NS3MaxENSH_8EqualityEiEE10hipError_tPvRmT2_T3_T4_T5_mT6_T7_P12ihipStream_tbENKUlT_T0_E_clISt17integral_constantIbLb0EES10_EEDaSV_SW_EUlSV_E_NS1_11comp_targetILNS1_3genE9ELNS1_11target_archE1100ELNS1_3gpuE3ELNS1_3repE0EEENS1_30default_config_static_selectorELNS0_4arch9wavefront6targetE1EEEvT1_.has_recursion, 0
	.set _ZN7rocprim17ROCPRIM_400000_NS6detail17trampoline_kernelINS0_14default_configENS1_27scan_by_key_config_selectorIiiEEZZNS1_16scan_by_key_implILNS1_25lookback_scan_determinismE0ELb0ES3_N6thrust23THRUST_200600_302600_NS16reverse_iteratorIPKiEESD_NSA_IPiEEiN6hipcub16HIPCUB_304000_NS3MaxENSH_8EqualityEiEE10hipError_tPvRmT2_T3_T4_T5_mT6_T7_P12ihipStream_tbENKUlT_T0_E_clISt17integral_constantIbLb0EES10_EEDaSV_SW_EUlSV_E_NS1_11comp_targetILNS1_3genE9ELNS1_11target_archE1100ELNS1_3gpuE3ELNS1_3repE0EEENS1_30default_config_static_selectorELNS0_4arch9wavefront6targetE1EEEvT1_.has_indirect_call, 0
	.section	.AMDGPU.csdata,"",@progbits
; Kernel info:
; codeLenInByte = 0
; TotalNumSgprs: 6
; NumVgprs: 0
; NumAgprs: 0
; TotalNumVgprs: 0
; ScratchSize: 0
; MemoryBound: 0
; FloatMode: 240
; IeeeMode: 1
; LDSByteSize: 0 bytes/workgroup (compile time only)
; SGPRBlocks: 0
; VGPRBlocks: 0
; NumSGPRsForWavesPerEU: 6
; NumVGPRsForWavesPerEU: 1
; AccumOffset: 4
; Occupancy: 8
; WaveLimiterHint : 0
; COMPUTE_PGM_RSRC2:SCRATCH_EN: 0
; COMPUTE_PGM_RSRC2:USER_SGPR: 2
; COMPUTE_PGM_RSRC2:TRAP_HANDLER: 0
; COMPUTE_PGM_RSRC2:TGID_X_EN: 1
; COMPUTE_PGM_RSRC2:TGID_Y_EN: 0
; COMPUTE_PGM_RSRC2:TGID_Z_EN: 0
; COMPUTE_PGM_RSRC2:TIDIG_COMP_CNT: 0
; COMPUTE_PGM_RSRC3_GFX90A:ACCUM_OFFSET: 0
; COMPUTE_PGM_RSRC3_GFX90A:TG_SPLIT: 0
	.section	.text._ZN7rocprim17ROCPRIM_400000_NS6detail17trampoline_kernelINS0_14default_configENS1_27scan_by_key_config_selectorIiiEEZZNS1_16scan_by_key_implILNS1_25lookback_scan_determinismE0ELb0ES3_N6thrust23THRUST_200600_302600_NS16reverse_iteratorIPKiEESD_NSA_IPiEEiN6hipcub16HIPCUB_304000_NS3MaxENSH_8EqualityEiEE10hipError_tPvRmT2_T3_T4_T5_mT6_T7_P12ihipStream_tbENKUlT_T0_E_clISt17integral_constantIbLb0EES10_EEDaSV_SW_EUlSV_E_NS1_11comp_targetILNS1_3genE8ELNS1_11target_archE1030ELNS1_3gpuE2ELNS1_3repE0EEENS1_30default_config_static_selectorELNS0_4arch9wavefront6targetE1EEEvT1_,"axG",@progbits,_ZN7rocprim17ROCPRIM_400000_NS6detail17trampoline_kernelINS0_14default_configENS1_27scan_by_key_config_selectorIiiEEZZNS1_16scan_by_key_implILNS1_25lookback_scan_determinismE0ELb0ES3_N6thrust23THRUST_200600_302600_NS16reverse_iteratorIPKiEESD_NSA_IPiEEiN6hipcub16HIPCUB_304000_NS3MaxENSH_8EqualityEiEE10hipError_tPvRmT2_T3_T4_T5_mT6_T7_P12ihipStream_tbENKUlT_T0_E_clISt17integral_constantIbLb0EES10_EEDaSV_SW_EUlSV_E_NS1_11comp_targetILNS1_3genE8ELNS1_11target_archE1030ELNS1_3gpuE2ELNS1_3repE0EEENS1_30default_config_static_selectorELNS0_4arch9wavefront6targetE1EEEvT1_,comdat
	.protected	_ZN7rocprim17ROCPRIM_400000_NS6detail17trampoline_kernelINS0_14default_configENS1_27scan_by_key_config_selectorIiiEEZZNS1_16scan_by_key_implILNS1_25lookback_scan_determinismE0ELb0ES3_N6thrust23THRUST_200600_302600_NS16reverse_iteratorIPKiEESD_NSA_IPiEEiN6hipcub16HIPCUB_304000_NS3MaxENSH_8EqualityEiEE10hipError_tPvRmT2_T3_T4_T5_mT6_T7_P12ihipStream_tbENKUlT_T0_E_clISt17integral_constantIbLb0EES10_EEDaSV_SW_EUlSV_E_NS1_11comp_targetILNS1_3genE8ELNS1_11target_archE1030ELNS1_3gpuE2ELNS1_3repE0EEENS1_30default_config_static_selectorELNS0_4arch9wavefront6targetE1EEEvT1_ ; -- Begin function _ZN7rocprim17ROCPRIM_400000_NS6detail17trampoline_kernelINS0_14default_configENS1_27scan_by_key_config_selectorIiiEEZZNS1_16scan_by_key_implILNS1_25lookback_scan_determinismE0ELb0ES3_N6thrust23THRUST_200600_302600_NS16reverse_iteratorIPKiEESD_NSA_IPiEEiN6hipcub16HIPCUB_304000_NS3MaxENSH_8EqualityEiEE10hipError_tPvRmT2_T3_T4_T5_mT6_T7_P12ihipStream_tbENKUlT_T0_E_clISt17integral_constantIbLb0EES10_EEDaSV_SW_EUlSV_E_NS1_11comp_targetILNS1_3genE8ELNS1_11target_archE1030ELNS1_3gpuE2ELNS1_3repE0EEENS1_30default_config_static_selectorELNS0_4arch9wavefront6targetE1EEEvT1_
	.globl	_ZN7rocprim17ROCPRIM_400000_NS6detail17trampoline_kernelINS0_14default_configENS1_27scan_by_key_config_selectorIiiEEZZNS1_16scan_by_key_implILNS1_25lookback_scan_determinismE0ELb0ES3_N6thrust23THRUST_200600_302600_NS16reverse_iteratorIPKiEESD_NSA_IPiEEiN6hipcub16HIPCUB_304000_NS3MaxENSH_8EqualityEiEE10hipError_tPvRmT2_T3_T4_T5_mT6_T7_P12ihipStream_tbENKUlT_T0_E_clISt17integral_constantIbLb0EES10_EEDaSV_SW_EUlSV_E_NS1_11comp_targetILNS1_3genE8ELNS1_11target_archE1030ELNS1_3gpuE2ELNS1_3repE0EEENS1_30default_config_static_selectorELNS0_4arch9wavefront6targetE1EEEvT1_
	.p2align	8
	.type	_ZN7rocprim17ROCPRIM_400000_NS6detail17trampoline_kernelINS0_14default_configENS1_27scan_by_key_config_selectorIiiEEZZNS1_16scan_by_key_implILNS1_25lookback_scan_determinismE0ELb0ES3_N6thrust23THRUST_200600_302600_NS16reverse_iteratorIPKiEESD_NSA_IPiEEiN6hipcub16HIPCUB_304000_NS3MaxENSH_8EqualityEiEE10hipError_tPvRmT2_T3_T4_T5_mT6_T7_P12ihipStream_tbENKUlT_T0_E_clISt17integral_constantIbLb0EES10_EEDaSV_SW_EUlSV_E_NS1_11comp_targetILNS1_3genE8ELNS1_11target_archE1030ELNS1_3gpuE2ELNS1_3repE0EEENS1_30default_config_static_selectorELNS0_4arch9wavefront6targetE1EEEvT1_,@function
_ZN7rocprim17ROCPRIM_400000_NS6detail17trampoline_kernelINS0_14default_configENS1_27scan_by_key_config_selectorIiiEEZZNS1_16scan_by_key_implILNS1_25lookback_scan_determinismE0ELb0ES3_N6thrust23THRUST_200600_302600_NS16reverse_iteratorIPKiEESD_NSA_IPiEEiN6hipcub16HIPCUB_304000_NS3MaxENSH_8EqualityEiEE10hipError_tPvRmT2_T3_T4_T5_mT6_T7_P12ihipStream_tbENKUlT_T0_E_clISt17integral_constantIbLb0EES10_EEDaSV_SW_EUlSV_E_NS1_11comp_targetILNS1_3genE8ELNS1_11target_archE1030ELNS1_3gpuE2ELNS1_3repE0EEENS1_30default_config_static_selectorELNS0_4arch9wavefront6targetE1EEEvT1_: ; @_ZN7rocprim17ROCPRIM_400000_NS6detail17trampoline_kernelINS0_14default_configENS1_27scan_by_key_config_selectorIiiEEZZNS1_16scan_by_key_implILNS1_25lookback_scan_determinismE0ELb0ES3_N6thrust23THRUST_200600_302600_NS16reverse_iteratorIPKiEESD_NSA_IPiEEiN6hipcub16HIPCUB_304000_NS3MaxENSH_8EqualityEiEE10hipError_tPvRmT2_T3_T4_T5_mT6_T7_P12ihipStream_tbENKUlT_T0_E_clISt17integral_constantIbLb0EES10_EEDaSV_SW_EUlSV_E_NS1_11comp_targetILNS1_3genE8ELNS1_11target_archE1030ELNS1_3gpuE2ELNS1_3repE0EEENS1_30default_config_static_selectorELNS0_4arch9wavefront6targetE1EEEvT1_
; %bb.0:
	.section	.rodata,"a",@progbits
	.p2align	6, 0x0
	.amdhsa_kernel _ZN7rocprim17ROCPRIM_400000_NS6detail17trampoline_kernelINS0_14default_configENS1_27scan_by_key_config_selectorIiiEEZZNS1_16scan_by_key_implILNS1_25lookback_scan_determinismE0ELb0ES3_N6thrust23THRUST_200600_302600_NS16reverse_iteratorIPKiEESD_NSA_IPiEEiN6hipcub16HIPCUB_304000_NS3MaxENSH_8EqualityEiEE10hipError_tPvRmT2_T3_T4_T5_mT6_T7_P12ihipStream_tbENKUlT_T0_E_clISt17integral_constantIbLb0EES10_EEDaSV_SW_EUlSV_E_NS1_11comp_targetILNS1_3genE8ELNS1_11target_archE1030ELNS1_3gpuE2ELNS1_3repE0EEENS1_30default_config_static_selectorELNS0_4arch9wavefront6targetE1EEEvT1_
		.amdhsa_group_segment_fixed_size 0
		.amdhsa_private_segment_fixed_size 0
		.amdhsa_kernarg_size 112
		.amdhsa_user_sgpr_count 2
		.amdhsa_user_sgpr_dispatch_ptr 0
		.amdhsa_user_sgpr_queue_ptr 0
		.amdhsa_user_sgpr_kernarg_segment_ptr 1
		.amdhsa_user_sgpr_dispatch_id 0
		.amdhsa_user_sgpr_kernarg_preload_length 0
		.amdhsa_user_sgpr_kernarg_preload_offset 0
		.amdhsa_user_sgpr_private_segment_size 0
		.amdhsa_uses_dynamic_stack 0
		.amdhsa_enable_private_segment 0
		.amdhsa_system_sgpr_workgroup_id_x 1
		.amdhsa_system_sgpr_workgroup_id_y 0
		.amdhsa_system_sgpr_workgroup_id_z 0
		.amdhsa_system_sgpr_workgroup_info 0
		.amdhsa_system_vgpr_workitem_id 0
		.amdhsa_next_free_vgpr 1
		.amdhsa_next_free_sgpr 0
		.amdhsa_accum_offset 4
		.amdhsa_reserve_vcc 0
		.amdhsa_float_round_mode_32 0
		.amdhsa_float_round_mode_16_64 0
		.amdhsa_float_denorm_mode_32 3
		.amdhsa_float_denorm_mode_16_64 3
		.amdhsa_dx10_clamp 1
		.amdhsa_ieee_mode 1
		.amdhsa_fp16_overflow 0
		.amdhsa_tg_split 0
		.amdhsa_exception_fp_ieee_invalid_op 0
		.amdhsa_exception_fp_denorm_src 0
		.amdhsa_exception_fp_ieee_div_zero 0
		.amdhsa_exception_fp_ieee_overflow 0
		.amdhsa_exception_fp_ieee_underflow 0
		.amdhsa_exception_fp_ieee_inexact 0
		.amdhsa_exception_int_div_zero 0
	.end_amdhsa_kernel
	.section	.text._ZN7rocprim17ROCPRIM_400000_NS6detail17trampoline_kernelINS0_14default_configENS1_27scan_by_key_config_selectorIiiEEZZNS1_16scan_by_key_implILNS1_25lookback_scan_determinismE0ELb0ES3_N6thrust23THRUST_200600_302600_NS16reverse_iteratorIPKiEESD_NSA_IPiEEiN6hipcub16HIPCUB_304000_NS3MaxENSH_8EqualityEiEE10hipError_tPvRmT2_T3_T4_T5_mT6_T7_P12ihipStream_tbENKUlT_T0_E_clISt17integral_constantIbLb0EES10_EEDaSV_SW_EUlSV_E_NS1_11comp_targetILNS1_3genE8ELNS1_11target_archE1030ELNS1_3gpuE2ELNS1_3repE0EEENS1_30default_config_static_selectorELNS0_4arch9wavefront6targetE1EEEvT1_,"axG",@progbits,_ZN7rocprim17ROCPRIM_400000_NS6detail17trampoline_kernelINS0_14default_configENS1_27scan_by_key_config_selectorIiiEEZZNS1_16scan_by_key_implILNS1_25lookback_scan_determinismE0ELb0ES3_N6thrust23THRUST_200600_302600_NS16reverse_iteratorIPKiEESD_NSA_IPiEEiN6hipcub16HIPCUB_304000_NS3MaxENSH_8EqualityEiEE10hipError_tPvRmT2_T3_T4_T5_mT6_T7_P12ihipStream_tbENKUlT_T0_E_clISt17integral_constantIbLb0EES10_EEDaSV_SW_EUlSV_E_NS1_11comp_targetILNS1_3genE8ELNS1_11target_archE1030ELNS1_3gpuE2ELNS1_3repE0EEENS1_30default_config_static_selectorELNS0_4arch9wavefront6targetE1EEEvT1_,comdat
.Lfunc_end61:
	.size	_ZN7rocprim17ROCPRIM_400000_NS6detail17trampoline_kernelINS0_14default_configENS1_27scan_by_key_config_selectorIiiEEZZNS1_16scan_by_key_implILNS1_25lookback_scan_determinismE0ELb0ES3_N6thrust23THRUST_200600_302600_NS16reverse_iteratorIPKiEESD_NSA_IPiEEiN6hipcub16HIPCUB_304000_NS3MaxENSH_8EqualityEiEE10hipError_tPvRmT2_T3_T4_T5_mT6_T7_P12ihipStream_tbENKUlT_T0_E_clISt17integral_constantIbLb0EES10_EEDaSV_SW_EUlSV_E_NS1_11comp_targetILNS1_3genE8ELNS1_11target_archE1030ELNS1_3gpuE2ELNS1_3repE0EEENS1_30default_config_static_selectorELNS0_4arch9wavefront6targetE1EEEvT1_, .Lfunc_end61-_ZN7rocprim17ROCPRIM_400000_NS6detail17trampoline_kernelINS0_14default_configENS1_27scan_by_key_config_selectorIiiEEZZNS1_16scan_by_key_implILNS1_25lookback_scan_determinismE0ELb0ES3_N6thrust23THRUST_200600_302600_NS16reverse_iteratorIPKiEESD_NSA_IPiEEiN6hipcub16HIPCUB_304000_NS3MaxENSH_8EqualityEiEE10hipError_tPvRmT2_T3_T4_T5_mT6_T7_P12ihipStream_tbENKUlT_T0_E_clISt17integral_constantIbLb0EES10_EEDaSV_SW_EUlSV_E_NS1_11comp_targetILNS1_3genE8ELNS1_11target_archE1030ELNS1_3gpuE2ELNS1_3repE0EEENS1_30default_config_static_selectorELNS0_4arch9wavefront6targetE1EEEvT1_
                                        ; -- End function
	.set _ZN7rocprim17ROCPRIM_400000_NS6detail17trampoline_kernelINS0_14default_configENS1_27scan_by_key_config_selectorIiiEEZZNS1_16scan_by_key_implILNS1_25lookback_scan_determinismE0ELb0ES3_N6thrust23THRUST_200600_302600_NS16reverse_iteratorIPKiEESD_NSA_IPiEEiN6hipcub16HIPCUB_304000_NS3MaxENSH_8EqualityEiEE10hipError_tPvRmT2_T3_T4_T5_mT6_T7_P12ihipStream_tbENKUlT_T0_E_clISt17integral_constantIbLb0EES10_EEDaSV_SW_EUlSV_E_NS1_11comp_targetILNS1_3genE8ELNS1_11target_archE1030ELNS1_3gpuE2ELNS1_3repE0EEENS1_30default_config_static_selectorELNS0_4arch9wavefront6targetE1EEEvT1_.num_vgpr, 0
	.set _ZN7rocprim17ROCPRIM_400000_NS6detail17trampoline_kernelINS0_14default_configENS1_27scan_by_key_config_selectorIiiEEZZNS1_16scan_by_key_implILNS1_25lookback_scan_determinismE0ELb0ES3_N6thrust23THRUST_200600_302600_NS16reverse_iteratorIPKiEESD_NSA_IPiEEiN6hipcub16HIPCUB_304000_NS3MaxENSH_8EqualityEiEE10hipError_tPvRmT2_T3_T4_T5_mT6_T7_P12ihipStream_tbENKUlT_T0_E_clISt17integral_constantIbLb0EES10_EEDaSV_SW_EUlSV_E_NS1_11comp_targetILNS1_3genE8ELNS1_11target_archE1030ELNS1_3gpuE2ELNS1_3repE0EEENS1_30default_config_static_selectorELNS0_4arch9wavefront6targetE1EEEvT1_.num_agpr, 0
	.set _ZN7rocprim17ROCPRIM_400000_NS6detail17trampoline_kernelINS0_14default_configENS1_27scan_by_key_config_selectorIiiEEZZNS1_16scan_by_key_implILNS1_25lookback_scan_determinismE0ELb0ES3_N6thrust23THRUST_200600_302600_NS16reverse_iteratorIPKiEESD_NSA_IPiEEiN6hipcub16HIPCUB_304000_NS3MaxENSH_8EqualityEiEE10hipError_tPvRmT2_T3_T4_T5_mT6_T7_P12ihipStream_tbENKUlT_T0_E_clISt17integral_constantIbLb0EES10_EEDaSV_SW_EUlSV_E_NS1_11comp_targetILNS1_3genE8ELNS1_11target_archE1030ELNS1_3gpuE2ELNS1_3repE0EEENS1_30default_config_static_selectorELNS0_4arch9wavefront6targetE1EEEvT1_.numbered_sgpr, 0
	.set _ZN7rocprim17ROCPRIM_400000_NS6detail17trampoline_kernelINS0_14default_configENS1_27scan_by_key_config_selectorIiiEEZZNS1_16scan_by_key_implILNS1_25lookback_scan_determinismE0ELb0ES3_N6thrust23THRUST_200600_302600_NS16reverse_iteratorIPKiEESD_NSA_IPiEEiN6hipcub16HIPCUB_304000_NS3MaxENSH_8EqualityEiEE10hipError_tPvRmT2_T3_T4_T5_mT6_T7_P12ihipStream_tbENKUlT_T0_E_clISt17integral_constantIbLb0EES10_EEDaSV_SW_EUlSV_E_NS1_11comp_targetILNS1_3genE8ELNS1_11target_archE1030ELNS1_3gpuE2ELNS1_3repE0EEENS1_30default_config_static_selectorELNS0_4arch9wavefront6targetE1EEEvT1_.num_named_barrier, 0
	.set _ZN7rocprim17ROCPRIM_400000_NS6detail17trampoline_kernelINS0_14default_configENS1_27scan_by_key_config_selectorIiiEEZZNS1_16scan_by_key_implILNS1_25lookback_scan_determinismE0ELb0ES3_N6thrust23THRUST_200600_302600_NS16reverse_iteratorIPKiEESD_NSA_IPiEEiN6hipcub16HIPCUB_304000_NS3MaxENSH_8EqualityEiEE10hipError_tPvRmT2_T3_T4_T5_mT6_T7_P12ihipStream_tbENKUlT_T0_E_clISt17integral_constantIbLb0EES10_EEDaSV_SW_EUlSV_E_NS1_11comp_targetILNS1_3genE8ELNS1_11target_archE1030ELNS1_3gpuE2ELNS1_3repE0EEENS1_30default_config_static_selectorELNS0_4arch9wavefront6targetE1EEEvT1_.private_seg_size, 0
	.set _ZN7rocprim17ROCPRIM_400000_NS6detail17trampoline_kernelINS0_14default_configENS1_27scan_by_key_config_selectorIiiEEZZNS1_16scan_by_key_implILNS1_25lookback_scan_determinismE0ELb0ES3_N6thrust23THRUST_200600_302600_NS16reverse_iteratorIPKiEESD_NSA_IPiEEiN6hipcub16HIPCUB_304000_NS3MaxENSH_8EqualityEiEE10hipError_tPvRmT2_T3_T4_T5_mT6_T7_P12ihipStream_tbENKUlT_T0_E_clISt17integral_constantIbLb0EES10_EEDaSV_SW_EUlSV_E_NS1_11comp_targetILNS1_3genE8ELNS1_11target_archE1030ELNS1_3gpuE2ELNS1_3repE0EEENS1_30default_config_static_selectorELNS0_4arch9wavefront6targetE1EEEvT1_.uses_vcc, 0
	.set _ZN7rocprim17ROCPRIM_400000_NS6detail17trampoline_kernelINS0_14default_configENS1_27scan_by_key_config_selectorIiiEEZZNS1_16scan_by_key_implILNS1_25lookback_scan_determinismE0ELb0ES3_N6thrust23THRUST_200600_302600_NS16reverse_iteratorIPKiEESD_NSA_IPiEEiN6hipcub16HIPCUB_304000_NS3MaxENSH_8EqualityEiEE10hipError_tPvRmT2_T3_T4_T5_mT6_T7_P12ihipStream_tbENKUlT_T0_E_clISt17integral_constantIbLb0EES10_EEDaSV_SW_EUlSV_E_NS1_11comp_targetILNS1_3genE8ELNS1_11target_archE1030ELNS1_3gpuE2ELNS1_3repE0EEENS1_30default_config_static_selectorELNS0_4arch9wavefront6targetE1EEEvT1_.uses_flat_scratch, 0
	.set _ZN7rocprim17ROCPRIM_400000_NS6detail17trampoline_kernelINS0_14default_configENS1_27scan_by_key_config_selectorIiiEEZZNS1_16scan_by_key_implILNS1_25lookback_scan_determinismE0ELb0ES3_N6thrust23THRUST_200600_302600_NS16reverse_iteratorIPKiEESD_NSA_IPiEEiN6hipcub16HIPCUB_304000_NS3MaxENSH_8EqualityEiEE10hipError_tPvRmT2_T3_T4_T5_mT6_T7_P12ihipStream_tbENKUlT_T0_E_clISt17integral_constantIbLb0EES10_EEDaSV_SW_EUlSV_E_NS1_11comp_targetILNS1_3genE8ELNS1_11target_archE1030ELNS1_3gpuE2ELNS1_3repE0EEENS1_30default_config_static_selectorELNS0_4arch9wavefront6targetE1EEEvT1_.has_dyn_sized_stack, 0
	.set _ZN7rocprim17ROCPRIM_400000_NS6detail17trampoline_kernelINS0_14default_configENS1_27scan_by_key_config_selectorIiiEEZZNS1_16scan_by_key_implILNS1_25lookback_scan_determinismE0ELb0ES3_N6thrust23THRUST_200600_302600_NS16reverse_iteratorIPKiEESD_NSA_IPiEEiN6hipcub16HIPCUB_304000_NS3MaxENSH_8EqualityEiEE10hipError_tPvRmT2_T3_T4_T5_mT6_T7_P12ihipStream_tbENKUlT_T0_E_clISt17integral_constantIbLb0EES10_EEDaSV_SW_EUlSV_E_NS1_11comp_targetILNS1_3genE8ELNS1_11target_archE1030ELNS1_3gpuE2ELNS1_3repE0EEENS1_30default_config_static_selectorELNS0_4arch9wavefront6targetE1EEEvT1_.has_recursion, 0
	.set _ZN7rocprim17ROCPRIM_400000_NS6detail17trampoline_kernelINS0_14default_configENS1_27scan_by_key_config_selectorIiiEEZZNS1_16scan_by_key_implILNS1_25lookback_scan_determinismE0ELb0ES3_N6thrust23THRUST_200600_302600_NS16reverse_iteratorIPKiEESD_NSA_IPiEEiN6hipcub16HIPCUB_304000_NS3MaxENSH_8EqualityEiEE10hipError_tPvRmT2_T3_T4_T5_mT6_T7_P12ihipStream_tbENKUlT_T0_E_clISt17integral_constantIbLb0EES10_EEDaSV_SW_EUlSV_E_NS1_11comp_targetILNS1_3genE8ELNS1_11target_archE1030ELNS1_3gpuE2ELNS1_3repE0EEENS1_30default_config_static_selectorELNS0_4arch9wavefront6targetE1EEEvT1_.has_indirect_call, 0
	.section	.AMDGPU.csdata,"",@progbits
; Kernel info:
; codeLenInByte = 0
; TotalNumSgprs: 6
; NumVgprs: 0
; NumAgprs: 0
; TotalNumVgprs: 0
; ScratchSize: 0
; MemoryBound: 0
; FloatMode: 240
; IeeeMode: 1
; LDSByteSize: 0 bytes/workgroup (compile time only)
; SGPRBlocks: 0
; VGPRBlocks: 0
; NumSGPRsForWavesPerEU: 6
; NumVGPRsForWavesPerEU: 1
; AccumOffset: 4
; Occupancy: 8
; WaveLimiterHint : 0
; COMPUTE_PGM_RSRC2:SCRATCH_EN: 0
; COMPUTE_PGM_RSRC2:USER_SGPR: 2
; COMPUTE_PGM_RSRC2:TRAP_HANDLER: 0
; COMPUTE_PGM_RSRC2:TGID_X_EN: 1
; COMPUTE_PGM_RSRC2:TGID_Y_EN: 0
; COMPUTE_PGM_RSRC2:TGID_Z_EN: 0
; COMPUTE_PGM_RSRC2:TIDIG_COMP_CNT: 0
; COMPUTE_PGM_RSRC3_GFX90A:ACCUM_OFFSET: 0
; COMPUTE_PGM_RSRC3_GFX90A:TG_SPLIT: 0
	.section	.text._ZN7rocprim17ROCPRIM_400000_NS6detail30init_device_scan_by_key_kernelINS1_19lookback_scan_stateINS0_5tupleIJibEEELb1ELb1EEEN6thrust23THRUST_200600_302600_NS16reverse_iteratorIPKiEEjNS1_16block_id_wrapperIjLb1EEEEEvT_jjPNSF_10value_typeET0_PNSt15iterator_traitsISI_E10value_typeEmT1_T2_,"axG",@progbits,_ZN7rocprim17ROCPRIM_400000_NS6detail30init_device_scan_by_key_kernelINS1_19lookback_scan_stateINS0_5tupleIJibEEELb1ELb1EEEN6thrust23THRUST_200600_302600_NS16reverse_iteratorIPKiEEjNS1_16block_id_wrapperIjLb1EEEEEvT_jjPNSF_10value_typeET0_PNSt15iterator_traitsISI_E10value_typeEmT1_T2_,comdat
	.protected	_ZN7rocprim17ROCPRIM_400000_NS6detail30init_device_scan_by_key_kernelINS1_19lookback_scan_stateINS0_5tupleIJibEEELb1ELb1EEEN6thrust23THRUST_200600_302600_NS16reverse_iteratorIPKiEEjNS1_16block_id_wrapperIjLb1EEEEEvT_jjPNSF_10value_typeET0_PNSt15iterator_traitsISI_E10value_typeEmT1_T2_ ; -- Begin function _ZN7rocprim17ROCPRIM_400000_NS6detail30init_device_scan_by_key_kernelINS1_19lookback_scan_stateINS0_5tupleIJibEEELb1ELb1EEEN6thrust23THRUST_200600_302600_NS16reverse_iteratorIPKiEEjNS1_16block_id_wrapperIjLb1EEEEEvT_jjPNSF_10value_typeET0_PNSt15iterator_traitsISI_E10value_typeEmT1_T2_
	.globl	_ZN7rocprim17ROCPRIM_400000_NS6detail30init_device_scan_by_key_kernelINS1_19lookback_scan_stateINS0_5tupleIJibEEELb1ELb1EEEN6thrust23THRUST_200600_302600_NS16reverse_iteratorIPKiEEjNS1_16block_id_wrapperIjLb1EEEEEvT_jjPNSF_10value_typeET0_PNSt15iterator_traitsISI_E10value_typeEmT1_T2_
	.p2align	8
	.type	_ZN7rocprim17ROCPRIM_400000_NS6detail30init_device_scan_by_key_kernelINS1_19lookback_scan_stateINS0_5tupleIJibEEELb1ELb1EEEN6thrust23THRUST_200600_302600_NS16reverse_iteratorIPKiEEjNS1_16block_id_wrapperIjLb1EEEEEvT_jjPNSF_10value_typeET0_PNSt15iterator_traitsISI_E10value_typeEmT1_T2_,@function
_ZN7rocprim17ROCPRIM_400000_NS6detail30init_device_scan_by_key_kernelINS1_19lookback_scan_stateINS0_5tupleIJibEEELb1ELb1EEEN6thrust23THRUST_200600_302600_NS16reverse_iteratorIPKiEEjNS1_16block_id_wrapperIjLb1EEEEEvT_jjPNSF_10value_typeET0_PNSt15iterator_traitsISI_E10value_typeEmT1_T2_: ; @_ZN7rocprim17ROCPRIM_400000_NS6detail30init_device_scan_by_key_kernelINS1_19lookback_scan_stateINS0_5tupleIJibEEELb1ELb1EEEN6thrust23THRUST_200600_302600_NS16reverse_iteratorIPKiEEjNS1_16block_id_wrapperIjLb1EEEEEvT_jjPNSF_10value_typeET0_PNSt15iterator_traitsISI_E10value_typeEmT1_T2_
; %bb.0:
	s_load_dword s3, s[0:1], 0x4c
	s_load_dwordx8 s[4:11], s[0:1], 0x0
	s_load_dword s18, s[0:1], 0x40
	s_waitcnt lgkmcnt(0)
	s_and_b32 s19, s3, 0xffff
	s_mul_i32 s2, s2, s19
	s_cmp_eq_u64 s[8:9], 0
	v_add_u32_e32 v4, s2, v0
	s_cbranch_scc1 .LBB62_10
; %bb.1:
	s_cmp_lt_u32 s7, s6
	s_cselect_b32 s2, s7, 0
	s_mov_b32 s13, 0
	v_cmp_eq_u32_e32 vcc, s2, v4
	s_and_saveexec_b64 s[2:3], vcc
	s_cbranch_execz .LBB62_9
; %bb.2:
	s_add_i32 s12, s7, 64
	s_lshl_b64 s[12:13], s[12:13], 4
	s_add_u32 s16, s4, s12
	s_addc_u32 s17, s5, s13
	v_mov_b64_e32 v[0:1], s[16:17]
	;;#ASMSTART
	global_load_dwordx4 v[0:3], v[0:1] off sc1	
s_waitcnt vmcnt(0)
	;;#ASMEND
	v_mov_b32_e32 v7, 0
	v_and_b32_e32 v6, 0xff, v2
	s_mov_b64 s[14:15], 0
	v_cmp_eq_u64_e32 vcc, 0, v[6:7]
	s_and_saveexec_b64 s[12:13], vcc
	s_cbranch_execz .LBB62_8
; %bb.3:
	s_mov_b32 s7, 1
	v_mov_b64_e32 v[8:9], s[16:17]
.LBB62_4:                               ; =>This Loop Header: Depth=1
                                        ;     Child Loop BB62_5 Depth 2
	s_mov_b32 s16, s7
.LBB62_5:                               ;   Parent Loop BB62_4 Depth=1
                                        ; =>  This Inner Loop Header: Depth=2
	s_add_i32 s16, s16, -1
	s_cmp_eq_u32 s16, 0
	s_sleep 1
	s_cbranch_scc0 .LBB62_5
; %bb.6:                                ;   in Loop: Header=BB62_4 Depth=1
	s_cmp_lt_u32 s7, 32
	s_cselect_b64 s[16:17], -1, 0
	s_cmp_lg_u64 s[16:17], 0
	;;#ASMSTART
	global_load_dwordx4 v[0:3], v[8:9] off sc1	
s_waitcnt vmcnt(0)
	;;#ASMEND
	s_addc_u32 s7, s7, 0
	v_and_b32_e32 v6, 0xff, v2
	v_cmp_ne_u64_e32 vcc, 0, v[6:7]
	s_or_b64 s[14:15], vcc, s[14:15]
	s_andn2_b64 exec, exec, s[14:15]
	s_cbranch_execnz .LBB62_4
; %bb.7:
	s_or_b64 exec, exec, s[14:15]
.LBB62_8:
	s_or_b64 exec, exec, s[12:13]
	v_mov_b32_e32 v2, 0
	global_store_dword v2, v0, s[8:9]
	global_store_byte v2, v1, s[8:9] offset:4
.LBB62_9:
	s_or_b64 exec, exec, s[2:3]
.LBB62_10:
	v_cmp_eq_u32_e32 vcc, 0, v4
	s_and_saveexec_b64 s[2:3], vcc
	s_cbranch_execz .LBB62_12
; %bb.11:
	s_load_dwordx2 s[8:9], s[0:1], 0x38
	v_mov_b32_e32 v0, 0
	s_waitcnt lgkmcnt(0)
	global_store_dword v0, v0, s[8:9]
.LBB62_12:
	s_or_b64 exec, exec, s[2:3]
	v_cmp_gt_u32_e32 vcc, s6, v4
	s_and_saveexec_b64 s[2:3], vcc
	s_cbranch_execz .LBB62_14
; %bb.13:
	v_add_u32_e32 v0, 64, v4
	v_mov_b32_e32 v1, 0
	v_lshl_add_u64 v[6:7], v[0:1], 4, s[4:5]
	v_mov_b32_e32 v0, v1
	v_mov_b32_e32 v2, v1
	;; [unrolled: 1-line block ×3, first 2 shown]
	global_store_dwordx4 v[6:7], v[0:3], off
.LBB62_14:
	s_or_b64 exec, exec, s[2:3]
	v_cmp_gt_u32_e32 vcc, 64, v4
	v_mov_b32_e32 v5, 0
	s_and_saveexec_b64 s[2:3], vcc
	s_cbranch_execz .LBB62_16
; %bb.15:
	v_lshl_add_u64 v[6:7], v[4:5], 4, s[4:5]
	v_mov_b32_e32 v2, 0xff
	v_mov_b32_e32 v0, v5
	;; [unrolled: 1-line block ×4, first 2 shown]
	global_store_dwordx4 v[6:7], v[0:3], off
.LBB62_16:
	s_or_b64 exec, exec, s[2:3]
	s_load_dwordx2 s[2:3], s[0:1], 0x28
	s_waitcnt lgkmcnt(0)
	v_cmp_gt_u64_e32 vcc, s[2:3], v[4:5]
	s_and_saveexec_b64 s[4:5], vcc
	s_cbranch_execz .LBB62_19
; %bb.17:
	s_load_dword s6, s[0:1], 0x30
	s_load_dwordx2 s[8:9], s[0:1], 0x20
	v_mov_b32_e32 v3, 0
	s_mul_i32 s0, s18, s19
	v_mov_b32_e32 v0, s10
	s_waitcnt lgkmcnt(0)
	s_add_i32 s4, s6, -1
	v_mov_b32_e32 v2, s4
	v_mad_u64_u32 v[2:3], s[4:5], s6, v4, v[2:3]
	s_mul_hi_u32 s5, s6, s0
	s_mul_i32 s4, s6, s0
	s_lshl_b64 s[6:7], s[4:5], 2
	v_mov_b32_e32 v1, s11
	s_mov_b32 s1, 0
	v_not_b32_e32 v3, v3
	v_not_b32_e32 v2, v2
	s_sub_u32 s6, 0, s6
	v_lshl_add_u64 v[0:1], v[2:3], 2, v[0:1]
	s_mov_b64 s[4:5], 0
	s_subb_u32 s7, 0, s7
	v_lshl_add_u64 v[2:3], v[4:5], 2, s[8:9]
	s_lshl_b64 s[8:9], s[0:1], 2
.LBB62_18:                              ; =>This Inner Loop Header: Depth=1
	global_load_dword v6, v[0:1], off
	v_lshl_add_u64 v[4:5], v[4:5], 0, s[0:1]
	v_cmp_le_u64_e32 vcc, s[2:3], v[4:5]
	v_lshl_add_u64 v[0:1], v[0:1], 0, s[6:7]
	s_or_b64 s[4:5], vcc, s[4:5]
	s_waitcnt vmcnt(0)
	global_store_dword v[2:3], v6, off
	v_lshl_add_u64 v[2:3], v[2:3], 0, s[8:9]
	s_andn2_b64 exec, exec, s[4:5]
	s_cbranch_execnz .LBB62_18
.LBB62_19:
	s_endpgm
	.section	.rodata,"a",@progbits
	.p2align	6, 0x0
	.amdhsa_kernel _ZN7rocprim17ROCPRIM_400000_NS6detail30init_device_scan_by_key_kernelINS1_19lookback_scan_stateINS0_5tupleIJibEEELb1ELb1EEEN6thrust23THRUST_200600_302600_NS16reverse_iteratorIPKiEEjNS1_16block_id_wrapperIjLb1EEEEEvT_jjPNSF_10value_typeET0_PNSt15iterator_traitsISI_E10value_typeEmT1_T2_
		.amdhsa_group_segment_fixed_size 0
		.amdhsa_private_segment_fixed_size 0
		.amdhsa_kernarg_size 320
		.amdhsa_user_sgpr_count 2
		.amdhsa_user_sgpr_dispatch_ptr 0
		.amdhsa_user_sgpr_queue_ptr 0
		.amdhsa_user_sgpr_kernarg_segment_ptr 1
		.amdhsa_user_sgpr_dispatch_id 0
		.amdhsa_user_sgpr_kernarg_preload_length 0
		.amdhsa_user_sgpr_kernarg_preload_offset 0
		.amdhsa_user_sgpr_private_segment_size 0
		.amdhsa_uses_dynamic_stack 0
		.amdhsa_enable_private_segment 0
		.amdhsa_system_sgpr_workgroup_id_x 1
		.amdhsa_system_sgpr_workgroup_id_y 0
		.amdhsa_system_sgpr_workgroup_id_z 0
		.amdhsa_system_sgpr_workgroup_info 0
		.amdhsa_system_vgpr_workitem_id 0
		.amdhsa_next_free_vgpr 10
		.amdhsa_next_free_sgpr 20
		.amdhsa_accum_offset 12
		.amdhsa_reserve_vcc 1
		.amdhsa_float_round_mode_32 0
		.amdhsa_float_round_mode_16_64 0
		.amdhsa_float_denorm_mode_32 3
		.amdhsa_float_denorm_mode_16_64 3
		.amdhsa_dx10_clamp 1
		.amdhsa_ieee_mode 1
		.amdhsa_fp16_overflow 0
		.amdhsa_tg_split 0
		.amdhsa_exception_fp_ieee_invalid_op 0
		.amdhsa_exception_fp_denorm_src 0
		.amdhsa_exception_fp_ieee_div_zero 0
		.amdhsa_exception_fp_ieee_overflow 0
		.amdhsa_exception_fp_ieee_underflow 0
		.amdhsa_exception_fp_ieee_inexact 0
		.amdhsa_exception_int_div_zero 0
	.end_amdhsa_kernel
	.section	.text._ZN7rocprim17ROCPRIM_400000_NS6detail30init_device_scan_by_key_kernelINS1_19lookback_scan_stateINS0_5tupleIJibEEELb1ELb1EEEN6thrust23THRUST_200600_302600_NS16reverse_iteratorIPKiEEjNS1_16block_id_wrapperIjLb1EEEEEvT_jjPNSF_10value_typeET0_PNSt15iterator_traitsISI_E10value_typeEmT1_T2_,"axG",@progbits,_ZN7rocprim17ROCPRIM_400000_NS6detail30init_device_scan_by_key_kernelINS1_19lookback_scan_stateINS0_5tupleIJibEEELb1ELb1EEEN6thrust23THRUST_200600_302600_NS16reverse_iteratorIPKiEEjNS1_16block_id_wrapperIjLb1EEEEEvT_jjPNSF_10value_typeET0_PNSt15iterator_traitsISI_E10value_typeEmT1_T2_,comdat
.Lfunc_end62:
	.size	_ZN7rocprim17ROCPRIM_400000_NS6detail30init_device_scan_by_key_kernelINS1_19lookback_scan_stateINS0_5tupleIJibEEELb1ELb1EEEN6thrust23THRUST_200600_302600_NS16reverse_iteratorIPKiEEjNS1_16block_id_wrapperIjLb1EEEEEvT_jjPNSF_10value_typeET0_PNSt15iterator_traitsISI_E10value_typeEmT1_T2_, .Lfunc_end62-_ZN7rocprim17ROCPRIM_400000_NS6detail30init_device_scan_by_key_kernelINS1_19lookback_scan_stateINS0_5tupleIJibEEELb1ELb1EEEN6thrust23THRUST_200600_302600_NS16reverse_iteratorIPKiEEjNS1_16block_id_wrapperIjLb1EEEEEvT_jjPNSF_10value_typeET0_PNSt15iterator_traitsISI_E10value_typeEmT1_T2_
                                        ; -- End function
	.set _ZN7rocprim17ROCPRIM_400000_NS6detail30init_device_scan_by_key_kernelINS1_19lookback_scan_stateINS0_5tupleIJibEEELb1ELb1EEEN6thrust23THRUST_200600_302600_NS16reverse_iteratorIPKiEEjNS1_16block_id_wrapperIjLb1EEEEEvT_jjPNSF_10value_typeET0_PNSt15iterator_traitsISI_E10value_typeEmT1_T2_.num_vgpr, 10
	.set _ZN7rocprim17ROCPRIM_400000_NS6detail30init_device_scan_by_key_kernelINS1_19lookback_scan_stateINS0_5tupleIJibEEELb1ELb1EEEN6thrust23THRUST_200600_302600_NS16reverse_iteratorIPKiEEjNS1_16block_id_wrapperIjLb1EEEEEvT_jjPNSF_10value_typeET0_PNSt15iterator_traitsISI_E10value_typeEmT1_T2_.num_agpr, 0
	.set _ZN7rocprim17ROCPRIM_400000_NS6detail30init_device_scan_by_key_kernelINS1_19lookback_scan_stateINS0_5tupleIJibEEELb1ELb1EEEN6thrust23THRUST_200600_302600_NS16reverse_iteratorIPKiEEjNS1_16block_id_wrapperIjLb1EEEEEvT_jjPNSF_10value_typeET0_PNSt15iterator_traitsISI_E10value_typeEmT1_T2_.numbered_sgpr, 20
	.set _ZN7rocprim17ROCPRIM_400000_NS6detail30init_device_scan_by_key_kernelINS1_19lookback_scan_stateINS0_5tupleIJibEEELb1ELb1EEEN6thrust23THRUST_200600_302600_NS16reverse_iteratorIPKiEEjNS1_16block_id_wrapperIjLb1EEEEEvT_jjPNSF_10value_typeET0_PNSt15iterator_traitsISI_E10value_typeEmT1_T2_.num_named_barrier, 0
	.set _ZN7rocprim17ROCPRIM_400000_NS6detail30init_device_scan_by_key_kernelINS1_19lookback_scan_stateINS0_5tupleIJibEEELb1ELb1EEEN6thrust23THRUST_200600_302600_NS16reverse_iteratorIPKiEEjNS1_16block_id_wrapperIjLb1EEEEEvT_jjPNSF_10value_typeET0_PNSt15iterator_traitsISI_E10value_typeEmT1_T2_.private_seg_size, 0
	.set _ZN7rocprim17ROCPRIM_400000_NS6detail30init_device_scan_by_key_kernelINS1_19lookback_scan_stateINS0_5tupleIJibEEELb1ELb1EEEN6thrust23THRUST_200600_302600_NS16reverse_iteratorIPKiEEjNS1_16block_id_wrapperIjLb1EEEEEvT_jjPNSF_10value_typeET0_PNSt15iterator_traitsISI_E10value_typeEmT1_T2_.uses_vcc, 1
	.set _ZN7rocprim17ROCPRIM_400000_NS6detail30init_device_scan_by_key_kernelINS1_19lookback_scan_stateINS0_5tupleIJibEEELb1ELb1EEEN6thrust23THRUST_200600_302600_NS16reverse_iteratorIPKiEEjNS1_16block_id_wrapperIjLb1EEEEEvT_jjPNSF_10value_typeET0_PNSt15iterator_traitsISI_E10value_typeEmT1_T2_.uses_flat_scratch, 0
	.set _ZN7rocprim17ROCPRIM_400000_NS6detail30init_device_scan_by_key_kernelINS1_19lookback_scan_stateINS0_5tupleIJibEEELb1ELb1EEEN6thrust23THRUST_200600_302600_NS16reverse_iteratorIPKiEEjNS1_16block_id_wrapperIjLb1EEEEEvT_jjPNSF_10value_typeET0_PNSt15iterator_traitsISI_E10value_typeEmT1_T2_.has_dyn_sized_stack, 0
	.set _ZN7rocprim17ROCPRIM_400000_NS6detail30init_device_scan_by_key_kernelINS1_19lookback_scan_stateINS0_5tupleIJibEEELb1ELb1EEEN6thrust23THRUST_200600_302600_NS16reverse_iteratorIPKiEEjNS1_16block_id_wrapperIjLb1EEEEEvT_jjPNSF_10value_typeET0_PNSt15iterator_traitsISI_E10value_typeEmT1_T2_.has_recursion, 0
	.set _ZN7rocprim17ROCPRIM_400000_NS6detail30init_device_scan_by_key_kernelINS1_19lookback_scan_stateINS0_5tupleIJibEEELb1ELb1EEEN6thrust23THRUST_200600_302600_NS16reverse_iteratorIPKiEEjNS1_16block_id_wrapperIjLb1EEEEEvT_jjPNSF_10value_typeET0_PNSt15iterator_traitsISI_E10value_typeEmT1_T2_.has_indirect_call, 0
	.section	.AMDGPU.csdata,"",@progbits
; Kernel info:
; codeLenInByte = 632
; TotalNumSgprs: 26
; NumVgprs: 10
; NumAgprs: 0
; TotalNumVgprs: 10
; ScratchSize: 0
; MemoryBound: 0
; FloatMode: 240
; IeeeMode: 1
; LDSByteSize: 0 bytes/workgroup (compile time only)
; SGPRBlocks: 3
; VGPRBlocks: 1
; NumSGPRsForWavesPerEU: 26
; NumVGPRsForWavesPerEU: 10
; AccumOffset: 12
; Occupancy: 8
; WaveLimiterHint : 0
; COMPUTE_PGM_RSRC2:SCRATCH_EN: 0
; COMPUTE_PGM_RSRC2:USER_SGPR: 2
; COMPUTE_PGM_RSRC2:TRAP_HANDLER: 0
; COMPUTE_PGM_RSRC2:TGID_X_EN: 1
; COMPUTE_PGM_RSRC2:TGID_Y_EN: 0
; COMPUTE_PGM_RSRC2:TGID_Z_EN: 0
; COMPUTE_PGM_RSRC2:TIDIG_COMP_CNT: 0
; COMPUTE_PGM_RSRC3_GFX90A:ACCUM_OFFSET: 2
; COMPUTE_PGM_RSRC3_GFX90A:TG_SPLIT: 0
	.section	.text._ZN7rocprim17ROCPRIM_400000_NS6detail17trampoline_kernelINS0_14default_configENS1_27scan_by_key_config_selectorIiiEEZZNS1_16scan_by_key_implILNS1_25lookback_scan_determinismE0ELb0ES3_N6thrust23THRUST_200600_302600_NS16reverse_iteratorIPKiEESD_NSA_IPiEEiN6hipcub16HIPCUB_304000_NS3MaxENSH_8EqualityEiEE10hipError_tPvRmT2_T3_T4_T5_mT6_T7_P12ihipStream_tbENKUlT_T0_E_clISt17integral_constantIbLb1EES10_EEDaSV_SW_EUlSV_E_NS1_11comp_targetILNS1_3genE0ELNS1_11target_archE4294967295ELNS1_3gpuE0ELNS1_3repE0EEENS1_30default_config_static_selectorELNS0_4arch9wavefront6targetE1EEEvT1_,"axG",@progbits,_ZN7rocprim17ROCPRIM_400000_NS6detail17trampoline_kernelINS0_14default_configENS1_27scan_by_key_config_selectorIiiEEZZNS1_16scan_by_key_implILNS1_25lookback_scan_determinismE0ELb0ES3_N6thrust23THRUST_200600_302600_NS16reverse_iteratorIPKiEESD_NSA_IPiEEiN6hipcub16HIPCUB_304000_NS3MaxENSH_8EqualityEiEE10hipError_tPvRmT2_T3_T4_T5_mT6_T7_P12ihipStream_tbENKUlT_T0_E_clISt17integral_constantIbLb1EES10_EEDaSV_SW_EUlSV_E_NS1_11comp_targetILNS1_3genE0ELNS1_11target_archE4294967295ELNS1_3gpuE0ELNS1_3repE0EEENS1_30default_config_static_selectorELNS0_4arch9wavefront6targetE1EEEvT1_,comdat
	.protected	_ZN7rocprim17ROCPRIM_400000_NS6detail17trampoline_kernelINS0_14default_configENS1_27scan_by_key_config_selectorIiiEEZZNS1_16scan_by_key_implILNS1_25lookback_scan_determinismE0ELb0ES3_N6thrust23THRUST_200600_302600_NS16reverse_iteratorIPKiEESD_NSA_IPiEEiN6hipcub16HIPCUB_304000_NS3MaxENSH_8EqualityEiEE10hipError_tPvRmT2_T3_T4_T5_mT6_T7_P12ihipStream_tbENKUlT_T0_E_clISt17integral_constantIbLb1EES10_EEDaSV_SW_EUlSV_E_NS1_11comp_targetILNS1_3genE0ELNS1_11target_archE4294967295ELNS1_3gpuE0ELNS1_3repE0EEENS1_30default_config_static_selectorELNS0_4arch9wavefront6targetE1EEEvT1_ ; -- Begin function _ZN7rocprim17ROCPRIM_400000_NS6detail17trampoline_kernelINS0_14default_configENS1_27scan_by_key_config_selectorIiiEEZZNS1_16scan_by_key_implILNS1_25lookback_scan_determinismE0ELb0ES3_N6thrust23THRUST_200600_302600_NS16reverse_iteratorIPKiEESD_NSA_IPiEEiN6hipcub16HIPCUB_304000_NS3MaxENSH_8EqualityEiEE10hipError_tPvRmT2_T3_T4_T5_mT6_T7_P12ihipStream_tbENKUlT_T0_E_clISt17integral_constantIbLb1EES10_EEDaSV_SW_EUlSV_E_NS1_11comp_targetILNS1_3genE0ELNS1_11target_archE4294967295ELNS1_3gpuE0ELNS1_3repE0EEENS1_30default_config_static_selectorELNS0_4arch9wavefront6targetE1EEEvT1_
	.globl	_ZN7rocprim17ROCPRIM_400000_NS6detail17trampoline_kernelINS0_14default_configENS1_27scan_by_key_config_selectorIiiEEZZNS1_16scan_by_key_implILNS1_25lookback_scan_determinismE0ELb0ES3_N6thrust23THRUST_200600_302600_NS16reverse_iteratorIPKiEESD_NSA_IPiEEiN6hipcub16HIPCUB_304000_NS3MaxENSH_8EqualityEiEE10hipError_tPvRmT2_T3_T4_T5_mT6_T7_P12ihipStream_tbENKUlT_T0_E_clISt17integral_constantIbLb1EES10_EEDaSV_SW_EUlSV_E_NS1_11comp_targetILNS1_3genE0ELNS1_11target_archE4294967295ELNS1_3gpuE0ELNS1_3repE0EEENS1_30default_config_static_selectorELNS0_4arch9wavefront6targetE1EEEvT1_
	.p2align	8
	.type	_ZN7rocprim17ROCPRIM_400000_NS6detail17trampoline_kernelINS0_14default_configENS1_27scan_by_key_config_selectorIiiEEZZNS1_16scan_by_key_implILNS1_25lookback_scan_determinismE0ELb0ES3_N6thrust23THRUST_200600_302600_NS16reverse_iteratorIPKiEESD_NSA_IPiEEiN6hipcub16HIPCUB_304000_NS3MaxENSH_8EqualityEiEE10hipError_tPvRmT2_T3_T4_T5_mT6_T7_P12ihipStream_tbENKUlT_T0_E_clISt17integral_constantIbLb1EES10_EEDaSV_SW_EUlSV_E_NS1_11comp_targetILNS1_3genE0ELNS1_11target_archE4294967295ELNS1_3gpuE0ELNS1_3repE0EEENS1_30default_config_static_selectorELNS0_4arch9wavefront6targetE1EEEvT1_,@function
_ZN7rocprim17ROCPRIM_400000_NS6detail17trampoline_kernelINS0_14default_configENS1_27scan_by_key_config_selectorIiiEEZZNS1_16scan_by_key_implILNS1_25lookback_scan_determinismE0ELb0ES3_N6thrust23THRUST_200600_302600_NS16reverse_iteratorIPKiEESD_NSA_IPiEEiN6hipcub16HIPCUB_304000_NS3MaxENSH_8EqualityEiEE10hipError_tPvRmT2_T3_T4_T5_mT6_T7_P12ihipStream_tbENKUlT_T0_E_clISt17integral_constantIbLb1EES10_EEDaSV_SW_EUlSV_E_NS1_11comp_targetILNS1_3genE0ELNS1_11target_archE4294967295ELNS1_3gpuE0ELNS1_3repE0EEENS1_30default_config_static_selectorELNS0_4arch9wavefront6targetE1EEEvT1_: ; @_ZN7rocprim17ROCPRIM_400000_NS6detail17trampoline_kernelINS0_14default_configENS1_27scan_by_key_config_selectorIiiEEZZNS1_16scan_by_key_implILNS1_25lookback_scan_determinismE0ELb0ES3_N6thrust23THRUST_200600_302600_NS16reverse_iteratorIPKiEESD_NSA_IPiEEiN6hipcub16HIPCUB_304000_NS3MaxENSH_8EqualityEiEE10hipError_tPvRmT2_T3_T4_T5_mT6_T7_P12ihipStream_tbENKUlT_T0_E_clISt17integral_constantIbLb1EES10_EEDaSV_SW_EUlSV_E_NS1_11comp_targetILNS1_3genE0ELNS1_11target_archE4294967295ELNS1_3gpuE0ELNS1_3repE0EEENS1_30default_config_static_selectorELNS0_4arch9wavefront6targetE1EEEvT1_
; %bb.0:
	s_endpgm
	.section	.rodata,"a",@progbits
	.p2align	6, 0x0
	.amdhsa_kernel _ZN7rocprim17ROCPRIM_400000_NS6detail17trampoline_kernelINS0_14default_configENS1_27scan_by_key_config_selectorIiiEEZZNS1_16scan_by_key_implILNS1_25lookback_scan_determinismE0ELb0ES3_N6thrust23THRUST_200600_302600_NS16reverse_iteratorIPKiEESD_NSA_IPiEEiN6hipcub16HIPCUB_304000_NS3MaxENSH_8EqualityEiEE10hipError_tPvRmT2_T3_T4_T5_mT6_T7_P12ihipStream_tbENKUlT_T0_E_clISt17integral_constantIbLb1EES10_EEDaSV_SW_EUlSV_E_NS1_11comp_targetILNS1_3genE0ELNS1_11target_archE4294967295ELNS1_3gpuE0ELNS1_3repE0EEENS1_30default_config_static_selectorELNS0_4arch9wavefront6targetE1EEEvT1_
		.amdhsa_group_segment_fixed_size 0
		.amdhsa_private_segment_fixed_size 0
		.amdhsa_kernarg_size 112
		.amdhsa_user_sgpr_count 2
		.amdhsa_user_sgpr_dispatch_ptr 0
		.amdhsa_user_sgpr_queue_ptr 0
		.amdhsa_user_sgpr_kernarg_segment_ptr 1
		.amdhsa_user_sgpr_dispatch_id 0
		.amdhsa_user_sgpr_kernarg_preload_length 0
		.amdhsa_user_sgpr_kernarg_preload_offset 0
		.amdhsa_user_sgpr_private_segment_size 0
		.amdhsa_uses_dynamic_stack 0
		.amdhsa_enable_private_segment 0
		.amdhsa_system_sgpr_workgroup_id_x 1
		.amdhsa_system_sgpr_workgroup_id_y 0
		.amdhsa_system_sgpr_workgroup_id_z 0
		.amdhsa_system_sgpr_workgroup_info 0
		.amdhsa_system_vgpr_workitem_id 0
		.amdhsa_next_free_vgpr 1
		.amdhsa_next_free_sgpr 0
		.amdhsa_accum_offset 4
		.amdhsa_reserve_vcc 0
		.amdhsa_float_round_mode_32 0
		.amdhsa_float_round_mode_16_64 0
		.amdhsa_float_denorm_mode_32 3
		.amdhsa_float_denorm_mode_16_64 3
		.amdhsa_dx10_clamp 1
		.amdhsa_ieee_mode 1
		.amdhsa_fp16_overflow 0
		.amdhsa_tg_split 0
		.amdhsa_exception_fp_ieee_invalid_op 0
		.amdhsa_exception_fp_denorm_src 0
		.amdhsa_exception_fp_ieee_div_zero 0
		.amdhsa_exception_fp_ieee_overflow 0
		.amdhsa_exception_fp_ieee_underflow 0
		.amdhsa_exception_fp_ieee_inexact 0
		.amdhsa_exception_int_div_zero 0
	.end_amdhsa_kernel
	.section	.text._ZN7rocprim17ROCPRIM_400000_NS6detail17trampoline_kernelINS0_14default_configENS1_27scan_by_key_config_selectorIiiEEZZNS1_16scan_by_key_implILNS1_25lookback_scan_determinismE0ELb0ES3_N6thrust23THRUST_200600_302600_NS16reverse_iteratorIPKiEESD_NSA_IPiEEiN6hipcub16HIPCUB_304000_NS3MaxENSH_8EqualityEiEE10hipError_tPvRmT2_T3_T4_T5_mT6_T7_P12ihipStream_tbENKUlT_T0_E_clISt17integral_constantIbLb1EES10_EEDaSV_SW_EUlSV_E_NS1_11comp_targetILNS1_3genE0ELNS1_11target_archE4294967295ELNS1_3gpuE0ELNS1_3repE0EEENS1_30default_config_static_selectorELNS0_4arch9wavefront6targetE1EEEvT1_,"axG",@progbits,_ZN7rocprim17ROCPRIM_400000_NS6detail17trampoline_kernelINS0_14default_configENS1_27scan_by_key_config_selectorIiiEEZZNS1_16scan_by_key_implILNS1_25lookback_scan_determinismE0ELb0ES3_N6thrust23THRUST_200600_302600_NS16reverse_iteratorIPKiEESD_NSA_IPiEEiN6hipcub16HIPCUB_304000_NS3MaxENSH_8EqualityEiEE10hipError_tPvRmT2_T3_T4_T5_mT6_T7_P12ihipStream_tbENKUlT_T0_E_clISt17integral_constantIbLb1EES10_EEDaSV_SW_EUlSV_E_NS1_11comp_targetILNS1_3genE0ELNS1_11target_archE4294967295ELNS1_3gpuE0ELNS1_3repE0EEENS1_30default_config_static_selectorELNS0_4arch9wavefront6targetE1EEEvT1_,comdat
.Lfunc_end63:
	.size	_ZN7rocprim17ROCPRIM_400000_NS6detail17trampoline_kernelINS0_14default_configENS1_27scan_by_key_config_selectorIiiEEZZNS1_16scan_by_key_implILNS1_25lookback_scan_determinismE0ELb0ES3_N6thrust23THRUST_200600_302600_NS16reverse_iteratorIPKiEESD_NSA_IPiEEiN6hipcub16HIPCUB_304000_NS3MaxENSH_8EqualityEiEE10hipError_tPvRmT2_T3_T4_T5_mT6_T7_P12ihipStream_tbENKUlT_T0_E_clISt17integral_constantIbLb1EES10_EEDaSV_SW_EUlSV_E_NS1_11comp_targetILNS1_3genE0ELNS1_11target_archE4294967295ELNS1_3gpuE0ELNS1_3repE0EEENS1_30default_config_static_selectorELNS0_4arch9wavefront6targetE1EEEvT1_, .Lfunc_end63-_ZN7rocprim17ROCPRIM_400000_NS6detail17trampoline_kernelINS0_14default_configENS1_27scan_by_key_config_selectorIiiEEZZNS1_16scan_by_key_implILNS1_25lookback_scan_determinismE0ELb0ES3_N6thrust23THRUST_200600_302600_NS16reverse_iteratorIPKiEESD_NSA_IPiEEiN6hipcub16HIPCUB_304000_NS3MaxENSH_8EqualityEiEE10hipError_tPvRmT2_T3_T4_T5_mT6_T7_P12ihipStream_tbENKUlT_T0_E_clISt17integral_constantIbLb1EES10_EEDaSV_SW_EUlSV_E_NS1_11comp_targetILNS1_3genE0ELNS1_11target_archE4294967295ELNS1_3gpuE0ELNS1_3repE0EEENS1_30default_config_static_selectorELNS0_4arch9wavefront6targetE1EEEvT1_
                                        ; -- End function
	.set _ZN7rocprim17ROCPRIM_400000_NS6detail17trampoline_kernelINS0_14default_configENS1_27scan_by_key_config_selectorIiiEEZZNS1_16scan_by_key_implILNS1_25lookback_scan_determinismE0ELb0ES3_N6thrust23THRUST_200600_302600_NS16reverse_iteratorIPKiEESD_NSA_IPiEEiN6hipcub16HIPCUB_304000_NS3MaxENSH_8EqualityEiEE10hipError_tPvRmT2_T3_T4_T5_mT6_T7_P12ihipStream_tbENKUlT_T0_E_clISt17integral_constantIbLb1EES10_EEDaSV_SW_EUlSV_E_NS1_11comp_targetILNS1_3genE0ELNS1_11target_archE4294967295ELNS1_3gpuE0ELNS1_3repE0EEENS1_30default_config_static_selectorELNS0_4arch9wavefront6targetE1EEEvT1_.num_vgpr, 0
	.set _ZN7rocprim17ROCPRIM_400000_NS6detail17trampoline_kernelINS0_14default_configENS1_27scan_by_key_config_selectorIiiEEZZNS1_16scan_by_key_implILNS1_25lookback_scan_determinismE0ELb0ES3_N6thrust23THRUST_200600_302600_NS16reverse_iteratorIPKiEESD_NSA_IPiEEiN6hipcub16HIPCUB_304000_NS3MaxENSH_8EqualityEiEE10hipError_tPvRmT2_T3_T4_T5_mT6_T7_P12ihipStream_tbENKUlT_T0_E_clISt17integral_constantIbLb1EES10_EEDaSV_SW_EUlSV_E_NS1_11comp_targetILNS1_3genE0ELNS1_11target_archE4294967295ELNS1_3gpuE0ELNS1_3repE0EEENS1_30default_config_static_selectorELNS0_4arch9wavefront6targetE1EEEvT1_.num_agpr, 0
	.set _ZN7rocprim17ROCPRIM_400000_NS6detail17trampoline_kernelINS0_14default_configENS1_27scan_by_key_config_selectorIiiEEZZNS1_16scan_by_key_implILNS1_25lookback_scan_determinismE0ELb0ES3_N6thrust23THRUST_200600_302600_NS16reverse_iteratorIPKiEESD_NSA_IPiEEiN6hipcub16HIPCUB_304000_NS3MaxENSH_8EqualityEiEE10hipError_tPvRmT2_T3_T4_T5_mT6_T7_P12ihipStream_tbENKUlT_T0_E_clISt17integral_constantIbLb1EES10_EEDaSV_SW_EUlSV_E_NS1_11comp_targetILNS1_3genE0ELNS1_11target_archE4294967295ELNS1_3gpuE0ELNS1_3repE0EEENS1_30default_config_static_selectorELNS0_4arch9wavefront6targetE1EEEvT1_.numbered_sgpr, 0
	.set _ZN7rocprim17ROCPRIM_400000_NS6detail17trampoline_kernelINS0_14default_configENS1_27scan_by_key_config_selectorIiiEEZZNS1_16scan_by_key_implILNS1_25lookback_scan_determinismE0ELb0ES3_N6thrust23THRUST_200600_302600_NS16reverse_iteratorIPKiEESD_NSA_IPiEEiN6hipcub16HIPCUB_304000_NS3MaxENSH_8EqualityEiEE10hipError_tPvRmT2_T3_T4_T5_mT6_T7_P12ihipStream_tbENKUlT_T0_E_clISt17integral_constantIbLb1EES10_EEDaSV_SW_EUlSV_E_NS1_11comp_targetILNS1_3genE0ELNS1_11target_archE4294967295ELNS1_3gpuE0ELNS1_3repE0EEENS1_30default_config_static_selectorELNS0_4arch9wavefront6targetE1EEEvT1_.num_named_barrier, 0
	.set _ZN7rocprim17ROCPRIM_400000_NS6detail17trampoline_kernelINS0_14default_configENS1_27scan_by_key_config_selectorIiiEEZZNS1_16scan_by_key_implILNS1_25lookback_scan_determinismE0ELb0ES3_N6thrust23THRUST_200600_302600_NS16reverse_iteratorIPKiEESD_NSA_IPiEEiN6hipcub16HIPCUB_304000_NS3MaxENSH_8EqualityEiEE10hipError_tPvRmT2_T3_T4_T5_mT6_T7_P12ihipStream_tbENKUlT_T0_E_clISt17integral_constantIbLb1EES10_EEDaSV_SW_EUlSV_E_NS1_11comp_targetILNS1_3genE0ELNS1_11target_archE4294967295ELNS1_3gpuE0ELNS1_3repE0EEENS1_30default_config_static_selectorELNS0_4arch9wavefront6targetE1EEEvT1_.private_seg_size, 0
	.set _ZN7rocprim17ROCPRIM_400000_NS6detail17trampoline_kernelINS0_14default_configENS1_27scan_by_key_config_selectorIiiEEZZNS1_16scan_by_key_implILNS1_25lookback_scan_determinismE0ELb0ES3_N6thrust23THRUST_200600_302600_NS16reverse_iteratorIPKiEESD_NSA_IPiEEiN6hipcub16HIPCUB_304000_NS3MaxENSH_8EqualityEiEE10hipError_tPvRmT2_T3_T4_T5_mT6_T7_P12ihipStream_tbENKUlT_T0_E_clISt17integral_constantIbLb1EES10_EEDaSV_SW_EUlSV_E_NS1_11comp_targetILNS1_3genE0ELNS1_11target_archE4294967295ELNS1_3gpuE0ELNS1_3repE0EEENS1_30default_config_static_selectorELNS0_4arch9wavefront6targetE1EEEvT1_.uses_vcc, 0
	.set _ZN7rocprim17ROCPRIM_400000_NS6detail17trampoline_kernelINS0_14default_configENS1_27scan_by_key_config_selectorIiiEEZZNS1_16scan_by_key_implILNS1_25lookback_scan_determinismE0ELb0ES3_N6thrust23THRUST_200600_302600_NS16reverse_iteratorIPKiEESD_NSA_IPiEEiN6hipcub16HIPCUB_304000_NS3MaxENSH_8EqualityEiEE10hipError_tPvRmT2_T3_T4_T5_mT6_T7_P12ihipStream_tbENKUlT_T0_E_clISt17integral_constantIbLb1EES10_EEDaSV_SW_EUlSV_E_NS1_11comp_targetILNS1_3genE0ELNS1_11target_archE4294967295ELNS1_3gpuE0ELNS1_3repE0EEENS1_30default_config_static_selectorELNS0_4arch9wavefront6targetE1EEEvT1_.uses_flat_scratch, 0
	.set _ZN7rocprim17ROCPRIM_400000_NS6detail17trampoline_kernelINS0_14default_configENS1_27scan_by_key_config_selectorIiiEEZZNS1_16scan_by_key_implILNS1_25lookback_scan_determinismE0ELb0ES3_N6thrust23THRUST_200600_302600_NS16reverse_iteratorIPKiEESD_NSA_IPiEEiN6hipcub16HIPCUB_304000_NS3MaxENSH_8EqualityEiEE10hipError_tPvRmT2_T3_T4_T5_mT6_T7_P12ihipStream_tbENKUlT_T0_E_clISt17integral_constantIbLb1EES10_EEDaSV_SW_EUlSV_E_NS1_11comp_targetILNS1_3genE0ELNS1_11target_archE4294967295ELNS1_3gpuE0ELNS1_3repE0EEENS1_30default_config_static_selectorELNS0_4arch9wavefront6targetE1EEEvT1_.has_dyn_sized_stack, 0
	.set _ZN7rocprim17ROCPRIM_400000_NS6detail17trampoline_kernelINS0_14default_configENS1_27scan_by_key_config_selectorIiiEEZZNS1_16scan_by_key_implILNS1_25lookback_scan_determinismE0ELb0ES3_N6thrust23THRUST_200600_302600_NS16reverse_iteratorIPKiEESD_NSA_IPiEEiN6hipcub16HIPCUB_304000_NS3MaxENSH_8EqualityEiEE10hipError_tPvRmT2_T3_T4_T5_mT6_T7_P12ihipStream_tbENKUlT_T0_E_clISt17integral_constantIbLb1EES10_EEDaSV_SW_EUlSV_E_NS1_11comp_targetILNS1_3genE0ELNS1_11target_archE4294967295ELNS1_3gpuE0ELNS1_3repE0EEENS1_30default_config_static_selectorELNS0_4arch9wavefront6targetE1EEEvT1_.has_recursion, 0
	.set _ZN7rocprim17ROCPRIM_400000_NS6detail17trampoline_kernelINS0_14default_configENS1_27scan_by_key_config_selectorIiiEEZZNS1_16scan_by_key_implILNS1_25lookback_scan_determinismE0ELb0ES3_N6thrust23THRUST_200600_302600_NS16reverse_iteratorIPKiEESD_NSA_IPiEEiN6hipcub16HIPCUB_304000_NS3MaxENSH_8EqualityEiEE10hipError_tPvRmT2_T3_T4_T5_mT6_T7_P12ihipStream_tbENKUlT_T0_E_clISt17integral_constantIbLb1EES10_EEDaSV_SW_EUlSV_E_NS1_11comp_targetILNS1_3genE0ELNS1_11target_archE4294967295ELNS1_3gpuE0ELNS1_3repE0EEENS1_30default_config_static_selectorELNS0_4arch9wavefront6targetE1EEEvT1_.has_indirect_call, 0
	.section	.AMDGPU.csdata,"",@progbits
; Kernel info:
; codeLenInByte = 4
; TotalNumSgprs: 6
; NumVgprs: 0
; NumAgprs: 0
; TotalNumVgprs: 0
; ScratchSize: 0
; MemoryBound: 0
; FloatMode: 240
; IeeeMode: 1
; LDSByteSize: 0 bytes/workgroup (compile time only)
; SGPRBlocks: 0
; VGPRBlocks: 0
; NumSGPRsForWavesPerEU: 6
; NumVGPRsForWavesPerEU: 1
; AccumOffset: 4
; Occupancy: 8
; WaveLimiterHint : 0
; COMPUTE_PGM_RSRC2:SCRATCH_EN: 0
; COMPUTE_PGM_RSRC2:USER_SGPR: 2
; COMPUTE_PGM_RSRC2:TRAP_HANDLER: 0
; COMPUTE_PGM_RSRC2:TGID_X_EN: 1
; COMPUTE_PGM_RSRC2:TGID_Y_EN: 0
; COMPUTE_PGM_RSRC2:TGID_Z_EN: 0
; COMPUTE_PGM_RSRC2:TIDIG_COMP_CNT: 0
; COMPUTE_PGM_RSRC3_GFX90A:ACCUM_OFFSET: 0
; COMPUTE_PGM_RSRC3_GFX90A:TG_SPLIT: 0
	.section	.text._ZN7rocprim17ROCPRIM_400000_NS6detail17trampoline_kernelINS0_14default_configENS1_27scan_by_key_config_selectorIiiEEZZNS1_16scan_by_key_implILNS1_25lookback_scan_determinismE0ELb0ES3_N6thrust23THRUST_200600_302600_NS16reverse_iteratorIPKiEESD_NSA_IPiEEiN6hipcub16HIPCUB_304000_NS3MaxENSH_8EqualityEiEE10hipError_tPvRmT2_T3_T4_T5_mT6_T7_P12ihipStream_tbENKUlT_T0_E_clISt17integral_constantIbLb1EES10_EEDaSV_SW_EUlSV_E_NS1_11comp_targetILNS1_3genE10ELNS1_11target_archE1201ELNS1_3gpuE5ELNS1_3repE0EEENS1_30default_config_static_selectorELNS0_4arch9wavefront6targetE1EEEvT1_,"axG",@progbits,_ZN7rocprim17ROCPRIM_400000_NS6detail17trampoline_kernelINS0_14default_configENS1_27scan_by_key_config_selectorIiiEEZZNS1_16scan_by_key_implILNS1_25lookback_scan_determinismE0ELb0ES3_N6thrust23THRUST_200600_302600_NS16reverse_iteratorIPKiEESD_NSA_IPiEEiN6hipcub16HIPCUB_304000_NS3MaxENSH_8EqualityEiEE10hipError_tPvRmT2_T3_T4_T5_mT6_T7_P12ihipStream_tbENKUlT_T0_E_clISt17integral_constantIbLb1EES10_EEDaSV_SW_EUlSV_E_NS1_11comp_targetILNS1_3genE10ELNS1_11target_archE1201ELNS1_3gpuE5ELNS1_3repE0EEENS1_30default_config_static_selectorELNS0_4arch9wavefront6targetE1EEEvT1_,comdat
	.protected	_ZN7rocprim17ROCPRIM_400000_NS6detail17trampoline_kernelINS0_14default_configENS1_27scan_by_key_config_selectorIiiEEZZNS1_16scan_by_key_implILNS1_25lookback_scan_determinismE0ELb0ES3_N6thrust23THRUST_200600_302600_NS16reverse_iteratorIPKiEESD_NSA_IPiEEiN6hipcub16HIPCUB_304000_NS3MaxENSH_8EqualityEiEE10hipError_tPvRmT2_T3_T4_T5_mT6_T7_P12ihipStream_tbENKUlT_T0_E_clISt17integral_constantIbLb1EES10_EEDaSV_SW_EUlSV_E_NS1_11comp_targetILNS1_3genE10ELNS1_11target_archE1201ELNS1_3gpuE5ELNS1_3repE0EEENS1_30default_config_static_selectorELNS0_4arch9wavefront6targetE1EEEvT1_ ; -- Begin function _ZN7rocprim17ROCPRIM_400000_NS6detail17trampoline_kernelINS0_14default_configENS1_27scan_by_key_config_selectorIiiEEZZNS1_16scan_by_key_implILNS1_25lookback_scan_determinismE0ELb0ES3_N6thrust23THRUST_200600_302600_NS16reverse_iteratorIPKiEESD_NSA_IPiEEiN6hipcub16HIPCUB_304000_NS3MaxENSH_8EqualityEiEE10hipError_tPvRmT2_T3_T4_T5_mT6_T7_P12ihipStream_tbENKUlT_T0_E_clISt17integral_constantIbLb1EES10_EEDaSV_SW_EUlSV_E_NS1_11comp_targetILNS1_3genE10ELNS1_11target_archE1201ELNS1_3gpuE5ELNS1_3repE0EEENS1_30default_config_static_selectorELNS0_4arch9wavefront6targetE1EEEvT1_
	.globl	_ZN7rocprim17ROCPRIM_400000_NS6detail17trampoline_kernelINS0_14default_configENS1_27scan_by_key_config_selectorIiiEEZZNS1_16scan_by_key_implILNS1_25lookback_scan_determinismE0ELb0ES3_N6thrust23THRUST_200600_302600_NS16reverse_iteratorIPKiEESD_NSA_IPiEEiN6hipcub16HIPCUB_304000_NS3MaxENSH_8EqualityEiEE10hipError_tPvRmT2_T3_T4_T5_mT6_T7_P12ihipStream_tbENKUlT_T0_E_clISt17integral_constantIbLb1EES10_EEDaSV_SW_EUlSV_E_NS1_11comp_targetILNS1_3genE10ELNS1_11target_archE1201ELNS1_3gpuE5ELNS1_3repE0EEENS1_30default_config_static_selectorELNS0_4arch9wavefront6targetE1EEEvT1_
	.p2align	8
	.type	_ZN7rocprim17ROCPRIM_400000_NS6detail17trampoline_kernelINS0_14default_configENS1_27scan_by_key_config_selectorIiiEEZZNS1_16scan_by_key_implILNS1_25lookback_scan_determinismE0ELb0ES3_N6thrust23THRUST_200600_302600_NS16reverse_iteratorIPKiEESD_NSA_IPiEEiN6hipcub16HIPCUB_304000_NS3MaxENSH_8EqualityEiEE10hipError_tPvRmT2_T3_T4_T5_mT6_T7_P12ihipStream_tbENKUlT_T0_E_clISt17integral_constantIbLb1EES10_EEDaSV_SW_EUlSV_E_NS1_11comp_targetILNS1_3genE10ELNS1_11target_archE1201ELNS1_3gpuE5ELNS1_3repE0EEENS1_30default_config_static_selectorELNS0_4arch9wavefront6targetE1EEEvT1_,@function
_ZN7rocprim17ROCPRIM_400000_NS6detail17trampoline_kernelINS0_14default_configENS1_27scan_by_key_config_selectorIiiEEZZNS1_16scan_by_key_implILNS1_25lookback_scan_determinismE0ELb0ES3_N6thrust23THRUST_200600_302600_NS16reverse_iteratorIPKiEESD_NSA_IPiEEiN6hipcub16HIPCUB_304000_NS3MaxENSH_8EqualityEiEE10hipError_tPvRmT2_T3_T4_T5_mT6_T7_P12ihipStream_tbENKUlT_T0_E_clISt17integral_constantIbLb1EES10_EEDaSV_SW_EUlSV_E_NS1_11comp_targetILNS1_3genE10ELNS1_11target_archE1201ELNS1_3gpuE5ELNS1_3repE0EEENS1_30default_config_static_selectorELNS0_4arch9wavefront6targetE1EEEvT1_: ; @_ZN7rocprim17ROCPRIM_400000_NS6detail17trampoline_kernelINS0_14default_configENS1_27scan_by_key_config_selectorIiiEEZZNS1_16scan_by_key_implILNS1_25lookback_scan_determinismE0ELb0ES3_N6thrust23THRUST_200600_302600_NS16reverse_iteratorIPKiEESD_NSA_IPiEEiN6hipcub16HIPCUB_304000_NS3MaxENSH_8EqualityEiEE10hipError_tPvRmT2_T3_T4_T5_mT6_T7_P12ihipStream_tbENKUlT_T0_E_clISt17integral_constantIbLb1EES10_EEDaSV_SW_EUlSV_E_NS1_11comp_targetILNS1_3genE10ELNS1_11target_archE1201ELNS1_3gpuE5ELNS1_3repE0EEENS1_30default_config_static_selectorELNS0_4arch9wavefront6targetE1EEEvT1_
; %bb.0:
	.section	.rodata,"a",@progbits
	.p2align	6, 0x0
	.amdhsa_kernel _ZN7rocprim17ROCPRIM_400000_NS6detail17trampoline_kernelINS0_14default_configENS1_27scan_by_key_config_selectorIiiEEZZNS1_16scan_by_key_implILNS1_25lookback_scan_determinismE0ELb0ES3_N6thrust23THRUST_200600_302600_NS16reverse_iteratorIPKiEESD_NSA_IPiEEiN6hipcub16HIPCUB_304000_NS3MaxENSH_8EqualityEiEE10hipError_tPvRmT2_T3_T4_T5_mT6_T7_P12ihipStream_tbENKUlT_T0_E_clISt17integral_constantIbLb1EES10_EEDaSV_SW_EUlSV_E_NS1_11comp_targetILNS1_3genE10ELNS1_11target_archE1201ELNS1_3gpuE5ELNS1_3repE0EEENS1_30default_config_static_selectorELNS0_4arch9wavefront6targetE1EEEvT1_
		.amdhsa_group_segment_fixed_size 0
		.amdhsa_private_segment_fixed_size 0
		.amdhsa_kernarg_size 112
		.amdhsa_user_sgpr_count 2
		.amdhsa_user_sgpr_dispatch_ptr 0
		.amdhsa_user_sgpr_queue_ptr 0
		.amdhsa_user_sgpr_kernarg_segment_ptr 1
		.amdhsa_user_sgpr_dispatch_id 0
		.amdhsa_user_sgpr_kernarg_preload_length 0
		.amdhsa_user_sgpr_kernarg_preload_offset 0
		.amdhsa_user_sgpr_private_segment_size 0
		.amdhsa_uses_dynamic_stack 0
		.amdhsa_enable_private_segment 0
		.amdhsa_system_sgpr_workgroup_id_x 1
		.amdhsa_system_sgpr_workgroup_id_y 0
		.amdhsa_system_sgpr_workgroup_id_z 0
		.amdhsa_system_sgpr_workgroup_info 0
		.amdhsa_system_vgpr_workitem_id 0
		.amdhsa_next_free_vgpr 1
		.amdhsa_next_free_sgpr 0
		.amdhsa_accum_offset 4
		.amdhsa_reserve_vcc 0
		.amdhsa_float_round_mode_32 0
		.amdhsa_float_round_mode_16_64 0
		.amdhsa_float_denorm_mode_32 3
		.amdhsa_float_denorm_mode_16_64 3
		.amdhsa_dx10_clamp 1
		.amdhsa_ieee_mode 1
		.amdhsa_fp16_overflow 0
		.amdhsa_tg_split 0
		.amdhsa_exception_fp_ieee_invalid_op 0
		.amdhsa_exception_fp_denorm_src 0
		.amdhsa_exception_fp_ieee_div_zero 0
		.amdhsa_exception_fp_ieee_overflow 0
		.amdhsa_exception_fp_ieee_underflow 0
		.amdhsa_exception_fp_ieee_inexact 0
		.amdhsa_exception_int_div_zero 0
	.end_amdhsa_kernel
	.section	.text._ZN7rocprim17ROCPRIM_400000_NS6detail17trampoline_kernelINS0_14default_configENS1_27scan_by_key_config_selectorIiiEEZZNS1_16scan_by_key_implILNS1_25lookback_scan_determinismE0ELb0ES3_N6thrust23THRUST_200600_302600_NS16reverse_iteratorIPKiEESD_NSA_IPiEEiN6hipcub16HIPCUB_304000_NS3MaxENSH_8EqualityEiEE10hipError_tPvRmT2_T3_T4_T5_mT6_T7_P12ihipStream_tbENKUlT_T0_E_clISt17integral_constantIbLb1EES10_EEDaSV_SW_EUlSV_E_NS1_11comp_targetILNS1_3genE10ELNS1_11target_archE1201ELNS1_3gpuE5ELNS1_3repE0EEENS1_30default_config_static_selectorELNS0_4arch9wavefront6targetE1EEEvT1_,"axG",@progbits,_ZN7rocprim17ROCPRIM_400000_NS6detail17trampoline_kernelINS0_14default_configENS1_27scan_by_key_config_selectorIiiEEZZNS1_16scan_by_key_implILNS1_25lookback_scan_determinismE0ELb0ES3_N6thrust23THRUST_200600_302600_NS16reverse_iteratorIPKiEESD_NSA_IPiEEiN6hipcub16HIPCUB_304000_NS3MaxENSH_8EqualityEiEE10hipError_tPvRmT2_T3_T4_T5_mT6_T7_P12ihipStream_tbENKUlT_T0_E_clISt17integral_constantIbLb1EES10_EEDaSV_SW_EUlSV_E_NS1_11comp_targetILNS1_3genE10ELNS1_11target_archE1201ELNS1_3gpuE5ELNS1_3repE0EEENS1_30default_config_static_selectorELNS0_4arch9wavefront6targetE1EEEvT1_,comdat
.Lfunc_end64:
	.size	_ZN7rocprim17ROCPRIM_400000_NS6detail17trampoline_kernelINS0_14default_configENS1_27scan_by_key_config_selectorIiiEEZZNS1_16scan_by_key_implILNS1_25lookback_scan_determinismE0ELb0ES3_N6thrust23THRUST_200600_302600_NS16reverse_iteratorIPKiEESD_NSA_IPiEEiN6hipcub16HIPCUB_304000_NS3MaxENSH_8EqualityEiEE10hipError_tPvRmT2_T3_T4_T5_mT6_T7_P12ihipStream_tbENKUlT_T0_E_clISt17integral_constantIbLb1EES10_EEDaSV_SW_EUlSV_E_NS1_11comp_targetILNS1_3genE10ELNS1_11target_archE1201ELNS1_3gpuE5ELNS1_3repE0EEENS1_30default_config_static_selectorELNS0_4arch9wavefront6targetE1EEEvT1_, .Lfunc_end64-_ZN7rocprim17ROCPRIM_400000_NS6detail17trampoline_kernelINS0_14default_configENS1_27scan_by_key_config_selectorIiiEEZZNS1_16scan_by_key_implILNS1_25lookback_scan_determinismE0ELb0ES3_N6thrust23THRUST_200600_302600_NS16reverse_iteratorIPKiEESD_NSA_IPiEEiN6hipcub16HIPCUB_304000_NS3MaxENSH_8EqualityEiEE10hipError_tPvRmT2_T3_T4_T5_mT6_T7_P12ihipStream_tbENKUlT_T0_E_clISt17integral_constantIbLb1EES10_EEDaSV_SW_EUlSV_E_NS1_11comp_targetILNS1_3genE10ELNS1_11target_archE1201ELNS1_3gpuE5ELNS1_3repE0EEENS1_30default_config_static_selectorELNS0_4arch9wavefront6targetE1EEEvT1_
                                        ; -- End function
	.set _ZN7rocprim17ROCPRIM_400000_NS6detail17trampoline_kernelINS0_14default_configENS1_27scan_by_key_config_selectorIiiEEZZNS1_16scan_by_key_implILNS1_25lookback_scan_determinismE0ELb0ES3_N6thrust23THRUST_200600_302600_NS16reverse_iteratorIPKiEESD_NSA_IPiEEiN6hipcub16HIPCUB_304000_NS3MaxENSH_8EqualityEiEE10hipError_tPvRmT2_T3_T4_T5_mT6_T7_P12ihipStream_tbENKUlT_T0_E_clISt17integral_constantIbLb1EES10_EEDaSV_SW_EUlSV_E_NS1_11comp_targetILNS1_3genE10ELNS1_11target_archE1201ELNS1_3gpuE5ELNS1_3repE0EEENS1_30default_config_static_selectorELNS0_4arch9wavefront6targetE1EEEvT1_.num_vgpr, 0
	.set _ZN7rocprim17ROCPRIM_400000_NS6detail17trampoline_kernelINS0_14default_configENS1_27scan_by_key_config_selectorIiiEEZZNS1_16scan_by_key_implILNS1_25lookback_scan_determinismE0ELb0ES3_N6thrust23THRUST_200600_302600_NS16reverse_iteratorIPKiEESD_NSA_IPiEEiN6hipcub16HIPCUB_304000_NS3MaxENSH_8EqualityEiEE10hipError_tPvRmT2_T3_T4_T5_mT6_T7_P12ihipStream_tbENKUlT_T0_E_clISt17integral_constantIbLb1EES10_EEDaSV_SW_EUlSV_E_NS1_11comp_targetILNS1_3genE10ELNS1_11target_archE1201ELNS1_3gpuE5ELNS1_3repE0EEENS1_30default_config_static_selectorELNS0_4arch9wavefront6targetE1EEEvT1_.num_agpr, 0
	.set _ZN7rocprim17ROCPRIM_400000_NS6detail17trampoline_kernelINS0_14default_configENS1_27scan_by_key_config_selectorIiiEEZZNS1_16scan_by_key_implILNS1_25lookback_scan_determinismE0ELb0ES3_N6thrust23THRUST_200600_302600_NS16reverse_iteratorIPKiEESD_NSA_IPiEEiN6hipcub16HIPCUB_304000_NS3MaxENSH_8EqualityEiEE10hipError_tPvRmT2_T3_T4_T5_mT6_T7_P12ihipStream_tbENKUlT_T0_E_clISt17integral_constantIbLb1EES10_EEDaSV_SW_EUlSV_E_NS1_11comp_targetILNS1_3genE10ELNS1_11target_archE1201ELNS1_3gpuE5ELNS1_3repE0EEENS1_30default_config_static_selectorELNS0_4arch9wavefront6targetE1EEEvT1_.numbered_sgpr, 0
	.set _ZN7rocprim17ROCPRIM_400000_NS6detail17trampoline_kernelINS0_14default_configENS1_27scan_by_key_config_selectorIiiEEZZNS1_16scan_by_key_implILNS1_25lookback_scan_determinismE0ELb0ES3_N6thrust23THRUST_200600_302600_NS16reverse_iteratorIPKiEESD_NSA_IPiEEiN6hipcub16HIPCUB_304000_NS3MaxENSH_8EqualityEiEE10hipError_tPvRmT2_T3_T4_T5_mT6_T7_P12ihipStream_tbENKUlT_T0_E_clISt17integral_constantIbLb1EES10_EEDaSV_SW_EUlSV_E_NS1_11comp_targetILNS1_3genE10ELNS1_11target_archE1201ELNS1_3gpuE5ELNS1_3repE0EEENS1_30default_config_static_selectorELNS0_4arch9wavefront6targetE1EEEvT1_.num_named_barrier, 0
	.set _ZN7rocprim17ROCPRIM_400000_NS6detail17trampoline_kernelINS0_14default_configENS1_27scan_by_key_config_selectorIiiEEZZNS1_16scan_by_key_implILNS1_25lookback_scan_determinismE0ELb0ES3_N6thrust23THRUST_200600_302600_NS16reverse_iteratorIPKiEESD_NSA_IPiEEiN6hipcub16HIPCUB_304000_NS3MaxENSH_8EqualityEiEE10hipError_tPvRmT2_T3_T4_T5_mT6_T7_P12ihipStream_tbENKUlT_T0_E_clISt17integral_constantIbLb1EES10_EEDaSV_SW_EUlSV_E_NS1_11comp_targetILNS1_3genE10ELNS1_11target_archE1201ELNS1_3gpuE5ELNS1_3repE0EEENS1_30default_config_static_selectorELNS0_4arch9wavefront6targetE1EEEvT1_.private_seg_size, 0
	.set _ZN7rocprim17ROCPRIM_400000_NS6detail17trampoline_kernelINS0_14default_configENS1_27scan_by_key_config_selectorIiiEEZZNS1_16scan_by_key_implILNS1_25lookback_scan_determinismE0ELb0ES3_N6thrust23THRUST_200600_302600_NS16reverse_iteratorIPKiEESD_NSA_IPiEEiN6hipcub16HIPCUB_304000_NS3MaxENSH_8EqualityEiEE10hipError_tPvRmT2_T3_T4_T5_mT6_T7_P12ihipStream_tbENKUlT_T0_E_clISt17integral_constantIbLb1EES10_EEDaSV_SW_EUlSV_E_NS1_11comp_targetILNS1_3genE10ELNS1_11target_archE1201ELNS1_3gpuE5ELNS1_3repE0EEENS1_30default_config_static_selectorELNS0_4arch9wavefront6targetE1EEEvT1_.uses_vcc, 0
	.set _ZN7rocprim17ROCPRIM_400000_NS6detail17trampoline_kernelINS0_14default_configENS1_27scan_by_key_config_selectorIiiEEZZNS1_16scan_by_key_implILNS1_25lookback_scan_determinismE0ELb0ES3_N6thrust23THRUST_200600_302600_NS16reverse_iteratorIPKiEESD_NSA_IPiEEiN6hipcub16HIPCUB_304000_NS3MaxENSH_8EqualityEiEE10hipError_tPvRmT2_T3_T4_T5_mT6_T7_P12ihipStream_tbENKUlT_T0_E_clISt17integral_constantIbLb1EES10_EEDaSV_SW_EUlSV_E_NS1_11comp_targetILNS1_3genE10ELNS1_11target_archE1201ELNS1_3gpuE5ELNS1_3repE0EEENS1_30default_config_static_selectorELNS0_4arch9wavefront6targetE1EEEvT1_.uses_flat_scratch, 0
	.set _ZN7rocprim17ROCPRIM_400000_NS6detail17trampoline_kernelINS0_14default_configENS1_27scan_by_key_config_selectorIiiEEZZNS1_16scan_by_key_implILNS1_25lookback_scan_determinismE0ELb0ES3_N6thrust23THRUST_200600_302600_NS16reverse_iteratorIPKiEESD_NSA_IPiEEiN6hipcub16HIPCUB_304000_NS3MaxENSH_8EqualityEiEE10hipError_tPvRmT2_T3_T4_T5_mT6_T7_P12ihipStream_tbENKUlT_T0_E_clISt17integral_constantIbLb1EES10_EEDaSV_SW_EUlSV_E_NS1_11comp_targetILNS1_3genE10ELNS1_11target_archE1201ELNS1_3gpuE5ELNS1_3repE0EEENS1_30default_config_static_selectorELNS0_4arch9wavefront6targetE1EEEvT1_.has_dyn_sized_stack, 0
	.set _ZN7rocprim17ROCPRIM_400000_NS6detail17trampoline_kernelINS0_14default_configENS1_27scan_by_key_config_selectorIiiEEZZNS1_16scan_by_key_implILNS1_25lookback_scan_determinismE0ELb0ES3_N6thrust23THRUST_200600_302600_NS16reverse_iteratorIPKiEESD_NSA_IPiEEiN6hipcub16HIPCUB_304000_NS3MaxENSH_8EqualityEiEE10hipError_tPvRmT2_T3_T4_T5_mT6_T7_P12ihipStream_tbENKUlT_T0_E_clISt17integral_constantIbLb1EES10_EEDaSV_SW_EUlSV_E_NS1_11comp_targetILNS1_3genE10ELNS1_11target_archE1201ELNS1_3gpuE5ELNS1_3repE0EEENS1_30default_config_static_selectorELNS0_4arch9wavefront6targetE1EEEvT1_.has_recursion, 0
	.set _ZN7rocprim17ROCPRIM_400000_NS6detail17trampoline_kernelINS0_14default_configENS1_27scan_by_key_config_selectorIiiEEZZNS1_16scan_by_key_implILNS1_25lookback_scan_determinismE0ELb0ES3_N6thrust23THRUST_200600_302600_NS16reverse_iteratorIPKiEESD_NSA_IPiEEiN6hipcub16HIPCUB_304000_NS3MaxENSH_8EqualityEiEE10hipError_tPvRmT2_T3_T4_T5_mT6_T7_P12ihipStream_tbENKUlT_T0_E_clISt17integral_constantIbLb1EES10_EEDaSV_SW_EUlSV_E_NS1_11comp_targetILNS1_3genE10ELNS1_11target_archE1201ELNS1_3gpuE5ELNS1_3repE0EEENS1_30default_config_static_selectorELNS0_4arch9wavefront6targetE1EEEvT1_.has_indirect_call, 0
	.section	.AMDGPU.csdata,"",@progbits
; Kernel info:
; codeLenInByte = 0
; TotalNumSgprs: 6
; NumVgprs: 0
; NumAgprs: 0
; TotalNumVgprs: 0
; ScratchSize: 0
; MemoryBound: 0
; FloatMode: 240
; IeeeMode: 1
; LDSByteSize: 0 bytes/workgroup (compile time only)
; SGPRBlocks: 0
; VGPRBlocks: 0
; NumSGPRsForWavesPerEU: 6
; NumVGPRsForWavesPerEU: 1
; AccumOffset: 4
; Occupancy: 8
; WaveLimiterHint : 0
; COMPUTE_PGM_RSRC2:SCRATCH_EN: 0
; COMPUTE_PGM_RSRC2:USER_SGPR: 2
; COMPUTE_PGM_RSRC2:TRAP_HANDLER: 0
; COMPUTE_PGM_RSRC2:TGID_X_EN: 1
; COMPUTE_PGM_RSRC2:TGID_Y_EN: 0
; COMPUTE_PGM_RSRC2:TGID_Z_EN: 0
; COMPUTE_PGM_RSRC2:TIDIG_COMP_CNT: 0
; COMPUTE_PGM_RSRC3_GFX90A:ACCUM_OFFSET: 0
; COMPUTE_PGM_RSRC3_GFX90A:TG_SPLIT: 0
	.section	.text._ZN7rocprim17ROCPRIM_400000_NS6detail17trampoline_kernelINS0_14default_configENS1_27scan_by_key_config_selectorIiiEEZZNS1_16scan_by_key_implILNS1_25lookback_scan_determinismE0ELb0ES3_N6thrust23THRUST_200600_302600_NS16reverse_iteratorIPKiEESD_NSA_IPiEEiN6hipcub16HIPCUB_304000_NS3MaxENSH_8EqualityEiEE10hipError_tPvRmT2_T3_T4_T5_mT6_T7_P12ihipStream_tbENKUlT_T0_E_clISt17integral_constantIbLb1EES10_EEDaSV_SW_EUlSV_E_NS1_11comp_targetILNS1_3genE5ELNS1_11target_archE942ELNS1_3gpuE9ELNS1_3repE0EEENS1_30default_config_static_selectorELNS0_4arch9wavefront6targetE1EEEvT1_,"axG",@progbits,_ZN7rocprim17ROCPRIM_400000_NS6detail17trampoline_kernelINS0_14default_configENS1_27scan_by_key_config_selectorIiiEEZZNS1_16scan_by_key_implILNS1_25lookback_scan_determinismE0ELb0ES3_N6thrust23THRUST_200600_302600_NS16reverse_iteratorIPKiEESD_NSA_IPiEEiN6hipcub16HIPCUB_304000_NS3MaxENSH_8EqualityEiEE10hipError_tPvRmT2_T3_T4_T5_mT6_T7_P12ihipStream_tbENKUlT_T0_E_clISt17integral_constantIbLb1EES10_EEDaSV_SW_EUlSV_E_NS1_11comp_targetILNS1_3genE5ELNS1_11target_archE942ELNS1_3gpuE9ELNS1_3repE0EEENS1_30default_config_static_selectorELNS0_4arch9wavefront6targetE1EEEvT1_,comdat
	.protected	_ZN7rocprim17ROCPRIM_400000_NS6detail17trampoline_kernelINS0_14default_configENS1_27scan_by_key_config_selectorIiiEEZZNS1_16scan_by_key_implILNS1_25lookback_scan_determinismE0ELb0ES3_N6thrust23THRUST_200600_302600_NS16reverse_iteratorIPKiEESD_NSA_IPiEEiN6hipcub16HIPCUB_304000_NS3MaxENSH_8EqualityEiEE10hipError_tPvRmT2_T3_T4_T5_mT6_T7_P12ihipStream_tbENKUlT_T0_E_clISt17integral_constantIbLb1EES10_EEDaSV_SW_EUlSV_E_NS1_11comp_targetILNS1_3genE5ELNS1_11target_archE942ELNS1_3gpuE9ELNS1_3repE0EEENS1_30default_config_static_selectorELNS0_4arch9wavefront6targetE1EEEvT1_ ; -- Begin function _ZN7rocprim17ROCPRIM_400000_NS6detail17trampoline_kernelINS0_14default_configENS1_27scan_by_key_config_selectorIiiEEZZNS1_16scan_by_key_implILNS1_25lookback_scan_determinismE0ELb0ES3_N6thrust23THRUST_200600_302600_NS16reverse_iteratorIPKiEESD_NSA_IPiEEiN6hipcub16HIPCUB_304000_NS3MaxENSH_8EqualityEiEE10hipError_tPvRmT2_T3_T4_T5_mT6_T7_P12ihipStream_tbENKUlT_T0_E_clISt17integral_constantIbLb1EES10_EEDaSV_SW_EUlSV_E_NS1_11comp_targetILNS1_3genE5ELNS1_11target_archE942ELNS1_3gpuE9ELNS1_3repE0EEENS1_30default_config_static_selectorELNS0_4arch9wavefront6targetE1EEEvT1_
	.globl	_ZN7rocprim17ROCPRIM_400000_NS6detail17trampoline_kernelINS0_14default_configENS1_27scan_by_key_config_selectorIiiEEZZNS1_16scan_by_key_implILNS1_25lookback_scan_determinismE0ELb0ES3_N6thrust23THRUST_200600_302600_NS16reverse_iteratorIPKiEESD_NSA_IPiEEiN6hipcub16HIPCUB_304000_NS3MaxENSH_8EqualityEiEE10hipError_tPvRmT2_T3_T4_T5_mT6_T7_P12ihipStream_tbENKUlT_T0_E_clISt17integral_constantIbLb1EES10_EEDaSV_SW_EUlSV_E_NS1_11comp_targetILNS1_3genE5ELNS1_11target_archE942ELNS1_3gpuE9ELNS1_3repE0EEENS1_30default_config_static_selectorELNS0_4arch9wavefront6targetE1EEEvT1_
	.p2align	8
	.type	_ZN7rocprim17ROCPRIM_400000_NS6detail17trampoline_kernelINS0_14default_configENS1_27scan_by_key_config_selectorIiiEEZZNS1_16scan_by_key_implILNS1_25lookback_scan_determinismE0ELb0ES3_N6thrust23THRUST_200600_302600_NS16reverse_iteratorIPKiEESD_NSA_IPiEEiN6hipcub16HIPCUB_304000_NS3MaxENSH_8EqualityEiEE10hipError_tPvRmT2_T3_T4_T5_mT6_T7_P12ihipStream_tbENKUlT_T0_E_clISt17integral_constantIbLb1EES10_EEDaSV_SW_EUlSV_E_NS1_11comp_targetILNS1_3genE5ELNS1_11target_archE942ELNS1_3gpuE9ELNS1_3repE0EEENS1_30default_config_static_selectorELNS0_4arch9wavefront6targetE1EEEvT1_,@function
_ZN7rocprim17ROCPRIM_400000_NS6detail17trampoline_kernelINS0_14default_configENS1_27scan_by_key_config_selectorIiiEEZZNS1_16scan_by_key_implILNS1_25lookback_scan_determinismE0ELb0ES3_N6thrust23THRUST_200600_302600_NS16reverse_iteratorIPKiEESD_NSA_IPiEEiN6hipcub16HIPCUB_304000_NS3MaxENSH_8EqualityEiEE10hipError_tPvRmT2_T3_T4_T5_mT6_T7_P12ihipStream_tbENKUlT_T0_E_clISt17integral_constantIbLb1EES10_EEDaSV_SW_EUlSV_E_NS1_11comp_targetILNS1_3genE5ELNS1_11target_archE942ELNS1_3gpuE9ELNS1_3repE0EEENS1_30default_config_static_selectorELNS0_4arch9wavefront6targetE1EEEvT1_: ; @_ZN7rocprim17ROCPRIM_400000_NS6detail17trampoline_kernelINS0_14default_configENS1_27scan_by_key_config_selectorIiiEEZZNS1_16scan_by_key_implILNS1_25lookback_scan_determinismE0ELb0ES3_N6thrust23THRUST_200600_302600_NS16reverse_iteratorIPKiEESD_NSA_IPiEEiN6hipcub16HIPCUB_304000_NS3MaxENSH_8EqualityEiEE10hipError_tPvRmT2_T3_T4_T5_mT6_T7_P12ihipStream_tbENKUlT_T0_E_clISt17integral_constantIbLb1EES10_EEDaSV_SW_EUlSV_E_NS1_11comp_targetILNS1_3genE5ELNS1_11target_archE942ELNS1_3gpuE9ELNS1_3repE0EEENS1_30default_config_static_selectorELNS0_4arch9wavefront6targetE1EEEvT1_
; %bb.0:
	.section	.rodata,"a",@progbits
	.p2align	6, 0x0
	.amdhsa_kernel _ZN7rocprim17ROCPRIM_400000_NS6detail17trampoline_kernelINS0_14default_configENS1_27scan_by_key_config_selectorIiiEEZZNS1_16scan_by_key_implILNS1_25lookback_scan_determinismE0ELb0ES3_N6thrust23THRUST_200600_302600_NS16reverse_iteratorIPKiEESD_NSA_IPiEEiN6hipcub16HIPCUB_304000_NS3MaxENSH_8EqualityEiEE10hipError_tPvRmT2_T3_T4_T5_mT6_T7_P12ihipStream_tbENKUlT_T0_E_clISt17integral_constantIbLb1EES10_EEDaSV_SW_EUlSV_E_NS1_11comp_targetILNS1_3genE5ELNS1_11target_archE942ELNS1_3gpuE9ELNS1_3repE0EEENS1_30default_config_static_selectorELNS0_4arch9wavefront6targetE1EEEvT1_
		.amdhsa_group_segment_fixed_size 0
		.amdhsa_private_segment_fixed_size 0
		.amdhsa_kernarg_size 112
		.amdhsa_user_sgpr_count 2
		.amdhsa_user_sgpr_dispatch_ptr 0
		.amdhsa_user_sgpr_queue_ptr 0
		.amdhsa_user_sgpr_kernarg_segment_ptr 1
		.amdhsa_user_sgpr_dispatch_id 0
		.amdhsa_user_sgpr_kernarg_preload_length 0
		.amdhsa_user_sgpr_kernarg_preload_offset 0
		.amdhsa_user_sgpr_private_segment_size 0
		.amdhsa_uses_dynamic_stack 0
		.amdhsa_enable_private_segment 0
		.amdhsa_system_sgpr_workgroup_id_x 1
		.amdhsa_system_sgpr_workgroup_id_y 0
		.amdhsa_system_sgpr_workgroup_id_z 0
		.amdhsa_system_sgpr_workgroup_info 0
		.amdhsa_system_vgpr_workitem_id 0
		.amdhsa_next_free_vgpr 1
		.amdhsa_next_free_sgpr 0
		.amdhsa_accum_offset 4
		.amdhsa_reserve_vcc 0
		.amdhsa_float_round_mode_32 0
		.amdhsa_float_round_mode_16_64 0
		.amdhsa_float_denorm_mode_32 3
		.amdhsa_float_denorm_mode_16_64 3
		.amdhsa_dx10_clamp 1
		.amdhsa_ieee_mode 1
		.amdhsa_fp16_overflow 0
		.amdhsa_tg_split 0
		.amdhsa_exception_fp_ieee_invalid_op 0
		.amdhsa_exception_fp_denorm_src 0
		.amdhsa_exception_fp_ieee_div_zero 0
		.amdhsa_exception_fp_ieee_overflow 0
		.amdhsa_exception_fp_ieee_underflow 0
		.amdhsa_exception_fp_ieee_inexact 0
		.amdhsa_exception_int_div_zero 0
	.end_amdhsa_kernel
	.section	.text._ZN7rocprim17ROCPRIM_400000_NS6detail17trampoline_kernelINS0_14default_configENS1_27scan_by_key_config_selectorIiiEEZZNS1_16scan_by_key_implILNS1_25lookback_scan_determinismE0ELb0ES3_N6thrust23THRUST_200600_302600_NS16reverse_iteratorIPKiEESD_NSA_IPiEEiN6hipcub16HIPCUB_304000_NS3MaxENSH_8EqualityEiEE10hipError_tPvRmT2_T3_T4_T5_mT6_T7_P12ihipStream_tbENKUlT_T0_E_clISt17integral_constantIbLb1EES10_EEDaSV_SW_EUlSV_E_NS1_11comp_targetILNS1_3genE5ELNS1_11target_archE942ELNS1_3gpuE9ELNS1_3repE0EEENS1_30default_config_static_selectorELNS0_4arch9wavefront6targetE1EEEvT1_,"axG",@progbits,_ZN7rocprim17ROCPRIM_400000_NS6detail17trampoline_kernelINS0_14default_configENS1_27scan_by_key_config_selectorIiiEEZZNS1_16scan_by_key_implILNS1_25lookback_scan_determinismE0ELb0ES3_N6thrust23THRUST_200600_302600_NS16reverse_iteratorIPKiEESD_NSA_IPiEEiN6hipcub16HIPCUB_304000_NS3MaxENSH_8EqualityEiEE10hipError_tPvRmT2_T3_T4_T5_mT6_T7_P12ihipStream_tbENKUlT_T0_E_clISt17integral_constantIbLb1EES10_EEDaSV_SW_EUlSV_E_NS1_11comp_targetILNS1_3genE5ELNS1_11target_archE942ELNS1_3gpuE9ELNS1_3repE0EEENS1_30default_config_static_selectorELNS0_4arch9wavefront6targetE1EEEvT1_,comdat
.Lfunc_end65:
	.size	_ZN7rocprim17ROCPRIM_400000_NS6detail17trampoline_kernelINS0_14default_configENS1_27scan_by_key_config_selectorIiiEEZZNS1_16scan_by_key_implILNS1_25lookback_scan_determinismE0ELb0ES3_N6thrust23THRUST_200600_302600_NS16reverse_iteratorIPKiEESD_NSA_IPiEEiN6hipcub16HIPCUB_304000_NS3MaxENSH_8EqualityEiEE10hipError_tPvRmT2_T3_T4_T5_mT6_T7_P12ihipStream_tbENKUlT_T0_E_clISt17integral_constantIbLb1EES10_EEDaSV_SW_EUlSV_E_NS1_11comp_targetILNS1_3genE5ELNS1_11target_archE942ELNS1_3gpuE9ELNS1_3repE0EEENS1_30default_config_static_selectorELNS0_4arch9wavefront6targetE1EEEvT1_, .Lfunc_end65-_ZN7rocprim17ROCPRIM_400000_NS6detail17trampoline_kernelINS0_14default_configENS1_27scan_by_key_config_selectorIiiEEZZNS1_16scan_by_key_implILNS1_25lookback_scan_determinismE0ELb0ES3_N6thrust23THRUST_200600_302600_NS16reverse_iteratorIPKiEESD_NSA_IPiEEiN6hipcub16HIPCUB_304000_NS3MaxENSH_8EqualityEiEE10hipError_tPvRmT2_T3_T4_T5_mT6_T7_P12ihipStream_tbENKUlT_T0_E_clISt17integral_constantIbLb1EES10_EEDaSV_SW_EUlSV_E_NS1_11comp_targetILNS1_3genE5ELNS1_11target_archE942ELNS1_3gpuE9ELNS1_3repE0EEENS1_30default_config_static_selectorELNS0_4arch9wavefront6targetE1EEEvT1_
                                        ; -- End function
	.set _ZN7rocprim17ROCPRIM_400000_NS6detail17trampoline_kernelINS0_14default_configENS1_27scan_by_key_config_selectorIiiEEZZNS1_16scan_by_key_implILNS1_25lookback_scan_determinismE0ELb0ES3_N6thrust23THRUST_200600_302600_NS16reverse_iteratorIPKiEESD_NSA_IPiEEiN6hipcub16HIPCUB_304000_NS3MaxENSH_8EqualityEiEE10hipError_tPvRmT2_T3_T4_T5_mT6_T7_P12ihipStream_tbENKUlT_T0_E_clISt17integral_constantIbLb1EES10_EEDaSV_SW_EUlSV_E_NS1_11comp_targetILNS1_3genE5ELNS1_11target_archE942ELNS1_3gpuE9ELNS1_3repE0EEENS1_30default_config_static_selectorELNS0_4arch9wavefront6targetE1EEEvT1_.num_vgpr, 0
	.set _ZN7rocprim17ROCPRIM_400000_NS6detail17trampoline_kernelINS0_14default_configENS1_27scan_by_key_config_selectorIiiEEZZNS1_16scan_by_key_implILNS1_25lookback_scan_determinismE0ELb0ES3_N6thrust23THRUST_200600_302600_NS16reverse_iteratorIPKiEESD_NSA_IPiEEiN6hipcub16HIPCUB_304000_NS3MaxENSH_8EqualityEiEE10hipError_tPvRmT2_T3_T4_T5_mT6_T7_P12ihipStream_tbENKUlT_T0_E_clISt17integral_constantIbLb1EES10_EEDaSV_SW_EUlSV_E_NS1_11comp_targetILNS1_3genE5ELNS1_11target_archE942ELNS1_3gpuE9ELNS1_3repE0EEENS1_30default_config_static_selectorELNS0_4arch9wavefront6targetE1EEEvT1_.num_agpr, 0
	.set _ZN7rocprim17ROCPRIM_400000_NS6detail17trampoline_kernelINS0_14default_configENS1_27scan_by_key_config_selectorIiiEEZZNS1_16scan_by_key_implILNS1_25lookback_scan_determinismE0ELb0ES3_N6thrust23THRUST_200600_302600_NS16reverse_iteratorIPKiEESD_NSA_IPiEEiN6hipcub16HIPCUB_304000_NS3MaxENSH_8EqualityEiEE10hipError_tPvRmT2_T3_T4_T5_mT6_T7_P12ihipStream_tbENKUlT_T0_E_clISt17integral_constantIbLb1EES10_EEDaSV_SW_EUlSV_E_NS1_11comp_targetILNS1_3genE5ELNS1_11target_archE942ELNS1_3gpuE9ELNS1_3repE0EEENS1_30default_config_static_selectorELNS0_4arch9wavefront6targetE1EEEvT1_.numbered_sgpr, 0
	.set _ZN7rocprim17ROCPRIM_400000_NS6detail17trampoline_kernelINS0_14default_configENS1_27scan_by_key_config_selectorIiiEEZZNS1_16scan_by_key_implILNS1_25lookback_scan_determinismE0ELb0ES3_N6thrust23THRUST_200600_302600_NS16reverse_iteratorIPKiEESD_NSA_IPiEEiN6hipcub16HIPCUB_304000_NS3MaxENSH_8EqualityEiEE10hipError_tPvRmT2_T3_T4_T5_mT6_T7_P12ihipStream_tbENKUlT_T0_E_clISt17integral_constantIbLb1EES10_EEDaSV_SW_EUlSV_E_NS1_11comp_targetILNS1_3genE5ELNS1_11target_archE942ELNS1_3gpuE9ELNS1_3repE0EEENS1_30default_config_static_selectorELNS0_4arch9wavefront6targetE1EEEvT1_.num_named_barrier, 0
	.set _ZN7rocprim17ROCPRIM_400000_NS6detail17trampoline_kernelINS0_14default_configENS1_27scan_by_key_config_selectorIiiEEZZNS1_16scan_by_key_implILNS1_25lookback_scan_determinismE0ELb0ES3_N6thrust23THRUST_200600_302600_NS16reverse_iteratorIPKiEESD_NSA_IPiEEiN6hipcub16HIPCUB_304000_NS3MaxENSH_8EqualityEiEE10hipError_tPvRmT2_T3_T4_T5_mT6_T7_P12ihipStream_tbENKUlT_T0_E_clISt17integral_constantIbLb1EES10_EEDaSV_SW_EUlSV_E_NS1_11comp_targetILNS1_3genE5ELNS1_11target_archE942ELNS1_3gpuE9ELNS1_3repE0EEENS1_30default_config_static_selectorELNS0_4arch9wavefront6targetE1EEEvT1_.private_seg_size, 0
	.set _ZN7rocprim17ROCPRIM_400000_NS6detail17trampoline_kernelINS0_14default_configENS1_27scan_by_key_config_selectorIiiEEZZNS1_16scan_by_key_implILNS1_25lookback_scan_determinismE0ELb0ES3_N6thrust23THRUST_200600_302600_NS16reverse_iteratorIPKiEESD_NSA_IPiEEiN6hipcub16HIPCUB_304000_NS3MaxENSH_8EqualityEiEE10hipError_tPvRmT2_T3_T4_T5_mT6_T7_P12ihipStream_tbENKUlT_T0_E_clISt17integral_constantIbLb1EES10_EEDaSV_SW_EUlSV_E_NS1_11comp_targetILNS1_3genE5ELNS1_11target_archE942ELNS1_3gpuE9ELNS1_3repE0EEENS1_30default_config_static_selectorELNS0_4arch9wavefront6targetE1EEEvT1_.uses_vcc, 0
	.set _ZN7rocprim17ROCPRIM_400000_NS6detail17trampoline_kernelINS0_14default_configENS1_27scan_by_key_config_selectorIiiEEZZNS1_16scan_by_key_implILNS1_25lookback_scan_determinismE0ELb0ES3_N6thrust23THRUST_200600_302600_NS16reverse_iteratorIPKiEESD_NSA_IPiEEiN6hipcub16HIPCUB_304000_NS3MaxENSH_8EqualityEiEE10hipError_tPvRmT2_T3_T4_T5_mT6_T7_P12ihipStream_tbENKUlT_T0_E_clISt17integral_constantIbLb1EES10_EEDaSV_SW_EUlSV_E_NS1_11comp_targetILNS1_3genE5ELNS1_11target_archE942ELNS1_3gpuE9ELNS1_3repE0EEENS1_30default_config_static_selectorELNS0_4arch9wavefront6targetE1EEEvT1_.uses_flat_scratch, 0
	.set _ZN7rocprim17ROCPRIM_400000_NS6detail17trampoline_kernelINS0_14default_configENS1_27scan_by_key_config_selectorIiiEEZZNS1_16scan_by_key_implILNS1_25lookback_scan_determinismE0ELb0ES3_N6thrust23THRUST_200600_302600_NS16reverse_iteratorIPKiEESD_NSA_IPiEEiN6hipcub16HIPCUB_304000_NS3MaxENSH_8EqualityEiEE10hipError_tPvRmT2_T3_T4_T5_mT6_T7_P12ihipStream_tbENKUlT_T0_E_clISt17integral_constantIbLb1EES10_EEDaSV_SW_EUlSV_E_NS1_11comp_targetILNS1_3genE5ELNS1_11target_archE942ELNS1_3gpuE9ELNS1_3repE0EEENS1_30default_config_static_selectorELNS0_4arch9wavefront6targetE1EEEvT1_.has_dyn_sized_stack, 0
	.set _ZN7rocprim17ROCPRIM_400000_NS6detail17trampoline_kernelINS0_14default_configENS1_27scan_by_key_config_selectorIiiEEZZNS1_16scan_by_key_implILNS1_25lookback_scan_determinismE0ELb0ES3_N6thrust23THRUST_200600_302600_NS16reverse_iteratorIPKiEESD_NSA_IPiEEiN6hipcub16HIPCUB_304000_NS3MaxENSH_8EqualityEiEE10hipError_tPvRmT2_T3_T4_T5_mT6_T7_P12ihipStream_tbENKUlT_T0_E_clISt17integral_constantIbLb1EES10_EEDaSV_SW_EUlSV_E_NS1_11comp_targetILNS1_3genE5ELNS1_11target_archE942ELNS1_3gpuE9ELNS1_3repE0EEENS1_30default_config_static_selectorELNS0_4arch9wavefront6targetE1EEEvT1_.has_recursion, 0
	.set _ZN7rocprim17ROCPRIM_400000_NS6detail17trampoline_kernelINS0_14default_configENS1_27scan_by_key_config_selectorIiiEEZZNS1_16scan_by_key_implILNS1_25lookback_scan_determinismE0ELb0ES3_N6thrust23THRUST_200600_302600_NS16reverse_iteratorIPKiEESD_NSA_IPiEEiN6hipcub16HIPCUB_304000_NS3MaxENSH_8EqualityEiEE10hipError_tPvRmT2_T3_T4_T5_mT6_T7_P12ihipStream_tbENKUlT_T0_E_clISt17integral_constantIbLb1EES10_EEDaSV_SW_EUlSV_E_NS1_11comp_targetILNS1_3genE5ELNS1_11target_archE942ELNS1_3gpuE9ELNS1_3repE0EEENS1_30default_config_static_selectorELNS0_4arch9wavefront6targetE1EEEvT1_.has_indirect_call, 0
	.section	.AMDGPU.csdata,"",@progbits
; Kernel info:
; codeLenInByte = 0
; TotalNumSgprs: 6
; NumVgprs: 0
; NumAgprs: 0
; TotalNumVgprs: 0
; ScratchSize: 0
; MemoryBound: 0
; FloatMode: 240
; IeeeMode: 1
; LDSByteSize: 0 bytes/workgroup (compile time only)
; SGPRBlocks: 0
; VGPRBlocks: 0
; NumSGPRsForWavesPerEU: 6
; NumVGPRsForWavesPerEU: 1
; AccumOffset: 4
; Occupancy: 8
; WaveLimiterHint : 0
; COMPUTE_PGM_RSRC2:SCRATCH_EN: 0
; COMPUTE_PGM_RSRC2:USER_SGPR: 2
; COMPUTE_PGM_RSRC2:TRAP_HANDLER: 0
; COMPUTE_PGM_RSRC2:TGID_X_EN: 1
; COMPUTE_PGM_RSRC2:TGID_Y_EN: 0
; COMPUTE_PGM_RSRC2:TGID_Z_EN: 0
; COMPUTE_PGM_RSRC2:TIDIG_COMP_CNT: 0
; COMPUTE_PGM_RSRC3_GFX90A:ACCUM_OFFSET: 0
; COMPUTE_PGM_RSRC3_GFX90A:TG_SPLIT: 0
	.section	.text._ZN7rocprim17ROCPRIM_400000_NS6detail17trampoline_kernelINS0_14default_configENS1_27scan_by_key_config_selectorIiiEEZZNS1_16scan_by_key_implILNS1_25lookback_scan_determinismE0ELb0ES3_N6thrust23THRUST_200600_302600_NS16reverse_iteratorIPKiEESD_NSA_IPiEEiN6hipcub16HIPCUB_304000_NS3MaxENSH_8EqualityEiEE10hipError_tPvRmT2_T3_T4_T5_mT6_T7_P12ihipStream_tbENKUlT_T0_E_clISt17integral_constantIbLb1EES10_EEDaSV_SW_EUlSV_E_NS1_11comp_targetILNS1_3genE4ELNS1_11target_archE910ELNS1_3gpuE8ELNS1_3repE0EEENS1_30default_config_static_selectorELNS0_4arch9wavefront6targetE1EEEvT1_,"axG",@progbits,_ZN7rocprim17ROCPRIM_400000_NS6detail17trampoline_kernelINS0_14default_configENS1_27scan_by_key_config_selectorIiiEEZZNS1_16scan_by_key_implILNS1_25lookback_scan_determinismE0ELb0ES3_N6thrust23THRUST_200600_302600_NS16reverse_iteratorIPKiEESD_NSA_IPiEEiN6hipcub16HIPCUB_304000_NS3MaxENSH_8EqualityEiEE10hipError_tPvRmT2_T3_T4_T5_mT6_T7_P12ihipStream_tbENKUlT_T0_E_clISt17integral_constantIbLb1EES10_EEDaSV_SW_EUlSV_E_NS1_11comp_targetILNS1_3genE4ELNS1_11target_archE910ELNS1_3gpuE8ELNS1_3repE0EEENS1_30default_config_static_selectorELNS0_4arch9wavefront6targetE1EEEvT1_,comdat
	.protected	_ZN7rocprim17ROCPRIM_400000_NS6detail17trampoline_kernelINS0_14default_configENS1_27scan_by_key_config_selectorIiiEEZZNS1_16scan_by_key_implILNS1_25lookback_scan_determinismE0ELb0ES3_N6thrust23THRUST_200600_302600_NS16reverse_iteratorIPKiEESD_NSA_IPiEEiN6hipcub16HIPCUB_304000_NS3MaxENSH_8EqualityEiEE10hipError_tPvRmT2_T3_T4_T5_mT6_T7_P12ihipStream_tbENKUlT_T0_E_clISt17integral_constantIbLb1EES10_EEDaSV_SW_EUlSV_E_NS1_11comp_targetILNS1_3genE4ELNS1_11target_archE910ELNS1_3gpuE8ELNS1_3repE0EEENS1_30default_config_static_selectorELNS0_4arch9wavefront6targetE1EEEvT1_ ; -- Begin function _ZN7rocprim17ROCPRIM_400000_NS6detail17trampoline_kernelINS0_14default_configENS1_27scan_by_key_config_selectorIiiEEZZNS1_16scan_by_key_implILNS1_25lookback_scan_determinismE0ELb0ES3_N6thrust23THRUST_200600_302600_NS16reverse_iteratorIPKiEESD_NSA_IPiEEiN6hipcub16HIPCUB_304000_NS3MaxENSH_8EqualityEiEE10hipError_tPvRmT2_T3_T4_T5_mT6_T7_P12ihipStream_tbENKUlT_T0_E_clISt17integral_constantIbLb1EES10_EEDaSV_SW_EUlSV_E_NS1_11comp_targetILNS1_3genE4ELNS1_11target_archE910ELNS1_3gpuE8ELNS1_3repE0EEENS1_30default_config_static_selectorELNS0_4arch9wavefront6targetE1EEEvT1_
	.globl	_ZN7rocprim17ROCPRIM_400000_NS6detail17trampoline_kernelINS0_14default_configENS1_27scan_by_key_config_selectorIiiEEZZNS1_16scan_by_key_implILNS1_25lookback_scan_determinismE0ELb0ES3_N6thrust23THRUST_200600_302600_NS16reverse_iteratorIPKiEESD_NSA_IPiEEiN6hipcub16HIPCUB_304000_NS3MaxENSH_8EqualityEiEE10hipError_tPvRmT2_T3_T4_T5_mT6_T7_P12ihipStream_tbENKUlT_T0_E_clISt17integral_constantIbLb1EES10_EEDaSV_SW_EUlSV_E_NS1_11comp_targetILNS1_3genE4ELNS1_11target_archE910ELNS1_3gpuE8ELNS1_3repE0EEENS1_30default_config_static_selectorELNS0_4arch9wavefront6targetE1EEEvT1_
	.p2align	8
	.type	_ZN7rocprim17ROCPRIM_400000_NS6detail17trampoline_kernelINS0_14default_configENS1_27scan_by_key_config_selectorIiiEEZZNS1_16scan_by_key_implILNS1_25lookback_scan_determinismE0ELb0ES3_N6thrust23THRUST_200600_302600_NS16reverse_iteratorIPKiEESD_NSA_IPiEEiN6hipcub16HIPCUB_304000_NS3MaxENSH_8EqualityEiEE10hipError_tPvRmT2_T3_T4_T5_mT6_T7_P12ihipStream_tbENKUlT_T0_E_clISt17integral_constantIbLb1EES10_EEDaSV_SW_EUlSV_E_NS1_11comp_targetILNS1_3genE4ELNS1_11target_archE910ELNS1_3gpuE8ELNS1_3repE0EEENS1_30default_config_static_selectorELNS0_4arch9wavefront6targetE1EEEvT1_,@function
_ZN7rocprim17ROCPRIM_400000_NS6detail17trampoline_kernelINS0_14default_configENS1_27scan_by_key_config_selectorIiiEEZZNS1_16scan_by_key_implILNS1_25lookback_scan_determinismE0ELb0ES3_N6thrust23THRUST_200600_302600_NS16reverse_iteratorIPKiEESD_NSA_IPiEEiN6hipcub16HIPCUB_304000_NS3MaxENSH_8EqualityEiEE10hipError_tPvRmT2_T3_T4_T5_mT6_T7_P12ihipStream_tbENKUlT_T0_E_clISt17integral_constantIbLb1EES10_EEDaSV_SW_EUlSV_E_NS1_11comp_targetILNS1_3genE4ELNS1_11target_archE910ELNS1_3gpuE8ELNS1_3repE0EEENS1_30default_config_static_selectorELNS0_4arch9wavefront6targetE1EEEvT1_: ; @_ZN7rocprim17ROCPRIM_400000_NS6detail17trampoline_kernelINS0_14default_configENS1_27scan_by_key_config_selectorIiiEEZZNS1_16scan_by_key_implILNS1_25lookback_scan_determinismE0ELb0ES3_N6thrust23THRUST_200600_302600_NS16reverse_iteratorIPKiEESD_NSA_IPiEEiN6hipcub16HIPCUB_304000_NS3MaxENSH_8EqualityEiEE10hipError_tPvRmT2_T3_T4_T5_mT6_T7_P12ihipStream_tbENKUlT_T0_E_clISt17integral_constantIbLb1EES10_EEDaSV_SW_EUlSV_E_NS1_11comp_targetILNS1_3genE4ELNS1_11target_archE910ELNS1_3gpuE8ELNS1_3repE0EEENS1_30default_config_static_selectorELNS0_4arch9wavefront6targetE1EEEvT1_
; %bb.0:
	.section	.rodata,"a",@progbits
	.p2align	6, 0x0
	.amdhsa_kernel _ZN7rocprim17ROCPRIM_400000_NS6detail17trampoline_kernelINS0_14default_configENS1_27scan_by_key_config_selectorIiiEEZZNS1_16scan_by_key_implILNS1_25lookback_scan_determinismE0ELb0ES3_N6thrust23THRUST_200600_302600_NS16reverse_iteratorIPKiEESD_NSA_IPiEEiN6hipcub16HIPCUB_304000_NS3MaxENSH_8EqualityEiEE10hipError_tPvRmT2_T3_T4_T5_mT6_T7_P12ihipStream_tbENKUlT_T0_E_clISt17integral_constantIbLb1EES10_EEDaSV_SW_EUlSV_E_NS1_11comp_targetILNS1_3genE4ELNS1_11target_archE910ELNS1_3gpuE8ELNS1_3repE0EEENS1_30default_config_static_selectorELNS0_4arch9wavefront6targetE1EEEvT1_
		.amdhsa_group_segment_fixed_size 0
		.amdhsa_private_segment_fixed_size 0
		.amdhsa_kernarg_size 112
		.amdhsa_user_sgpr_count 2
		.amdhsa_user_sgpr_dispatch_ptr 0
		.amdhsa_user_sgpr_queue_ptr 0
		.amdhsa_user_sgpr_kernarg_segment_ptr 1
		.amdhsa_user_sgpr_dispatch_id 0
		.amdhsa_user_sgpr_kernarg_preload_length 0
		.amdhsa_user_sgpr_kernarg_preload_offset 0
		.amdhsa_user_sgpr_private_segment_size 0
		.amdhsa_uses_dynamic_stack 0
		.amdhsa_enable_private_segment 0
		.amdhsa_system_sgpr_workgroup_id_x 1
		.amdhsa_system_sgpr_workgroup_id_y 0
		.amdhsa_system_sgpr_workgroup_id_z 0
		.amdhsa_system_sgpr_workgroup_info 0
		.amdhsa_system_vgpr_workitem_id 0
		.amdhsa_next_free_vgpr 1
		.amdhsa_next_free_sgpr 0
		.amdhsa_accum_offset 4
		.amdhsa_reserve_vcc 0
		.amdhsa_float_round_mode_32 0
		.amdhsa_float_round_mode_16_64 0
		.amdhsa_float_denorm_mode_32 3
		.amdhsa_float_denorm_mode_16_64 3
		.amdhsa_dx10_clamp 1
		.amdhsa_ieee_mode 1
		.amdhsa_fp16_overflow 0
		.amdhsa_tg_split 0
		.amdhsa_exception_fp_ieee_invalid_op 0
		.amdhsa_exception_fp_denorm_src 0
		.amdhsa_exception_fp_ieee_div_zero 0
		.amdhsa_exception_fp_ieee_overflow 0
		.amdhsa_exception_fp_ieee_underflow 0
		.amdhsa_exception_fp_ieee_inexact 0
		.amdhsa_exception_int_div_zero 0
	.end_amdhsa_kernel
	.section	.text._ZN7rocprim17ROCPRIM_400000_NS6detail17trampoline_kernelINS0_14default_configENS1_27scan_by_key_config_selectorIiiEEZZNS1_16scan_by_key_implILNS1_25lookback_scan_determinismE0ELb0ES3_N6thrust23THRUST_200600_302600_NS16reverse_iteratorIPKiEESD_NSA_IPiEEiN6hipcub16HIPCUB_304000_NS3MaxENSH_8EqualityEiEE10hipError_tPvRmT2_T3_T4_T5_mT6_T7_P12ihipStream_tbENKUlT_T0_E_clISt17integral_constantIbLb1EES10_EEDaSV_SW_EUlSV_E_NS1_11comp_targetILNS1_3genE4ELNS1_11target_archE910ELNS1_3gpuE8ELNS1_3repE0EEENS1_30default_config_static_selectorELNS0_4arch9wavefront6targetE1EEEvT1_,"axG",@progbits,_ZN7rocprim17ROCPRIM_400000_NS6detail17trampoline_kernelINS0_14default_configENS1_27scan_by_key_config_selectorIiiEEZZNS1_16scan_by_key_implILNS1_25lookback_scan_determinismE0ELb0ES3_N6thrust23THRUST_200600_302600_NS16reverse_iteratorIPKiEESD_NSA_IPiEEiN6hipcub16HIPCUB_304000_NS3MaxENSH_8EqualityEiEE10hipError_tPvRmT2_T3_T4_T5_mT6_T7_P12ihipStream_tbENKUlT_T0_E_clISt17integral_constantIbLb1EES10_EEDaSV_SW_EUlSV_E_NS1_11comp_targetILNS1_3genE4ELNS1_11target_archE910ELNS1_3gpuE8ELNS1_3repE0EEENS1_30default_config_static_selectorELNS0_4arch9wavefront6targetE1EEEvT1_,comdat
.Lfunc_end66:
	.size	_ZN7rocprim17ROCPRIM_400000_NS6detail17trampoline_kernelINS0_14default_configENS1_27scan_by_key_config_selectorIiiEEZZNS1_16scan_by_key_implILNS1_25lookback_scan_determinismE0ELb0ES3_N6thrust23THRUST_200600_302600_NS16reverse_iteratorIPKiEESD_NSA_IPiEEiN6hipcub16HIPCUB_304000_NS3MaxENSH_8EqualityEiEE10hipError_tPvRmT2_T3_T4_T5_mT6_T7_P12ihipStream_tbENKUlT_T0_E_clISt17integral_constantIbLb1EES10_EEDaSV_SW_EUlSV_E_NS1_11comp_targetILNS1_3genE4ELNS1_11target_archE910ELNS1_3gpuE8ELNS1_3repE0EEENS1_30default_config_static_selectorELNS0_4arch9wavefront6targetE1EEEvT1_, .Lfunc_end66-_ZN7rocprim17ROCPRIM_400000_NS6detail17trampoline_kernelINS0_14default_configENS1_27scan_by_key_config_selectorIiiEEZZNS1_16scan_by_key_implILNS1_25lookback_scan_determinismE0ELb0ES3_N6thrust23THRUST_200600_302600_NS16reverse_iteratorIPKiEESD_NSA_IPiEEiN6hipcub16HIPCUB_304000_NS3MaxENSH_8EqualityEiEE10hipError_tPvRmT2_T3_T4_T5_mT6_T7_P12ihipStream_tbENKUlT_T0_E_clISt17integral_constantIbLb1EES10_EEDaSV_SW_EUlSV_E_NS1_11comp_targetILNS1_3genE4ELNS1_11target_archE910ELNS1_3gpuE8ELNS1_3repE0EEENS1_30default_config_static_selectorELNS0_4arch9wavefront6targetE1EEEvT1_
                                        ; -- End function
	.set _ZN7rocprim17ROCPRIM_400000_NS6detail17trampoline_kernelINS0_14default_configENS1_27scan_by_key_config_selectorIiiEEZZNS1_16scan_by_key_implILNS1_25lookback_scan_determinismE0ELb0ES3_N6thrust23THRUST_200600_302600_NS16reverse_iteratorIPKiEESD_NSA_IPiEEiN6hipcub16HIPCUB_304000_NS3MaxENSH_8EqualityEiEE10hipError_tPvRmT2_T3_T4_T5_mT6_T7_P12ihipStream_tbENKUlT_T0_E_clISt17integral_constantIbLb1EES10_EEDaSV_SW_EUlSV_E_NS1_11comp_targetILNS1_3genE4ELNS1_11target_archE910ELNS1_3gpuE8ELNS1_3repE0EEENS1_30default_config_static_selectorELNS0_4arch9wavefront6targetE1EEEvT1_.num_vgpr, 0
	.set _ZN7rocprim17ROCPRIM_400000_NS6detail17trampoline_kernelINS0_14default_configENS1_27scan_by_key_config_selectorIiiEEZZNS1_16scan_by_key_implILNS1_25lookback_scan_determinismE0ELb0ES3_N6thrust23THRUST_200600_302600_NS16reverse_iteratorIPKiEESD_NSA_IPiEEiN6hipcub16HIPCUB_304000_NS3MaxENSH_8EqualityEiEE10hipError_tPvRmT2_T3_T4_T5_mT6_T7_P12ihipStream_tbENKUlT_T0_E_clISt17integral_constantIbLb1EES10_EEDaSV_SW_EUlSV_E_NS1_11comp_targetILNS1_3genE4ELNS1_11target_archE910ELNS1_3gpuE8ELNS1_3repE0EEENS1_30default_config_static_selectorELNS0_4arch9wavefront6targetE1EEEvT1_.num_agpr, 0
	.set _ZN7rocprim17ROCPRIM_400000_NS6detail17trampoline_kernelINS0_14default_configENS1_27scan_by_key_config_selectorIiiEEZZNS1_16scan_by_key_implILNS1_25lookback_scan_determinismE0ELb0ES3_N6thrust23THRUST_200600_302600_NS16reverse_iteratorIPKiEESD_NSA_IPiEEiN6hipcub16HIPCUB_304000_NS3MaxENSH_8EqualityEiEE10hipError_tPvRmT2_T3_T4_T5_mT6_T7_P12ihipStream_tbENKUlT_T0_E_clISt17integral_constantIbLb1EES10_EEDaSV_SW_EUlSV_E_NS1_11comp_targetILNS1_3genE4ELNS1_11target_archE910ELNS1_3gpuE8ELNS1_3repE0EEENS1_30default_config_static_selectorELNS0_4arch9wavefront6targetE1EEEvT1_.numbered_sgpr, 0
	.set _ZN7rocprim17ROCPRIM_400000_NS6detail17trampoline_kernelINS0_14default_configENS1_27scan_by_key_config_selectorIiiEEZZNS1_16scan_by_key_implILNS1_25lookback_scan_determinismE0ELb0ES3_N6thrust23THRUST_200600_302600_NS16reverse_iteratorIPKiEESD_NSA_IPiEEiN6hipcub16HIPCUB_304000_NS3MaxENSH_8EqualityEiEE10hipError_tPvRmT2_T3_T4_T5_mT6_T7_P12ihipStream_tbENKUlT_T0_E_clISt17integral_constantIbLb1EES10_EEDaSV_SW_EUlSV_E_NS1_11comp_targetILNS1_3genE4ELNS1_11target_archE910ELNS1_3gpuE8ELNS1_3repE0EEENS1_30default_config_static_selectorELNS0_4arch9wavefront6targetE1EEEvT1_.num_named_barrier, 0
	.set _ZN7rocprim17ROCPRIM_400000_NS6detail17trampoline_kernelINS0_14default_configENS1_27scan_by_key_config_selectorIiiEEZZNS1_16scan_by_key_implILNS1_25lookback_scan_determinismE0ELb0ES3_N6thrust23THRUST_200600_302600_NS16reverse_iteratorIPKiEESD_NSA_IPiEEiN6hipcub16HIPCUB_304000_NS3MaxENSH_8EqualityEiEE10hipError_tPvRmT2_T3_T4_T5_mT6_T7_P12ihipStream_tbENKUlT_T0_E_clISt17integral_constantIbLb1EES10_EEDaSV_SW_EUlSV_E_NS1_11comp_targetILNS1_3genE4ELNS1_11target_archE910ELNS1_3gpuE8ELNS1_3repE0EEENS1_30default_config_static_selectorELNS0_4arch9wavefront6targetE1EEEvT1_.private_seg_size, 0
	.set _ZN7rocprim17ROCPRIM_400000_NS6detail17trampoline_kernelINS0_14default_configENS1_27scan_by_key_config_selectorIiiEEZZNS1_16scan_by_key_implILNS1_25lookback_scan_determinismE0ELb0ES3_N6thrust23THRUST_200600_302600_NS16reverse_iteratorIPKiEESD_NSA_IPiEEiN6hipcub16HIPCUB_304000_NS3MaxENSH_8EqualityEiEE10hipError_tPvRmT2_T3_T4_T5_mT6_T7_P12ihipStream_tbENKUlT_T0_E_clISt17integral_constantIbLb1EES10_EEDaSV_SW_EUlSV_E_NS1_11comp_targetILNS1_3genE4ELNS1_11target_archE910ELNS1_3gpuE8ELNS1_3repE0EEENS1_30default_config_static_selectorELNS0_4arch9wavefront6targetE1EEEvT1_.uses_vcc, 0
	.set _ZN7rocprim17ROCPRIM_400000_NS6detail17trampoline_kernelINS0_14default_configENS1_27scan_by_key_config_selectorIiiEEZZNS1_16scan_by_key_implILNS1_25lookback_scan_determinismE0ELb0ES3_N6thrust23THRUST_200600_302600_NS16reverse_iteratorIPKiEESD_NSA_IPiEEiN6hipcub16HIPCUB_304000_NS3MaxENSH_8EqualityEiEE10hipError_tPvRmT2_T3_T4_T5_mT6_T7_P12ihipStream_tbENKUlT_T0_E_clISt17integral_constantIbLb1EES10_EEDaSV_SW_EUlSV_E_NS1_11comp_targetILNS1_3genE4ELNS1_11target_archE910ELNS1_3gpuE8ELNS1_3repE0EEENS1_30default_config_static_selectorELNS0_4arch9wavefront6targetE1EEEvT1_.uses_flat_scratch, 0
	.set _ZN7rocprim17ROCPRIM_400000_NS6detail17trampoline_kernelINS0_14default_configENS1_27scan_by_key_config_selectorIiiEEZZNS1_16scan_by_key_implILNS1_25lookback_scan_determinismE0ELb0ES3_N6thrust23THRUST_200600_302600_NS16reverse_iteratorIPKiEESD_NSA_IPiEEiN6hipcub16HIPCUB_304000_NS3MaxENSH_8EqualityEiEE10hipError_tPvRmT2_T3_T4_T5_mT6_T7_P12ihipStream_tbENKUlT_T0_E_clISt17integral_constantIbLb1EES10_EEDaSV_SW_EUlSV_E_NS1_11comp_targetILNS1_3genE4ELNS1_11target_archE910ELNS1_3gpuE8ELNS1_3repE0EEENS1_30default_config_static_selectorELNS0_4arch9wavefront6targetE1EEEvT1_.has_dyn_sized_stack, 0
	.set _ZN7rocprim17ROCPRIM_400000_NS6detail17trampoline_kernelINS0_14default_configENS1_27scan_by_key_config_selectorIiiEEZZNS1_16scan_by_key_implILNS1_25lookback_scan_determinismE0ELb0ES3_N6thrust23THRUST_200600_302600_NS16reverse_iteratorIPKiEESD_NSA_IPiEEiN6hipcub16HIPCUB_304000_NS3MaxENSH_8EqualityEiEE10hipError_tPvRmT2_T3_T4_T5_mT6_T7_P12ihipStream_tbENKUlT_T0_E_clISt17integral_constantIbLb1EES10_EEDaSV_SW_EUlSV_E_NS1_11comp_targetILNS1_3genE4ELNS1_11target_archE910ELNS1_3gpuE8ELNS1_3repE0EEENS1_30default_config_static_selectorELNS0_4arch9wavefront6targetE1EEEvT1_.has_recursion, 0
	.set _ZN7rocprim17ROCPRIM_400000_NS6detail17trampoline_kernelINS0_14default_configENS1_27scan_by_key_config_selectorIiiEEZZNS1_16scan_by_key_implILNS1_25lookback_scan_determinismE0ELb0ES3_N6thrust23THRUST_200600_302600_NS16reverse_iteratorIPKiEESD_NSA_IPiEEiN6hipcub16HIPCUB_304000_NS3MaxENSH_8EqualityEiEE10hipError_tPvRmT2_T3_T4_T5_mT6_T7_P12ihipStream_tbENKUlT_T0_E_clISt17integral_constantIbLb1EES10_EEDaSV_SW_EUlSV_E_NS1_11comp_targetILNS1_3genE4ELNS1_11target_archE910ELNS1_3gpuE8ELNS1_3repE0EEENS1_30default_config_static_selectorELNS0_4arch9wavefront6targetE1EEEvT1_.has_indirect_call, 0
	.section	.AMDGPU.csdata,"",@progbits
; Kernel info:
; codeLenInByte = 0
; TotalNumSgprs: 6
; NumVgprs: 0
; NumAgprs: 0
; TotalNumVgprs: 0
; ScratchSize: 0
; MemoryBound: 0
; FloatMode: 240
; IeeeMode: 1
; LDSByteSize: 0 bytes/workgroup (compile time only)
; SGPRBlocks: 0
; VGPRBlocks: 0
; NumSGPRsForWavesPerEU: 6
; NumVGPRsForWavesPerEU: 1
; AccumOffset: 4
; Occupancy: 8
; WaveLimiterHint : 0
; COMPUTE_PGM_RSRC2:SCRATCH_EN: 0
; COMPUTE_PGM_RSRC2:USER_SGPR: 2
; COMPUTE_PGM_RSRC2:TRAP_HANDLER: 0
; COMPUTE_PGM_RSRC2:TGID_X_EN: 1
; COMPUTE_PGM_RSRC2:TGID_Y_EN: 0
; COMPUTE_PGM_RSRC2:TGID_Z_EN: 0
; COMPUTE_PGM_RSRC2:TIDIG_COMP_CNT: 0
; COMPUTE_PGM_RSRC3_GFX90A:ACCUM_OFFSET: 0
; COMPUTE_PGM_RSRC3_GFX90A:TG_SPLIT: 0
	.section	.text._ZN7rocprim17ROCPRIM_400000_NS6detail17trampoline_kernelINS0_14default_configENS1_27scan_by_key_config_selectorIiiEEZZNS1_16scan_by_key_implILNS1_25lookback_scan_determinismE0ELb0ES3_N6thrust23THRUST_200600_302600_NS16reverse_iteratorIPKiEESD_NSA_IPiEEiN6hipcub16HIPCUB_304000_NS3MaxENSH_8EqualityEiEE10hipError_tPvRmT2_T3_T4_T5_mT6_T7_P12ihipStream_tbENKUlT_T0_E_clISt17integral_constantIbLb1EES10_EEDaSV_SW_EUlSV_E_NS1_11comp_targetILNS1_3genE3ELNS1_11target_archE908ELNS1_3gpuE7ELNS1_3repE0EEENS1_30default_config_static_selectorELNS0_4arch9wavefront6targetE1EEEvT1_,"axG",@progbits,_ZN7rocprim17ROCPRIM_400000_NS6detail17trampoline_kernelINS0_14default_configENS1_27scan_by_key_config_selectorIiiEEZZNS1_16scan_by_key_implILNS1_25lookback_scan_determinismE0ELb0ES3_N6thrust23THRUST_200600_302600_NS16reverse_iteratorIPKiEESD_NSA_IPiEEiN6hipcub16HIPCUB_304000_NS3MaxENSH_8EqualityEiEE10hipError_tPvRmT2_T3_T4_T5_mT6_T7_P12ihipStream_tbENKUlT_T0_E_clISt17integral_constantIbLb1EES10_EEDaSV_SW_EUlSV_E_NS1_11comp_targetILNS1_3genE3ELNS1_11target_archE908ELNS1_3gpuE7ELNS1_3repE0EEENS1_30default_config_static_selectorELNS0_4arch9wavefront6targetE1EEEvT1_,comdat
	.protected	_ZN7rocprim17ROCPRIM_400000_NS6detail17trampoline_kernelINS0_14default_configENS1_27scan_by_key_config_selectorIiiEEZZNS1_16scan_by_key_implILNS1_25lookback_scan_determinismE0ELb0ES3_N6thrust23THRUST_200600_302600_NS16reverse_iteratorIPKiEESD_NSA_IPiEEiN6hipcub16HIPCUB_304000_NS3MaxENSH_8EqualityEiEE10hipError_tPvRmT2_T3_T4_T5_mT6_T7_P12ihipStream_tbENKUlT_T0_E_clISt17integral_constantIbLb1EES10_EEDaSV_SW_EUlSV_E_NS1_11comp_targetILNS1_3genE3ELNS1_11target_archE908ELNS1_3gpuE7ELNS1_3repE0EEENS1_30default_config_static_selectorELNS0_4arch9wavefront6targetE1EEEvT1_ ; -- Begin function _ZN7rocprim17ROCPRIM_400000_NS6detail17trampoline_kernelINS0_14default_configENS1_27scan_by_key_config_selectorIiiEEZZNS1_16scan_by_key_implILNS1_25lookback_scan_determinismE0ELb0ES3_N6thrust23THRUST_200600_302600_NS16reverse_iteratorIPKiEESD_NSA_IPiEEiN6hipcub16HIPCUB_304000_NS3MaxENSH_8EqualityEiEE10hipError_tPvRmT2_T3_T4_T5_mT6_T7_P12ihipStream_tbENKUlT_T0_E_clISt17integral_constantIbLb1EES10_EEDaSV_SW_EUlSV_E_NS1_11comp_targetILNS1_3genE3ELNS1_11target_archE908ELNS1_3gpuE7ELNS1_3repE0EEENS1_30default_config_static_selectorELNS0_4arch9wavefront6targetE1EEEvT1_
	.globl	_ZN7rocprim17ROCPRIM_400000_NS6detail17trampoline_kernelINS0_14default_configENS1_27scan_by_key_config_selectorIiiEEZZNS1_16scan_by_key_implILNS1_25lookback_scan_determinismE0ELb0ES3_N6thrust23THRUST_200600_302600_NS16reverse_iteratorIPKiEESD_NSA_IPiEEiN6hipcub16HIPCUB_304000_NS3MaxENSH_8EqualityEiEE10hipError_tPvRmT2_T3_T4_T5_mT6_T7_P12ihipStream_tbENKUlT_T0_E_clISt17integral_constantIbLb1EES10_EEDaSV_SW_EUlSV_E_NS1_11comp_targetILNS1_3genE3ELNS1_11target_archE908ELNS1_3gpuE7ELNS1_3repE0EEENS1_30default_config_static_selectorELNS0_4arch9wavefront6targetE1EEEvT1_
	.p2align	8
	.type	_ZN7rocprim17ROCPRIM_400000_NS6detail17trampoline_kernelINS0_14default_configENS1_27scan_by_key_config_selectorIiiEEZZNS1_16scan_by_key_implILNS1_25lookback_scan_determinismE0ELb0ES3_N6thrust23THRUST_200600_302600_NS16reverse_iteratorIPKiEESD_NSA_IPiEEiN6hipcub16HIPCUB_304000_NS3MaxENSH_8EqualityEiEE10hipError_tPvRmT2_T3_T4_T5_mT6_T7_P12ihipStream_tbENKUlT_T0_E_clISt17integral_constantIbLb1EES10_EEDaSV_SW_EUlSV_E_NS1_11comp_targetILNS1_3genE3ELNS1_11target_archE908ELNS1_3gpuE7ELNS1_3repE0EEENS1_30default_config_static_selectorELNS0_4arch9wavefront6targetE1EEEvT1_,@function
_ZN7rocprim17ROCPRIM_400000_NS6detail17trampoline_kernelINS0_14default_configENS1_27scan_by_key_config_selectorIiiEEZZNS1_16scan_by_key_implILNS1_25lookback_scan_determinismE0ELb0ES3_N6thrust23THRUST_200600_302600_NS16reverse_iteratorIPKiEESD_NSA_IPiEEiN6hipcub16HIPCUB_304000_NS3MaxENSH_8EqualityEiEE10hipError_tPvRmT2_T3_T4_T5_mT6_T7_P12ihipStream_tbENKUlT_T0_E_clISt17integral_constantIbLb1EES10_EEDaSV_SW_EUlSV_E_NS1_11comp_targetILNS1_3genE3ELNS1_11target_archE908ELNS1_3gpuE7ELNS1_3repE0EEENS1_30default_config_static_selectorELNS0_4arch9wavefront6targetE1EEEvT1_: ; @_ZN7rocprim17ROCPRIM_400000_NS6detail17trampoline_kernelINS0_14default_configENS1_27scan_by_key_config_selectorIiiEEZZNS1_16scan_by_key_implILNS1_25lookback_scan_determinismE0ELb0ES3_N6thrust23THRUST_200600_302600_NS16reverse_iteratorIPKiEESD_NSA_IPiEEiN6hipcub16HIPCUB_304000_NS3MaxENSH_8EqualityEiEE10hipError_tPvRmT2_T3_T4_T5_mT6_T7_P12ihipStream_tbENKUlT_T0_E_clISt17integral_constantIbLb1EES10_EEDaSV_SW_EUlSV_E_NS1_11comp_targetILNS1_3genE3ELNS1_11target_archE908ELNS1_3gpuE7ELNS1_3repE0EEENS1_30default_config_static_selectorELNS0_4arch9wavefront6targetE1EEEvT1_
; %bb.0:
	.section	.rodata,"a",@progbits
	.p2align	6, 0x0
	.amdhsa_kernel _ZN7rocprim17ROCPRIM_400000_NS6detail17trampoline_kernelINS0_14default_configENS1_27scan_by_key_config_selectorIiiEEZZNS1_16scan_by_key_implILNS1_25lookback_scan_determinismE0ELb0ES3_N6thrust23THRUST_200600_302600_NS16reverse_iteratorIPKiEESD_NSA_IPiEEiN6hipcub16HIPCUB_304000_NS3MaxENSH_8EqualityEiEE10hipError_tPvRmT2_T3_T4_T5_mT6_T7_P12ihipStream_tbENKUlT_T0_E_clISt17integral_constantIbLb1EES10_EEDaSV_SW_EUlSV_E_NS1_11comp_targetILNS1_3genE3ELNS1_11target_archE908ELNS1_3gpuE7ELNS1_3repE0EEENS1_30default_config_static_selectorELNS0_4arch9wavefront6targetE1EEEvT1_
		.amdhsa_group_segment_fixed_size 0
		.amdhsa_private_segment_fixed_size 0
		.amdhsa_kernarg_size 112
		.amdhsa_user_sgpr_count 2
		.amdhsa_user_sgpr_dispatch_ptr 0
		.amdhsa_user_sgpr_queue_ptr 0
		.amdhsa_user_sgpr_kernarg_segment_ptr 1
		.amdhsa_user_sgpr_dispatch_id 0
		.amdhsa_user_sgpr_kernarg_preload_length 0
		.amdhsa_user_sgpr_kernarg_preload_offset 0
		.amdhsa_user_sgpr_private_segment_size 0
		.amdhsa_uses_dynamic_stack 0
		.amdhsa_enable_private_segment 0
		.amdhsa_system_sgpr_workgroup_id_x 1
		.amdhsa_system_sgpr_workgroup_id_y 0
		.amdhsa_system_sgpr_workgroup_id_z 0
		.amdhsa_system_sgpr_workgroup_info 0
		.amdhsa_system_vgpr_workitem_id 0
		.amdhsa_next_free_vgpr 1
		.amdhsa_next_free_sgpr 0
		.amdhsa_accum_offset 4
		.amdhsa_reserve_vcc 0
		.amdhsa_float_round_mode_32 0
		.amdhsa_float_round_mode_16_64 0
		.amdhsa_float_denorm_mode_32 3
		.amdhsa_float_denorm_mode_16_64 3
		.amdhsa_dx10_clamp 1
		.amdhsa_ieee_mode 1
		.amdhsa_fp16_overflow 0
		.amdhsa_tg_split 0
		.amdhsa_exception_fp_ieee_invalid_op 0
		.amdhsa_exception_fp_denorm_src 0
		.amdhsa_exception_fp_ieee_div_zero 0
		.amdhsa_exception_fp_ieee_overflow 0
		.amdhsa_exception_fp_ieee_underflow 0
		.amdhsa_exception_fp_ieee_inexact 0
		.amdhsa_exception_int_div_zero 0
	.end_amdhsa_kernel
	.section	.text._ZN7rocprim17ROCPRIM_400000_NS6detail17trampoline_kernelINS0_14default_configENS1_27scan_by_key_config_selectorIiiEEZZNS1_16scan_by_key_implILNS1_25lookback_scan_determinismE0ELb0ES3_N6thrust23THRUST_200600_302600_NS16reverse_iteratorIPKiEESD_NSA_IPiEEiN6hipcub16HIPCUB_304000_NS3MaxENSH_8EqualityEiEE10hipError_tPvRmT2_T3_T4_T5_mT6_T7_P12ihipStream_tbENKUlT_T0_E_clISt17integral_constantIbLb1EES10_EEDaSV_SW_EUlSV_E_NS1_11comp_targetILNS1_3genE3ELNS1_11target_archE908ELNS1_3gpuE7ELNS1_3repE0EEENS1_30default_config_static_selectorELNS0_4arch9wavefront6targetE1EEEvT1_,"axG",@progbits,_ZN7rocprim17ROCPRIM_400000_NS6detail17trampoline_kernelINS0_14default_configENS1_27scan_by_key_config_selectorIiiEEZZNS1_16scan_by_key_implILNS1_25lookback_scan_determinismE0ELb0ES3_N6thrust23THRUST_200600_302600_NS16reverse_iteratorIPKiEESD_NSA_IPiEEiN6hipcub16HIPCUB_304000_NS3MaxENSH_8EqualityEiEE10hipError_tPvRmT2_T3_T4_T5_mT6_T7_P12ihipStream_tbENKUlT_T0_E_clISt17integral_constantIbLb1EES10_EEDaSV_SW_EUlSV_E_NS1_11comp_targetILNS1_3genE3ELNS1_11target_archE908ELNS1_3gpuE7ELNS1_3repE0EEENS1_30default_config_static_selectorELNS0_4arch9wavefront6targetE1EEEvT1_,comdat
.Lfunc_end67:
	.size	_ZN7rocprim17ROCPRIM_400000_NS6detail17trampoline_kernelINS0_14default_configENS1_27scan_by_key_config_selectorIiiEEZZNS1_16scan_by_key_implILNS1_25lookback_scan_determinismE0ELb0ES3_N6thrust23THRUST_200600_302600_NS16reverse_iteratorIPKiEESD_NSA_IPiEEiN6hipcub16HIPCUB_304000_NS3MaxENSH_8EqualityEiEE10hipError_tPvRmT2_T3_T4_T5_mT6_T7_P12ihipStream_tbENKUlT_T0_E_clISt17integral_constantIbLb1EES10_EEDaSV_SW_EUlSV_E_NS1_11comp_targetILNS1_3genE3ELNS1_11target_archE908ELNS1_3gpuE7ELNS1_3repE0EEENS1_30default_config_static_selectorELNS0_4arch9wavefront6targetE1EEEvT1_, .Lfunc_end67-_ZN7rocprim17ROCPRIM_400000_NS6detail17trampoline_kernelINS0_14default_configENS1_27scan_by_key_config_selectorIiiEEZZNS1_16scan_by_key_implILNS1_25lookback_scan_determinismE0ELb0ES3_N6thrust23THRUST_200600_302600_NS16reverse_iteratorIPKiEESD_NSA_IPiEEiN6hipcub16HIPCUB_304000_NS3MaxENSH_8EqualityEiEE10hipError_tPvRmT2_T3_T4_T5_mT6_T7_P12ihipStream_tbENKUlT_T0_E_clISt17integral_constantIbLb1EES10_EEDaSV_SW_EUlSV_E_NS1_11comp_targetILNS1_3genE3ELNS1_11target_archE908ELNS1_3gpuE7ELNS1_3repE0EEENS1_30default_config_static_selectorELNS0_4arch9wavefront6targetE1EEEvT1_
                                        ; -- End function
	.set _ZN7rocprim17ROCPRIM_400000_NS6detail17trampoline_kernelINS0_14default_configENS1_27scan_by_key_config_selectorIiiEEZZNS1_16scan_by_key_implILNS1_25lookback_scan_determinismE0ELb0ES3_N6thrust23THRUST_200600_302600_NS16reverse_iteratorIPKiEESD_NSA_IPiEEiN6hipcub16HIPCUB_304000_NS3MaxENSH_8EqualityEiEE10hipError_tPvRmT2_T3_T4_T5_mT6_T7_P12ihipStream_tbENKUlT_T0_E_clISt17integral_constantIbLb1EES10_EEDaSV_SW_EUlSV_E_NS1_11comp_targetILNS1_3genE3ELNS1_11target_archE908ELNS1_3gpuE7ELNS1_3repE0EEENS1_30default_config_static_selectorELNS0_4arch9wavefront6targetE1EEEvT1_.num_vgpr, 0
	.set _ZN7rocprim17ROCPRIM_400000_NS6detail17trampoline_kernelINS0_14default_configENS1_27scan_by_key_config_selectorIiiEEZZNS1_16scan_by_key_implILNS1_25lookback_scan_determinismE0ELb0ES3_N6thrust23THRUST_200600_302600_NS16reverse_iteratorIPKiEESD_NSA_IPiEEiN6hipcub16HIPCUB_304000_NS3MaxENSH_8EqualityEiEE10hipError_tPvRmT2_T3_T4_T5_mT6_T7_P12ihipStream_tbENKUlT_T0_E_clISt17integral_constantIbLb1EES10_EEDaSV_SW_EUlSV_E_NS1_11comp_targetILNS1_3genE3ELNS1_11target_archE908ELNS1_3gpuE7ELNS1_3repE0EEENS1_30default_config_static_selectorELNS0_4arch9wavefront6targetE1EEEvT1_.num_agpr, 0
	.set _ZN7rocprim17ROCPRIM_400000_NS6detail17trampoline_kernelINS0_14default_configENS1_27scan_by_key_config_selectorIiiEEZZNS1_16scan_by_key_implILNS1_25lookback_scan_determinismE0ELb0ES3_N6thrust23THRUST_200600_302600_NS16reverse_iteratorIPKiEESD_NSA_IPiEEiN6hipcub16HIPCUB_304000_NS3MaxENSH_8EqualityEiEE10hipError_tPvRmT2_T3_T4_T5_mT6_T7_P12ihipStream_tbENKUlT_T0_E_clISt17integral_constantIbLb1EES10_EEDaSV_SW_EUlSV_E_NS1_11comp_targetILNS1_3genE3ELNS1_11target_archE908ELNS1_3gpuE7ELNS1_3repE0EEENS1_30default_config_static_selectorELNS0_4arch9wavefront6targetE1EEEvT1_.numbered_sgpr, 0
	.set _ZN7rocprim17ROCPRIM_400000_NS6detail17trampoline_kernelINS0_14default_configENS1_27scan_by_key_config_selectorIiiEEZZNS1_16scan_by_key_implILNS1_25lookback_scan_determinismE0ELb0ES3_N6thrust23THRUST_200600_302600_NS16reverse_iteratorIPKiEESD_NSA_IPiEEiN6hipcub16HIPCUB_304000_NS3MaxENSH_8EqualityEiEE10hipError_tPvRmT2_T3_T4_T5_mT6_T7_P12ihipStream_tbENKUlT_T0_E_clISt17integral_constantIbLb1EES10_EEDaSV_SW_EUlSV_E_NS1_11comp_targetILNS1_3genE3ELNS1_11target_archE908ELNS1_3gpuE7ELNS1_3repE0EEENS1_30default_config_static_selectorELNS0_4arch9wavefront6targetE1EEEvT1_.num_named_barrier, 0
	.set _ZN7rocprim17ROCPRIM_400000_NS6detail17trampoline_kernelINS0_14default_configENS1_27scan_by_key_config_selectorIiiEEZZNS1_16scan_by_key_implILNS1_25lookback_scan_determinismE0ELb0ES3_N6thrust23THRUST_200600_302600_NS16reverse_iteratorIPKiEESD_NSA_IPiEEiN6hipcub16HIPCUB_304000_NS3MaxENSH_8EqualityEiEE10hipError_tPvRmT2_T3_T4_T5_mT6_T7_P12ihipStream_tbENKUlT_T0_E_clISt17integral_constantIbLb1EES10_EEDaSV_SW_EUlSV_E_NS1_11comp_targetILNS1_3genE3ELNS1_11target_archE908ELNS1_3gpuE7ELNS1_3repE0EEENS1_30default_config_static_selectorELNS0_4arch9wavefront6targetE1EEEvT1_.private_seg_size, 0
	.set _ZN7rocprim17ROCPRIM_400000_NS6detail17trampoline_kernelINS0_14default_configENS1_27scan_by_key_config_selectorIiiEEZZNS1_16scan_by_key_implILNS1_25lookback_scan_determinismE0ELb0ES3_N6thrust23THRUST_200600_302600_NS16reverse_iteratorIPKiEESD_NSA_IPiEEiN6hipcub16HIPCUB_304000_NS3MaxENSH_8EqualityEiEE10hipError_tPvRmT2_T3_T4_T5_mT6_T7_P12ihipStream_tbENKUlT_T0_E_clISt17integral_constantIbLb1EES10_EEDaSV_SW_EUlSV_E_NS1_11comp_targetILNS1_3genE3ELNS1_11target_archE908ELNS1_3gpuE7ELNS1_3repE0EEENS1_30default_config_static_selectorELNS0_4arch9wavefront6targetE1EEEvT1_.uses_vcc, 0
	.set _ZN7rocprim17ROCPRIM_400000_NS6detail17trampoline_kernelINS0_14default_configENS1_27scan_by_key_config_selectorIiiEEZZNS1_16scan_by_key_implILNS1_25lookback_scan_determinismE0ELb0ES3_N6thrust23THRUST_200600_302600_NS16reverse_iteratorIPKiEESD_NSA_IPiEEiN6hipcub16HIPCUB_304000_NS3MaxENSH_8EqualityEiEE10hipError_tPvRmT2_T3_T4_T5_mT6_T7_P12ihipStream_tbENKUlT_T0_E_clISt17integral_constantIbLb1EES10_EEDaSV_SW_EUlSV_E_NS1_11comp_targetILNS1_3genE3ELNS1_11target_archE908ELNS1_3gpuE7ELNS1_3repE0EEENS1_30default_config_static_selectorELNS0_4arch9wavefront6targetE1EEEvT1_.uses_flat_scratch, 0
	.set _ZN7rocprim17ROCPRIM_400000_NS6detail17trampoline_kernelINS0_14default_configENS1_27scan_by_key_config_selectorIiiEEZZNS1_16scan_by_key_implILNS1_25lookback_scan_determinismE0ELb0ES3_N6thrust23THRUST_200600_302600_NS16reverse_iteratorIPKiEESD_NSA_IPiEEiN6hipcub16HIPCUB_304000_NS3MaxENSH_8EqualityEiEE10hipError_tPvRmT2_T3_T4_T5_mT6_T7_P12ihipStream_tbENKUlT_T0_E_clISt17integral_constantIbLb1EES10_EEDaSV_SW_EUlSV_E_NS1_11comp_targetILNS1_3genE3ELNS1_11target_archE908ELNS1_3gpuE7ELNS1_3repE0EEENS1_30default_config_static_selectorELNS0_4arch9wavefront6targetE1EEEvT1_.has_dyn_sized_stack, 0
	.set _ZN7rocprim17ROCPRIM_400000_NS6detail17trampoline_kernelINS0_14default_configENS1_27scan_by_key_config_selectorIiiEEZZNS1_16scan_by_key_implILNS1_25lookback_scan_determinismE0ELb0ES3_N6thrust23THRUST_200600_302600_NS16reverse_iteratorIPKiEESD_NSA_IPiEEiN6hipcub16HIPCUB_304000_NS3MaxENSH_8EqualityEiEE10hipError_tPvRmT2_T3_T4_T5_mT6_T7_P12ihipStream_tbENKUlT_T0_E_clISt17integral_constantIbLb1EES10_EEDaSV_SW_EUlSV_E_NS1_11comp_targetILNS1_3genE3ELNS1_11target_archE908ELNS1_3gpuE7ELNS1_3repE0EEENS1_30default_config_static_selectorELNS0_4arch9wavefront6targetE1EEEvT1_.has_recursion, 0
	.set _ZN7rocprim17ROCPRIM_400000_NS6detail17trampoline_kernelINS0_14default_configENS1_27scan_by_key_config_selectorIiiEEZZNS1_16scan_by_key_implILNS1_25lookback_scan_determinismE0ELb0ES3_N6thrust23THRUST_200600_302600_NS16reverse_iteratorIPKiEESD_NSA_IPiEEiN6hipcub16HIPCUB_304000_NS3MaxENSH_8EqualityEiEE10hipError_tPvRmT2_T3_T4_T5_mT6_T7_P12ihipStream_tbENKUlT_T0_E_clISt17integral_constantIbLb1EES10_EEDaSV_SW_EUlSV_E_NS1_11comp_targetILNS1_3genE3ELNS1_11target_archE908ELNS1_3gpuE7ELNS1_3repE0EEENS1_30default_config_static_selectorELNS0_4arch9wavefront6targetE1EEEvT1_.has_indirect_call, 0
	.section	.AMDGPU.csdata,"",@progbits
; Kernel info:
; codeLenInByte = 0
; TotalNumSgprs: 6
; NumVgprs: 0
; NumAgprs: 0
; TotalNumVgprs: 0
; ScratchSize: 0
; MemoryBound: 0
; FloatMode: 240
; IeeeMode: 1
; LDSByteSize: 0 bytes/workgroup (compile time only)
; SGPRBlocks: 0
; VGPRBlocks: 0
; NumSGPRsForWavesPerEU: 6
; NumVGPRsForWavesPerEU: 1
; AccumOffset: 4
; Occupancy: 8
; WaveLimiterHint : 0
; COMPUTE_PGM_RSRC2:SCRATCH_EN: 0
; COMPUTE_PGM_RSRC2:USER_SGPR: 2
; COMPUTE_PGM_RSRC2:TRAP_HANDLER: 0
; COMPUTE_PGM_RSRC2:TGID_X_EN: 1
; COMPUTE_PGM_RSRC2:TGID_Y_EN: 0
; COMPUTE_PGM_RSRC2:TGID_Z_EN: 0
; COMPUTE_PGM_RSRC2:TIDIG_COMP_CNT: 0
; COMPUTE_PGM_RSRC3_GFX90A:ACCUM_OFFSET: 0
; COMPUTE_PGM_RSRC3_GFX90A:TG_SPLIT: 0
	.section	.text._ZN7rocprim17ROCPRIM_400000_NS6detail17trampoline_kernelINS0_14default_configENS1_27scan_by_key_config_selectorIiiEEZZNS1_16scan_by_key_implILNS1_25lookback_scan_determinismE0ELb0ES3_N6thrust23THRUST_200600_302600_NS16reverse_iteratorIPKiEESD_NSA_IPiEEiN6hipcub16HIPCUB_304000_NS3MaxENSH_8EqualityEiEE10hipError_tPvRmT2_T3_T4_T5_mT6_T7_P12ihipStream_tbENKUlT_T0_E_clISt17integral_constantIbLb1EES10_EEDaSV_SW_EUlSV_E_NS1_11comp_targetILNS1_3genE2ELNS1_11target_archE906ELNS1_3gpuE6ELNS1_3repE0EEENS1_30default_config_static_selectorELNS0_4arch9wavefront6targetE1EEEvT1_,"axG",@progbits,_ZN7rocprim17ROCPRIM_400000_NS6detail17trampoline_kernelINS0_14default_configENS1_27scan_by_key_config_selectorIiiEEZZNS1_16scan_by_key_implILNS1_25lookback_scan_determinismE0ELb0ES3_N6thrust23THRUST_200600_302600_NS16reverse_iteratorIPKiEESD_NSA_IPiEEiN6hipcub16HIPCUB_304000_NS3MaxENSH_8EqualityEiEE10hipError_tPvRmT2_T3_T4_T5_mT6_T7_P12ihipStream_tbENKUlT_T0_E_clISt17integral_constantIbLb1EES10_EEDaSV_SW_EUlSV_E_NS1_11comp_targetILNS1_3genE2ELNS1_11target_archE906ELNS1_3gpuE6ELNS1_3repE0EEENS1_30default_config_static_selectorELNS0_4arch9wavefront6targetE1EEEvT1_,comdat
	.protected	_ZN7rocprim17ROCPRIM_400000_NS6detail17trampoline_kernelINS0_14default_configENS1_27scan_by_key_config_selectorIiiEEZZNS1_16scan_by_key_implILNS1_25lookback_scan_determinismE0ELb0ES3_N6thrust23THRUST_200600_302600_NS16reverse_iteratorIPKiEESD_NSA_IPiEEiN6hipcub16HIPCUB_304000_NS3MaxENSH_8EqualityEiEE10hipError_tPvRmT2_T3_T4_T5_mT6_T7_P12ihipStream_tbENKUlT_T0_E_clISt17integral_constantIbLb1EES10_EEDaSV_SW_EUlSV_E_NS1_11comp_targetILNS1_3genE2ELNS1_11target_archE906ELNS1_3gpuE6ELNS1_3repE0EEENS1_30default_config_static_selectorELNS0_4arch9wavefront6targetE1EEEvT1_ ; -- Begin function _ZN7rocprim17ROCPRIM_400000_NS6detail17trampoline_kernelINS0_14default_configENS1_27scan_by_key_config_selectorIiiEEZZNS1_16scan_by_key_implILNS1_25lookback_scan_determinismE0ELb0ES3_N6thrust23THRUST_200600_302600_NS16reverse_iteratorIPKiEESD_NSA_IPiEEiN6hipcub16HIPCUB_304000_NS3MaxENSH_8EqualityEiEE10hipError_tPvRmT2_T3_T4_T5_mT6_T7_P12ihipStream_tbENKUlT_T0_E_clISt17integral_constantIbLb1EES10_EEDaSV_SW_EUlSV_E_NS1_11comp_targetILNS1_3genE2ELNS1_11target_archE906ELNS1_3gpuE6ELNS1_3repE0EEENS1_30default_config_static_selectorELNS0_4arch9wavefront6targetE1EEEvT1_
	.globl	_ZN7rocprim17ROCPRIM_400000_NS6detail17trampoline_kernelINS0_14default_configENS1_27scan_by_key_config_selectorIiiEEZZNS1_16scan_by_key_implILNS1_25lookback_scan_determinismE0ELb0ES3_N6thrust23THRUST_200600_302600_NS16reverse_iteratorIPKiEESD_NSA_IPiEEiN6hipcub16HIPCUB_304000_NS3MaxENSH_8EqualityEiEE10hipError_tPvRmT2_T3_T4_T5_mT6_T7_P12ihipStream_tbENKUlT_T0_E_clISt17integral_constantIbLb1EES10_EEDaSV_SW_EUlSV_E_NS1_11comp_targetILNS1_3genE2ELNS1_11target_archE906ELNS1_3gpuE6ELNS1_3repE0EEENS1_30default_config_static_selectorELNS0_4arch9wavefront6targetE1EEEvT1_
	.p2align	8
	.type	_ZN7rocprim17ROCPRIM_400000_NS6detail17trampoline_kernelINS0_14default_configENS1_27scan_by_key_config_selectorIiiEEZZNS1_16scan_by_key_implILNS1_25lookback_scan_determinismE0ELb0ES3_N6thrust23THRUST_200600_302600_NS16reverse_iteratorIPKiEESD_NSA_IPiEEiN6hipcub16HIPCUB_304000_NS3MaxENSH_8EqualityEiEE10hipError_tPvRmT2_T3_T4_T5_mT6_T7_P12ihipStream_tbENKUlT_T0_E_clISt17integral_constantIbLb1EES10_EEDaSV_SW_EUlSV_E_NS1_11comp_targetILNS1_3genE2ELNS1_11target_archE906ELNS1_3gpuE6ELNS1_3repE0EEENS1_30default_config_static_selectorELNS0_4arch9wavefront6targetE1EEEvT1_,@function
_ZN7rocprim17ROCPRIM_400000_NS6detail17trampoline_kernelINS0_14default_configENS1_27scan_by_key_config_selectorIiiEEZZNS1_16scan_by_key_implILNS1_25lookback_scan_determinismE0ELb0ES3_N6thrust23THRUST_200600_302600_NS16reverse_iteratorIPKiEESD_NSA_IPiEEiN6hipcub16HIPCUB_304000_NS3MaxENSH_8EqualityEiEE10hipError_tPvRmT2_T3_T4_T5_mT6_T7_P12ihipStream_tbENKUlT_T0_E_clISt17integral_constantIbLb1EES10_EEDaSV_SW_EUlSV_E_NS1_11comp_targetILNS1_3genE2ELNS1_11target_archE906ELNS1_3gpuE6ELNS1_3repE0EEENS1_30default_config_static_selectorELNS0_4arch9wavefront6targetE1EEEvT1_: ; @_ZN7rocprim17ROCPRIM_400000_NS6detail17trampoline_kernelINS0_14default_configENS1_27scan_by_key_config_selectorIiiEEZZNS1_16scan_by_key_implILNS1_25lookback_scan_determinismE0ELb0ES3_N6thrust23THRUST_200600_302600_NS16reverse_iteratorIPKiEESD_NSA_IPiEEiN6hipcub16HIPCUB_304000_NS3MaxENSH_8EqualityEiEE10hipError_tPvRmT2_T3_T4_T5_mT6_T7_P12ihipStream_tbENKUlT_T0_E_clISt17integral_constantIbLb1EES10_EEDaSV_SW_EUlSV_E_NS1_11comp_targetILNS1_3genE2ELNS1_11target_archE906ELNS1_3gpuE6ELNS1_3repE0EEENS1_30default_config_static_selectorELNS0_4arch9wavefront6targetE1EEEvT1_
; %bb.0:
	.section	.rodata,"a",@progbits
	.p2align	6, 0x0
	.amdhsa_kernel _ZN7rocprim17ROCPRIM_400000_NS6detail17trampoline_kernelINS0_14default_configENS1_27scan_by_key_config_selectorIiiEEZZNS1_16scan_by_key_implILNS1_25lookback_scan_determinismE0ELb0ES3_N6thrust23THRUST_200600_302600_NS16reverse_iteratorIPKiEESD_NSA_IPiEEiN6hipcub16HIPCUB_304000_NS3MaxENSH_8EqualityEiEE10hipError_tPvRmT2_T3_T4_T5_mT6_T7_P12ihipStream_tbENKUlT_T0_E_clISt17integral_constantIbLb1EES10_EEDaSV_SW_EUlSV_E_NS1_11comp_targetILNS1_3genE2ELNS1_11target_archE906ELNS1_3gpuE6ELNS1_3repE0EEENS1_30default_config_static_selectorELNS0_4arch9wavefront6targetE1EEEvT1_
		.amdhsa_group_segment_fixed_size 0
		.amdhsa_private_segment_fixed_size 0
		.amdhsa_kernarg_size 112
		.amdhsa_user_sgpr_count 2
		.amdhsa_user_sgpr_dispatch_ptr 0
		.amdhsa_user_sgpr_queue_ptr 0
		.amdhsa_user_sgpr_kernarg_segment_ptr 1
		.amdhsa_user_sgpr_dispatch_id 0
		.amdhsa_user_sgpr_kernarg_preload_length 0
		.amdhsa_user_sgpr_kernarg_preload_offset 0
		.amdhsa_user_sgpr_private_segment_size 0
		.amdhsa_uses_dynamic_stack 0
		.amdhsa_enable_private_segment 0
		.amdhsa_system_sgpr_workgroup_id_x 1
		.amdhsa_system_sgpr_workgroup_id_y 0
		.amdhsa_system_sgpr_workgroup_id_z 0
		.amdhsa_system_sgpr_workgroup_info 0
		.amdhsa_system_vgpr_workitem_id 0
		.amdhsa_next_free_vgpr 1
		.amdhsa_next_free_sgpr 0
		.amdhsa_accum_offset 4
		.amdhsa_reserve_vcc 0
		.amdhsa_float_round_mode_32 0
		.amdhsa_float_round_mode_16_64 0
		.amdhsa_float_denorm_mode_32 3
		.amdhsa_float_denorm_mode_16_64 3
		.amdhsa_dx10_clamp 1
		.amdhsa_ieee_mode 1
		.amdhsa_fp16_overflow 0
		.amdhsa_tg_split 0
		.amdhsa_exception_fp_ieee_invalid_op 0
		.amdhsa_exception_fp_denorm_src 0
		.amdhsa_exception_fp_ieee_div_zero 0
		.amdhsa_exception_fp_ieee_overflow 0
		.amdhsa_exception_fp_ieee_underflow 0
		.amdhsa_exception_fp_ieee_inexact 0
		.amdhsa_exception_int_div_zero 0
	.end_amdhsa_kernel
	.section	.text._ZN7rocprim17ROCPRIM_400000_NS6detail17trampoline_kernelINS0_14default_configENS1_27scan_by_key_config_selectorIiiEEZZNS1_16scan_by_key_implILNS1_25lookback_scan_determinismE0ELb0ES3_N6thrust23THRUST_200600_302600_NS16reverse_iteratorIPKiEESD_NSA_IPiEEiN6hipcub16HIPCUB_304000_NS3MaxENSH_8EqualityEiEE10hipError_tPvRmT2_T3_T4_T5_mT6_T7_P12ihipStream_tbENKUlT_T0_E_clISt17integral_constantIbLb1EES10_EEDaSV_SW_EUlSV_E_NS1_11comp_targetILNS1_3genE2ELNS1_11target_archE906ELNS1_3gpuE6ELNS1_3repE0EEENS1_30default_config_static_selectorELNS0_4arch9wavefront6targetE1EEEvT1_,"axG",@progbits,_ZN7rocprim17ROCPRIM_400000_NS6detail17trampoline_kernelINS0_14default_configENS1_27scan_by_key_config_selectorIiiEEZZNS1_16scan_by_key_implILNS1_25lookback_scan_determinismE0ELb0ES3_N6thrust23THRUST_200600_302600_NS16reverse_iteratorIPKiEESD_NSA_IPiEEiN6hipcub16HIPCUB_304000_NS3MaxENSH_8EqualityEiEE10hipError_tPvRmT2_T3_T4_T5_mT6_T7_P12ihipStream_tbENKUlT_T0_E_clISt17integral_constantIbLb1EES10_EEDaSV_SW_EUlSV_E_NS1_11comp_targetILNS1_3genE2ELNS1_11target_archE906ELNS1_3gpuE6ELNS1_3repE0EEENS1_30default_config_static_selectorELNS0_4arch9wavefront6targetE1EEEvT1_,comdat
.Lfunc_end68:
	.size	_ZN7rocprim17ROCPRIM_400000_NS6detail17trampoline_kernelINS0_14default_configENS1_27scan_by_key_config_selectorIiiEEZZNS1_16scan_by_key_implILNS1_25lookback_scan_determinismE0ELb0ES3_N6thrust23THRUST_200600_302600_NS16reverse_iteratorIPKiEESD_NSA_IPiEEiN6hipcub16HIPCUB_304000_NS3MaxENSH_8EqualityEiEE10hipError_tPvRmT2_T3_T4_T5_mT6_T7_P12ihipStream_tbENKUlT_T0_E_clISt17integral_constantIbLb1EES10_EEDaSV_SW_EUlSV_E_NS1_11comp_targetILNS1_3genE2ELNS1_11target_archE906ELNS1_3gpuE6ELNS1_3repE0EEENS1_30default_config_static_selectorELNS0_4arch9wavefront6targetE1EEEvT1_, .Lfunc_end68-_ZN7rocprim17ROCPRIM_400000_NS6detail17trampoline_kernelINS0_14default_configENS1_27scan_by_key_config_selectorIiiEEZZNS1_16scan_by_key_implILNS1_25lookback_scan_determinismE0ELb0ES3_N6thrust23THRUST_200600_302600_NS16reverse_iteratorIPKiEESD_NSA_IPiEEiN6hipcub16HIPCUB_304000_NS3MaxENSH_8EqualityEiEE10hipError_tPvRmT2_T3_T4_T5_mT6_T7_P12ihipStream_tbENKUlT_T0_E_clISt17integral_constantIbLb1EES10_EEDaSV_SW_EUlSV_E_NS1_11comp_targetILNS1_3genE2ELNS1_11target_archE906ELNS1_3gpuE6ELNS1_3repE0EEENS1_30default_config_static_selectorELNS0_4arch9wavefront6targetE1EEEvT1_
                                        ; -- End function
	.set _ZN7rocprim17ROCPRIM_400000_NS6detail17trampoline_kernelINS0_14default_configENS1_27scan_by_key_config_selectorIiiEEZZNS1_16scan_by_key_implILNS1_25lookback_scan_determinismE0ELb0ES3_N6thrust23THRUST_200600_302600_NS16reverse_iteratorIPKiEESD_NSA_IPiEEiN6hipcub16HIPCUB_304000_NS3MaxENSH_8EqualityEiEE10hipError_tPvRmT2_T3_T4_T5_mT6_T7_P12ihipStream_tbENKUlT_T0_E_clISt17integral_constantIbLb1EES10_EEDaSV_SW_EUlSV_E_NS1_11comp_targetILNS1_3genE2ELNS1_11target_archE906ELNS1_3gpuE6ELNS1_3repE0EEENS1_30default_config_static_selectorELNS0_4arch9wavefront6targetE1EEEvT1_.num_vgpr, 0
	.set _ZN7rocprim17ROCPRIM_400000_NS6detail17trampoline_kernelINS0_14default_configENS1_27scan_by_key_config_selectorIiiEEZZNS1_16scan_by_key_implILNS1_25lookback_scan_determinismE0ELb0ES3_N6thrust23THRUST_200600_302600_NS16reverse_iteratorIPKiEESD_NSA_IPiEEiN6hipcub16HIPCUB_304000_NS3MaxENSH_8EqualityEiEE10hipError_tPvRmT2_T3_T4_T5_mT6_T7_P12ihipStream_tbENKUlT_T0_E_clISt17integral_constantIbLb1EES10_EEDaSV_SW_EUlSV_E_NS1_11comp_targetILNS1_3genE2ELNS1_11target_archE906ELNS1_3gpuE6ELNS1_3repE0EEENS1_30default_config_static_selectorELNS0_4arch9wavefront6targetE1EEEvT1_.num_agpr, 0
	.set _ZN7rocprim17ROCPRIM_400000_NS6detail17trampoline_kernelINS0_14default_configENS1_27scan_by_key_config_selectorIiiEEZZNS1_16scan_by_key_implILNS1_25lookback_scan_determinismE0ELb0ES3_N6thrust23THRUST_200600_302600_NS16reverse_iteratorIPKiEESD_NSA_IPiEEiN6hipcub16HIPCUB_304000_NS3MaxENSH_8EqualityEiEE10hipError_tPvRmT2_T3_T4_T5_mT6_T7_P12ihipStream_tbENKUlT_T0_E_clISt17integral_constantIbLb1EES10_EEDaSV_SW_EUlSV_E_NS1_11comp_targetILNS1_3genE2ELNS1_11target_archE906ELNS1_3gpuE6ELNS1_3repE0EEENS1_30default_config_static_selectorELNS0_4arch9wavefront6targetE1EEEvT1_.numbered_sgpr, 0
	.set _ZN7rocprim17ROCPRIM_400000_NS6detail17trampoline_kernelINS0_14default_configENS1_27scan_by_key_config_selectorIiiEEZZNS1_16scan_by_key_implILNS1_25lookback_scan_determinismE0ELb0ES3_N6thrust23THRUST_200600_302600_NS16reverse_iteratorIPKiEESD_NSA_IPiEEiN6hipcub16HIPCUB_304000_NS3MaxENSH_8EqualityEiEE10hipError_tPvRmT2_T3_T4_T5_mT6_T7_P12ihipStream_tbENKUlT_T0_E_clISt17integral_constantIbLb1EES10_EEDaSV_SW_EUlSV_E_NS1_11comp_targetILNS1_3genE2ELNS1_11target_archE906ELNS1_3gpuE6ELNS1_3repE0EEENS1_30default_config_static_selectorELNS0_4arch9wavefront6targetE1EEEvT1_.num_named_barrier, 0
	.set _ZN7rocprim17ROCPRIM_400000_NS6detail17trampoline_kernelINS0_14default_configENS1_27scan_by_key_config_selectorIiiEEZZNS1_16scan_by_key_implILNS1_25lookback_scan_determinismE0ELb0ES3_N6thrust23THRUST_200600_302600_NS16reverse_iteratorIPKiEESD_NSA_IPiEEiN6hipcub16HIPCUB_304000_NS3MaxENSH_8EqualityEiEE10hipError_tPvRmT2_T3_T4_T5_mT6_T7_P12ihipStream_tbENKUlT_T0_E_clISt17integral_constantIbLb1EES10_EEDaSV_SW_EUlSV_E_NS1_11comp_targetILNS1_3genE2ELNS1_11target_archE906ELNS1_3gpuE6ELNS1_3repE0EEENS1_30default_config_static_selectorELNS0_4arch9wavefront6targetE1EEEvT1_.private_seg_size, 0
	.set _ZN7rocprim17ROCPRIM_400000_NS6detail17trampoline_kernelINS0_14default_configENS1_27scan_by_key_config_selectorIiiEEZZNS1_16scan_by_key_implILNS1_25lookback_scan_determinismE0ELb0ES3_N6thrust23THRUST_200600_302600_NS16reverse_iteratorIPKiEESD_NSA_IPiEEiN6hipcub16HIPCUB_304000_NS3MaxENSH_8EqualityEiEE10hipError_tPvRmT2_T3_T4_T5_mT6_T7_P12ihipStream_tbENKUlT_T0_E_clISt17integral_constantIbLb1EES10_EEDaSV_SW_EUlSV_E_NS1_11comp_targetILNS1_3genE2ELNS1_11target_archE906ELNS1_3gpuE6ELNS1_3repE0EEENS1_30default_config_static_selectorELNS0_4arch9wavefront6targetE1EEEvT1_.uses_vcc, 0
	.set _ZN7rocprim17ROCPRIM_400000_NS6detail17trampoline_kernelINS0_14default_configENS1_27scan_by_key_config_selectorIiiEEZZNS1_16scan_by_key_implILNS1_25lookback_scan_determinismE0ELb0ES3_N6thrust23THRUST_200600_302600_NS16reverse_iteratorIPKiEESD_NSA_IPiEEiN6hipcub16HIPCUB_304000_NS3MaxENSH_8EqualityEiEE10hipError_tPvRmT2_T3_T4_T5_mT6_T7_P12ihipStream_tbENKUlT_T0_E_clISt17integral_constantIbLb1EES10_EEDaSV_SW_EUlSV_E_NS1_11comp_targetILNS1_3genE2ELNS1_11target_archE906ELNS1_3gpuE6ELNS1_3repE0EEENS1_30default_config_static_selectorELNS0_4arch9wavefront6targetE1EEEvT1_.uses_flat_scratch, 0
	.set _ZN7rocprim17ROCPRIM_400000_NS6detail17trampoline_kernelINS0_14default_configENS1_27scan_by_key_config_selectorIiiEEZZNS1_16scan_by_key_implILNS1_25lookback_scan_determinismE0ELb0ES3_N6thrust23THRUST_200600_302600_NS16reverse_iteratorIPKiEESD_NSA_IPiEEiN6hipcub16HIPCUB_304000_NS3MaxENSH_8EqualityEiEE10hipError_tPvRmT2_T3_T4_T5_mT6_T7_P12ihipStream_tbENKUlT_T0_E_clISt17integral_constantIbLb1EES10_EEDaSV_SW_EUlSV_E_NS1_11comp_targetILNS1_3genE2ELNS1_11target_archE906ELNS1_3gpuE6ELNS1_3repE0EEENS1_30default_config_static_selectorELNS0_4arch9wavefront6targetE1EEEvT1_.has_dyn_sized_stack, 0
	.set _ZN7rocprim17ROCPRIM_400000_NS6detail17trampoline_kernelINS0_14default_configENS1_27scan_by_key_config_selectorIiiEEZZNS1_16scan_by_key_implILNS1_25lookback_scan_determinismE0ELb0ES3_N6thrust23THRUST_200600_302600_NS16reverse_iteratorIPKiEESD_NSA_IPiEEiN6hipcub16HIPCUB_304000_NS3MaxENSH_8EqualityEiEE10hipError_tPvRmT2_T3_T4_T5_mT6_T7_P12ihipStream_tbENKUlT_T0_E_clISt17integral_constantIbLb1EES10_EEDaSV_SW_EUlSV_E_NS1_11comp_targetILNS1_3genE2ELNS1_11target_archE906ELNS1_3gpuE6ELNS1_3repE0EEENS1_30default_config_static_selectorELNS0_4arch9wavefront6targetE1EEEvT1_.has_recursion, 0
	.set _ZN7rocprim17ROCPRIM_400000_NS6detail17trampoline_kernelINS0_14default_configENS1_27scan_by_key_config_selectorIiiEEZZNS1_16scan_by_key_implILNS1_25lookback_scan_determinismE0ELb0ES3_N6thrust23THRUST_200600_302600_NS16reverse_iteratorIPKiEESD_NSA_IPiEEiN6hipcub16HIPCUB_304000_NS3MaxENSH_8EqualityEiEE10hipError_tPvRmT2_T3_T4_T5_mT6_T7_P12ihipStream_tbENKUlT_T0_E_clISt17integral_constantIbLb1EES10_EEDaSV_SW_EUlSV_E_NS1_11comp_targetILNS1_3genE2ELNS1_11target_archE906ELNS1_3gpuE6ELNS1_3repE0EEENS1_30default_config_static_selectorELNS0_4arch9wavefront6targetE1EEEvT1_.has_indirect_call, 0
	.section	.AMDGPU.csdata,"",@progbits
; Kernel info:
; codeLenInByte = 0
; TotalNumSgprs: 6
; NumVgprs: 0
; NumAgprs: 0
; TotalNumVgprs: 0
; ScratchSize: 0
; MemoryBound: 0
; FloatMode: 240
; IeeeMode: 1
; LDSByteSize: 0 bytes/workgroup (compile time only)
; SGPRBlocks: 0
; VGPRBlocks: 0
; NumSGPRsForWavesPerEU: 6
; NumVGPRsForWavesPerEU: 1
; AccumOffset: 4
; Occupancy: 8
; WaveLimiterHint : 0
; COMPUTE_PGM_RSRC2:SCRATCH_EN: 0
; COMPUTE_PGM_RSRC2:USER_SGPR: 2
; COMPUTE_PGM_RSRC2:TRAP_HANDLER: 0
; COMPUTE_PGM_RSRC2:TGID_X_EN: 1
; COMPUTE_PGM_RSRC2:TGID_Y_EN: 0
; COMPUTE_PGM_RSRC2:TGID_Z_EN: 0
; COMPUTE_PGM_RSRC2:TIDIG_COMP_CNT: 0
; COMPUTE_PGM_RSRC3_GFX90A:ACCUM_OFFSET: 0
; COMPUTE_PGM_RSRC3_GFX90A:TG_SPLIT: 0
	.section	.text._ZN7rocprim17ROCPRIM_400000_NS6detail17trampoline_kernelINS0_14default_configENS1_27scan_by_key_config_selectorIiiEEZZNS1_16scan_by_key_implILNS1_25lookback_scan_determinismE0ELb0ES3_N6thrust23THRUST_200600_302600_NS16reverse_iteratorIPKiEESD_NSA_IPiEEiN6hipcub16HIPCUB_304000_NS3MaxENSH_8EqualityEiEE10hipError_tPvRmT2_T3_T4_T5_mT6_T7_P12ihipStream_tbENKUlT_T0_E_clISt17integral_constantIbLb1EES10_EEDaSV_SW_EUlSV_E_NS1_11comp_targetILNS1_3genE10ELNS1_11target_archE1200ELNS1_3gpuE4ELNS1_3repE0EEENS1_30default_config_static_selectorELNS0_4arch9wavefront6targetE1EEEvT1_,"axG",@progbits,_ZN7rocprim17ROCPRIM_400000_NS6detail17trampoline_kernelINS0_14default_configENS1_27scan_by_key_config_selectorIiiEEZZNS1_16scan_by_key_implILNS1_25lookback_scan_determinismE0ELb0ES3_N6thrust23THRUST_200600_302600_NS16reverse_iteratorIPKiEESD_NSA_IPiEEiN6hipcub16HIPCUB_304000_NS3MaxENSH_8EqualityEiEE10hipError_tPvRmT2_T3_T4_T5_mT6_T7_P12ihipStream_tbENKUlT_T0_E_clISt17integral_constantIbLb1EES10_EEDaSV_SW_EUlSV_E_NS1_11comp_targetILNS1_3genE10ELNS1_11target_archE1200ELNS1_3gpuE4ELNS1_3repE0EEENS1_30default_config_static_selectorELNS0_4arch9wavefront6targetE1EEEvT1_,comdat
	.protected	_ZN7rocprim17ROCPRIM_400000_NS6detail17trampoline_kernelINS0_14default_configENS1_27scan_by_key_config_selectorIiiEEZZNS1_16scan_by_key_implILNS1_25lookback_scan_determinismE0ELb0ES3_N6thrust23THRUST_200600_302600_NS16reverse_iteratorIPKiEESD_NSA_IPiEEiN6hipcub16HIPCUB_304000_NS3MaxENSH_8EqualityEiEE10hipError_tPvRmT2_T3_T4_T5_mT6_T7_P12ihipStream_tbENKUlT_T0_E_clISt17integral_constantIbLb1EES10_EEDaSV_SW_EUlSV_E_NS1_11comp_targetILNS1_3genE10ELNS1_11target_archE1200ELNS1_3gpuE4ELNS1_3repE0EEENS1_30default_config_static_selectorELNS0_4arch9wavefront6targetE1EEEvT1_ ; -- Begin function _ZN7rocprim17ROCPRIM_400000_NS6detail17trampoline_kernelINS0_14default_configENS1_27scan_by_key_config_selectorIiiEEZZNS1_16scan_by_key_implILNS1_25lookback_scan_determinismE0ELb0ES3_N6thrust23THRUST_200600_302600_NS16reverse_iteratorIPKiEESD_NSA_IPiEEiN6hipcub16HIPCUB_304000_NS3MaxENSH_8EqualityEiEE10hipError_tPvRmT2_T3_T4_T5_mT6_T7_P12ihipStream_tbENKUlT_T0_E_clISt17integral_constantIbLb1EES10_EEDaSV_SW_EUlSV_E_NS1_11comp_targetILNS1_3genE10ELNS1_11target_archE1200ELNS1_3gpuE4ELNS1_3repE0EEENS1_30default_config_static_selectorELNS0_4arch9wavefront6targetE1EEEvT1_
	.globl	_ZN7rocprim17ROCPRIM_400000_NS6detail17trampoline_kernelINS0_14default_configENS1_27scan_by_key_config_selectorIiiEEZZNS1_16scan_by_key_implILNS1_25lookback_scan_determinismE0ELb0ES3_N6thrust23THRUST_200600_302600_NS16reverse_iteratorIPKiEESD_NSA_IPiEEiN6hipcub16HIPCUB_304000_NS3MaxENSH_8EqualityEiEE10hipError_tPvRmT2_T3_T4_T5_mT6_T7_P12ihipStream_tbENKUlT_T0_E_clISt17integral_constantIbLb1EES10_EEDaSV_SW_EUlSV_E_NS1_11comp_targetILNS1_3genE10ELNS1_11target_archE1200ELNS1_3gpuE4ELNS1_3repE0EEENS1_30default_config_static_selectorELNS0_4arch9wavefront6targetE1EEEvT1_
	.p2align	8
	.type	_ZN7rocprim17ROCPRIM_400000_NS6detail17trampoline_kernelINS0_14default_configENS1_27scan_by_key_config_selectorIiiEEZZNS1_16scan_by_key_implILNS1_25lookback_scan_determinismE0ELb0ES3_N6thrust23THRUST_200600_302600_NS16reverse_iteratorIPKiEESD_NSA_IPiEEiN6hipcub16HIPCUB_304000_NS3MaxENSH_8EqualityEiEE10hipError_tPvRmT2_T3_T4_T5_mT6_T7_P12ihipStream_tbENKUlT_T0_E_clISt17integral_constantIbLb1EES10_EEDaSV_SW_EUlSV_E_NS1_11comp_targetILNS1_3genE10ELNS1_11target_archE1200ELNS1_3gpuE4ELNS1_3repE0EEENS1_30default_config_static_selectorELNS0_4arch9wavefront6targetE1EEEvT1_,@function
_ZN7rocprim17ROCPRIM_400000_NS6detail17trampoline_kernelINS0_14default_configENS1_27scan_by_key_config_selectorIiiEEZZNS1_16scan_by_key_implILNS1_25lookback_scan_determinismE0ELb0ES3_N6thrust23THRUST_200600_302600_NS16reverse_iteratorIPKiEESD_NSA_IPiEEiN6hipcub16HIPCUB_304000_NS3MaxENSH_8EqualityEiEE10hipError_tPvRmT2_T3_T4_T5_mT6_T7_P12ihipStream_tbENKUlT_T0_E_clISt17integral_constantIbLb1EES10_EEDaSV_SW_EUlSV_E_NS1_11comp_targetILNS1_3genE10ELNS1_11target_archE1200ELNS1_3gpuE4ELNS1_3repE0EEENS1_30default_config_static_selectorELNS0_4arch9wavefront6targetE1EEEvT1_: ; @_ZN7rocprim17ROCPRIM_400000_NS6detail17trampoline_kernelINS0_14default_configENS1_27scan_by_key_config_selectorIiiEEZZNS1_16scan_by_key_implILNS1_25lookback_scan_determinismE0ELb0ES3_N6thrust23THRUST_200600_302600_NS16reverse_iteratorIPKiEESD_NSA_IPiEEiN6hipcub16HIPCUB_304000_NS3MaxENSH_8EqualityEiEE10hipError_tPvRmT2_T3_T4_T5_mT6_T7_P12ihipStream_tbENKUlT_T0_E_clISt17integral_constantIbLb1EES10_EEDaSV_SW_EUlSV_E_NS1_11comp_targetILNS1_3genE10ELNS1_11target_archE1200ELNS1_3gpuE4ELNS1_3repE0EEENS1_30default_config_static_selectorELNS0_4arch9wavefront6targetE1EEEvT1_
; %bb.0:
	.section	.rodata,"a",@progbits
	.p2align	6, 0x0
	.amdhsa_kernel _ZN7rocprim17ROCPRIM_400000_NS6detail17trampoline_kernelINS0_14default_configENS1_27scan_by_key_config_selectorIiiEEZZNS1_16scan_by_key_implILNS1_25lookback_scan_determinismE0ELb0ES3_N6thrust23THRUST_200600_302600_NS16reverse_iteratorIPKiEESD_NSA_IPiEEiN6hipcub16HIPCUB_304000_NS3MaxENSH_8EqualityEiEE10hipError_tPvRmT2_T3_T4_T5_mT6_T7_P12ihipStream_tbENKUlT_T0_E_clISt17integral_constantIbLb1EES10_EEDaSV_SW_EUlSV_E_NS1_11comp_targetILNS1_3genE10ELNS1_11target_archE1200ELNS1_3gpuE4ELNS1_3repE0EEENS1_30default_config_static_selectorELNS0_4arch9wavefront6targetE1EEEvT1_
		.amdhsa_group_segment_fixed_size 0
		.amdhsa_private_segment_fixed_size 0
		.amdhsa_kernarg_size 112
		.amdhsa_user_sgpr_count 2
		.amdhsa_user_sgpr_dispatch_ptr 0
		.amdhsa_user_sgpr_queue_ptr 0
		.amdhsa_user_sgpr_kernarg_segment_ptr 1
		.amdhsa_user_sgpr_dispatch_id 0
		.amdhsa_user_sgpr_kernarg_preload_length 0
		.amdhsa_user_sgpr_kernarg_preload_offset 0
		.amdhsa_user_sgpr_private_segment_size 0
		.amdhsa_uses_dynamic_stack 0
		.amdhsa_enable_private_segment 0
		.amdhsa_system_sgpr_workgroup_id_x 1
		.amdhsa_system_sgpr_workgroup_id_y 0
		.amdhsa_system_sgpr_workgroup_id_z 0
		.amdhsa_system_sgpr_workgroup_info 0
		.amdhsa_system_vgpr_workitem_id 0
		.amdhsa_next_free_vgpr 1
		.amdhsa_next_free_sgpr 0
		.amdhsa_accum_offset 4
		.amdhsa_reserve_vcc 0
		.amdhsa_float_round_mode_32 0
		.amdhsa_float_round_mode_16_64 0
		.amdhsa_float_denorm_mode_32 3
		.amdhsa_float_denorm_mode_16_64 3
		.amdhsa_dx10_clamp 1
		.amdhsa_ieee_mode 1
		.amdhsa_fp16_overflow 0
		.amdhsa_tg_split 0
		.amdhsa_exception_fp_ieee_invalid_op 0
		.amdhsa_exception_fp_denorm_src 0
		.amdhsa_exception_fp_ieee_div_zero 0
		.amdhsa_exception_fp_ieee_overflow 0
		.amdhsa_exception_fp_ieee_underflow 0
		.amdhsa_exception_fp_ieee_inexact 0
		.amdhsa_exception_int_div_zero 0
	.end_amdhsa_kernel
	.section	.text._ZN7rocprim17ROCPRIM_400000_NS6detail17trampoline_kernelINS0_14default_configENS1_27scan_by_key_config_selectorIiiEEZZNS1_16scan_by_key_implILNS1_25lookback_scan_determinismE0ELb0ES3_N6thrust23THRUST_200600_302600_NS16reverse_iteratorIPKiEESD_NSA_IPiEEiN6hipcub16HIPCUB_304000_NS3MaxENSH_8EqualityEiEE10hipError_tPvRmT2_T3_T4_T5_mT6_T7_P12ihipStream_tbENKUlT_T0_E_clISt17integral_constantIbLb1EES10_EEDaSV_SW_EUlSV_E_NS1_11comp_targetILNS1_3genE10ELNS1_11target_archE1200ELNS1_3gpuE4ELNS1_3repE0EEENS1_30default_config_static_selectorELNS0_4arch9wavefront6targetE1EEEvT1_,"axG",@progbits,_ZN7rocprim17ROCPRIM_400000_NS6detail17trampoline_kernelINS0_14default_configENS1_27scan_by_key_config_selectorIiiEEZZNS1_16scan_by_key_implILNS1_25lookback_scan_determinismE0ELb0ES3_N6thrust23THRUST_200600_302600_NS16reverse_iteratorIPKiEESD_NSA_IPiEEiN6hipcub16HIPCUB_304000_NS3MaxENSH_8EqualityEiEE10hipError_tPvRmT2_T3_T4_T5_mT6_T7_P12ihipStream_tbENKUlT_T0_E_clISt17integral_constantIbLb1EES10_EEDaSV_SW_EUlSV_E_NS1_11comp_targetILNS1_3genE10ELNS1_11target_archE1200ELNS1_3gpuE4ELNS1_3repE0EEENS1_30default_config_static_selectorELNS0_4arch9wavefront6targetE1EEEvT1_,comdat
.Lfunc_end69:
	.size	_ZN7rocprim17ROCPRIM_400000_NS6detail17trampoline_kernelINS0_14default_configENS1_27scan_by_key_config_selectorIiiEEZZNS1_16scan_by_key_implILNS1_25lookback_scan_determinismE0ELb0ES3_N6thrust23THRUST_200600_302600_NS16reverse_iteratorIPKiEESD_NSA_IPiEEiN6hipcub16HIPCUB_304000_NS3MaxENSH_8EqualityEiEE10hipError_tPvRmT2_T3_T4_T5_mT6_T7_P12ihipStream_tbENKUlT_T0_E_clISt17integral_constantIbLb1EES10_EEDaSV_SW_EUlSV_E_NS1_11comp_targetILNS1_3genE10ELNS1_11target_archE1200ELNS1_3gpuE4ELNS1_3repE0EEENS1_30default_config_static_selectorELNS0_4arch9wavefront6targetE1EEEvT1_, .Lfunc_end69-_ZN7rocprim17ROCPRIM_400000_NS6detail17trampoline_kernelINS0_14default_configENS1_27scan_by_key_config_selectorIiiEEZZNS1_16scan_by_key_implILNS1_25lookback_scan_determinismE0ELb0ES3_N6thrust23THRUST_200600_302600_NS16reverse_iteratorIPKiEESD_NSA_IPiEEiN6hipcub16HIPCUB_304000_NS3MaxENSH_8EqualityEiEE10hipError_tPvRmT2_T3_T4_T5_mT6_T7_P12ihipStream_tbENKUlT_T0_E_clISt17integral_constantIbLb1EES10_EEDaSV_SW_EUlSV_E_NS1_11comp_targetILNS1_3genE10ELNS1_11target_archE1200ELNS1_3gpuE4ELNS1_3repE0EEENS1_30default_config_static_selectorELNS0_4arch9wavefront6targetE1EEEvT1_
                                        ; -- End function
	.set _ZN7rocprim17ROCPRIM_400000_NS6detail17trampoline_kernelINS0_14default_configENS1_27scan_by_key_config_selectorIiiEEZZNS1_16scan_by_key_implILNS1_25lookback_scan_determinismE0ELb0ES3_N6thrust23THRUST_200600_302600_NS16reverse_iteratorIPKiEESD_NSA_IPiEEiN6hipcub16HIPCUB_304000_NS3MaxENSH_8EqualityEiEE10hipError_tPvRmT2_T3_T4_T5_mT6_T7_P12ihipStream_tbENKUlT_T0_E_clISt17integral_constantIbLb1EES10_EEDaSV_SW_EUlSV_E_NS1_11comp_targetILNS1_3genE10ELNS1_11target_archE1200ELNS1_3gpuE4ELNS1_3repE0EEENS1_30default_config_static_selectorELNS0_4arch9wavefront6targetE1EEEvT1_.num_vgpr, 0
	.set _ZN7rocprim17ROCPRIM_400000_NS6detail17trampoline_kernelINS0_14default_configENS1_27scan_by_key_config_selectorIiiEEZZNS1_16scan_by_key_implILNS1_25lookback_scan_determinismE0ELb0ES3_N6thrust23THRUST_200600_302600_NS16reverse_iteratorIPKiEESD_NSA_IPiEEiN6hipcub16HIPCUB_304000_NS3MaxENSH_8EqualityEiEE10hipError_tPvRmT2_T3_T4_T5_mT6_T7_P12ihipStream_tbENKUlT_T0_E_clISt17integral_constantIbLb1EES10_EEDaSV_SW_EUlSV_E_NS1_11comp_targetILNS1_3genE10ELNS1_11target_archE1200ELNS1_3gpuE4ELNS1_3repE0EEENS1_30default_config_static_selectorELNS0_4arch9wavefront6targetE1EEEvT1_.num_agpr, 0
	.set _ZN7rocprim17ROCPRIM_400000_NS6detail17trampoline_kernelINS0_14default_configENS1_27scan_by_key_config_selectorIiiEEZZNS1_16scan_by_key_implILNS1_25lookback_scan_determinismE0ELb0ES3_N6thrust23THRUST_200600_302600_NS16reverse_iteratorIPKiEESD_NSA_IPiEEiN6hipcub16HIPCUB_304000_NS3MaxENSH_8EqualityEiEE10hipError_tPvRmT2_T3_T4_T5_mT6_T7_P12ihipStream_tbENKUlT_T0_E_clISt17integral_constantIbLb1EES10_EEDaSV_SW_EUlSV_E_NS1_11comp_targetILNS1_3genE10ELNS1_11target_archE1200ELNS1_3gpuE4ELNS1_3repE0EEENS1_30default_config_static_selectorELNS0_4arch9wavefront6targetE1EEEvT1_.numbered_sgpr, 0
	.set _ZN7rocprim17ROCPRIM_400000_NS6detail17trampoline_kernelINS0_14default_configENS1_27scan_by_key_config_selectorIiiEEZZNS1_16scan_by_key_implILNS1_25lookback_scan_determinismE0ELb0ES3_N6thrust23THRUST_200600_302600_NS16reverse_iteratorIPKiEESD_NSA_IPiEEiN6hipcub16HIPCUB_304000_NS3MaxENSH_8EqualityEiEE10hipError_tPvRmT2_T3_T4_T5_mT6_T7_P12ihipStream_tbENKUlT_T0_E_clISt17integral_constantIbLb1EES10_EEDaSV_SW_EUlSV_E_NS1_11comp_targetILNS1_3genE10ELNS1_11target_archE1200ELNS1_3gpuE4ELNS1_3repE0EEENS1_30default_config_static_selectorELNS0_4arch9wavefront6targetE1EEEvT1_.num_named_barrier, 0
	.set _ZN7rocprim17ROCPRIM_400000_NS6detail17trampoline_kernelINS0_14default_configENS1_27scan_by_key_config_selectorIiiEEZZNS1_16scan_by_key_implILNS1_25lookback_scan_determinismE0ELb0ES3_N6thrust23THRUST_200600_302600_NS16reverse_iteratorIPKiEESD_NSA_IPiEEiN6hipcub16HIPCUB_304000_NS3MaxENSH_8EqualityEiEE10hipError_tPvRmT2_T3_T4_T5_mT6_T7_P12ihipStream_tbENKUlT_T0_E_clISt17integral_constantIbLb1EES10_EEDaSV_SW_EUlSV_E_NS1_11comp_targetILNS1_3genE10ELNS1_11target_archE1200ELNS1_3gpuE4ELNS1_3repE0EEENS1_30default_config_static_selectorELNS0_4arch9wavefront6targetE1EEEvT1_.private_seg_size, 0
	.set _ZN7rocprim17ROCPRIM_400000_NS6detail17trampoline_kernelINS0_14default_configENS1_27scan_by_key_config_selectorIiiEEZZNS1_16scan_by_key_implILNS1_25lookback_scan_determinismE0ELb0ES3_N6thrust23THRUST_200600_302600_NS16reverse_iteratorIPKiEESD_NSA_IPiEEiN6hipcub16HIPCUB_304000_NS3MaxENSH_8EqualityEiEE10hipError_tPvRmT2_T3_T4_T5_mT6_T7_P12ihipStream_tbENKUlT_T0_E_clISt17integral_constantIbLb1EES10_EEDaSV_SW_EUlSV_E_NS1_11comp_targetILNS1_3genE10ELNS1_11target_archE1200ELNS1_3gpuE4ELNS1_3repE0EEENS1_30default_config_static_selectorELNS0_4arch9wavefront6targetE1EEEvT1_.uses_vcc, 0
	.set _ZN7rocprim17ROCPRIM_400000_NS6detail17trampoline_kernelINS0_14default_configENS1_27scan_by_key_config_selectorIiiEEZZNS1_16scan_by_key_implILNS1_25lookback_scan_determinismE0ELb0ES3_N6thrust23THRUST_200600_302600_NS16reverse_iteratorIPKiEESD_NSA_IPiEEiN6hipcub16HIPCUB_304000_NS3MaxENSH_8EqualityEiEE10hipError_tPvRmT2_T3_T4_T5_mT6_T7_P12ihipStream_tbENKUlT_T0_E_clISt17integral_constantIbLb1EES10_EEDaSV_SW_EUlSV_E_NS1_11comp_targetILNS1_3genE10ELNS1_11target_archE1200ELNS1_3gpuE4ELNS1_3repE0EEENS1_30default_config_static_selectorELNS0_4arch9wavefront6targetE1EEEvT1_.uses_flat_scratch, 0
	.set _ZN7rocprim17ROCPRIM_400000_NS6detail17trampoline_kernelINS0_14default_configENS1_27scan_by_key_config_selectorIiiEEZZNS1_16scan_by_key_implILNS1_25lookback_scan_determinismE0ELb0ES3_N6thrust23THRUST_200600_302600_NS16reverse_iteratorIPKiEESD_NSA_IPiEEiN6hipcub16HIPCUB_304000_NS3MaxENSH_8EqualityEiEE10hipError_tPvRmT2_T3_T4_T5_mT6_T7_P12ihipStream_tbENKUlT_T0_E_clISt17integral_constantIbLb1EES10_EEDaSV_SW_EUlSV_E_NS1_11comp_targetILNS1_3genE10ELNS1_11target_archE1200ELNS1_3gpuE4ELNS1_3repE0EEENS1_30default_config_static_selectorELNS0_4arch9wavefront6targetE1EEEvT1_.has_dyn_sized_stack, 0
	.set _ZN7rocprim17ROCPRIM_400000_NS6detail17trampoline_kernelINS0_14default_configENS1_27scan_by_key_config_selectorIiiEEZZNS1_16scan_by_key_implILNS1_25lookback_scan_determinismE0ELb0ES3_N6thrust23THRUST_200600_302600_NS16reverse_iteratorIPKiEESD_NSA_IPiEEiN6hipcub16HIPCUB_304000_NS3MaxENSH_8EqualityEiEE10hipError_tPvRmT2_T3_T4_T5_mT6_T7_P12ihipStream_tbENKUlT_T0_E_clISt17integral_constantIbLb1EES10_EEDaSV_SW_EUlSV_E_NS1_11comp_targetILNS1_3genE10ELNS1_11target_archE1200ELNS1_3gpuE4ELNS1_3repE0EEENS1_30default_config_static_selectorELNS0_4arch9wavefront6targetE1EEEvT1_.has_recursion, 0
	.set _ZN7rocprim17ROCPRIM_400000_NS6detail17trampoline_kernelINS0_14default_configENS1_27scan_by_key_config_selectorIiiEEZZNS1_16scan_by_key_implILNS1_25lookback_scan_determinismE0ELb0ES3_N6thrust23THRUST_200600_302600_NS16reverse_iteratorIPKiEESD_NSA_IPiEEiN6hipcub16HIPCUB_304000_NS3MaxENSH_8EqualityEiEE10hipError_tPvRmT2_T3_T4_T5_mT6_T7_P12ihipStream_tbENKUlT_T0_E_clISt17integral_constantIbLb1EES10_EEDaSV_SW_EUlSV_E_NS1_11comp_targetILNS1_3genE10ELNS1_11target_archE1200ELNS1_3gpuE4ELNS1_3repE0EEENS1_30default_config_static_selectorELNS0_4arch9wavefront6targetE1EEEvT1_.has_indirect_call, 0
	.section	.AMDGPU.csdata,"",@progbits
; Kernel info:
; codeLenInByte = 0
; TotalNumSgprs: 6
; NumVgprs: 0
; NumAgprs: 0
; TotalNumVgprs: 0
; ScratchSize: 0
; MemoryBound: 0
; FloatMode: 240
; IeeeMode: 1
; LDSByteSize: 0 bytes/workgroup (compile time only)
; SGPRBlocks: 0
; VGPRBlocks: 0
; NumSGPRsForWavesPerEU: 6
; NumVGPRsForWavesPerEU: 1
; AccumOffset: 4
; Occupancy: 8
; WaveLimiterHint : 0
; COMPUTE_PGM_RSRC2:SCRATCH_EN: 0
; COMPUTE_PGM_RSRC2:USER_SGPR: 2
; COMPUTE_PGM_RSRC2:TRAP_HANDLER: 0
; COMPUTE_PGM_RSRC2:TGID_X_EN: 1
; COMPUTE_PGM_RSRC2:TGID_Y_EN: 0
; COMPUTE_PGM_RSRC2:TGID_Z_EN: 0
; COMPUTE_PGM_RSRC2:TIDIG_COMP_CNT: 0
; COMPUTE_PGM_RSRC3_GFX90A:ACCUM_OFFSET: 0
; COMPUTE_PGM_RSRC3_GFX90A:TG_SPLIT: 0
	.section	.text._ZN7rocprim17ROCPRIM_400000_NS6detail17trampoline_kernelINS0_14default_configENS1_27scan_by_key_config_selectorIiiEEZZNS1_16scan_by_key_implILNS1_25lookback_scan_determinismE0ELb0ES3_N6thrust23THRUST_200600_302600_NS16reverse_iteratorIPKiEESD_NSA_IPiEEiN6hipcub16HIPCUB_304000_NS3MaxENSH_8EqualityEiEE10hipError_tPvRmT2_T3_T4_T5_mT6_T7_P12ihipStream_tbENKUlT_T0_E_clISt17integral_constantIbLb1EES10_EEDaSV_SW_EUlSV_E_NS1_11comp_targetILNS1_3genE9ELNS1_11target_archE1100ELNS1_3gpuE3ELNS1_3repE0EEENS1_30default_config_static_selectorELNS0_4arch9wavefront6targetE1EEEvT1_,"axG",@progbits,_ZN7rocprim17ROCPRIM_400000_NS6detail17trampoline_kernelINS0_14default_configENS1_27scan_by_key_config_selectorIiiEEZZNS1_16scan_by_key_implILNS1_25lookback_scan_determinismE0ELb0ES3_N6thrust23THRUST_200600_302600_NS16reverse_iteratorIPKiEESD_NSA_IPiEEiN6hipcub16HIPCUB_304000_NS3MaxENSH_8EqualityEiEE10hipError_tPvRmT2_T3_T4_T5_mT6_T7_P12ihipStream_tbENKUlT_T0_E_clISt17integral_constantIbLb1EES10_EEDaSV_SW_EUlSV_E_NS1_11comp_targetILNS1_3genE9ELNS1_11target_archE1100ELNS1_3gpuE3ELNS1_3repE0EEENS1_30default_config_static_selectorELNS0_4arch9wavefront6targetE1EEEvT1_,comdat
	.protected	_ZN7rocprim17ROCPRIM_400000_NS6detail17trampoline_kernelINS0_14default_configENS1_27scan_by_key_config_selectorIiiEEZZNS1_16scan_by_key_implILNS1_25lookback_scan_determinismE0ELb0ES3_N6thrust23THRUST_200600_302600_NS16reverse_iteratorIPKiEESD_NSA_IPiEEiN6hipcub16HIPCUB_304000_NS3MaxENSH_8EqualityEiEE10hipError_tPvRmT2_T3_T4_T5_mT6_T7_P12ihipStream_tbENKUlT_T0_E_clISt17integral_constantIbLb1EES10_EEDaSV_SW_EUlSV_E_NS1_11comp_targetILNS1_3genE9ELNS1_11target_archE1100ELNS1_3gpuE3ELNS1_3repE0EEENS1_30default_config_static_selectorELNS0_4arch9wavefront6targetE1EEEvT1_ ; -- Begin function _ZN7rocprim17ROCPRIM_400000_NS6detail17trampoline_kernelINS0_14default_configENS1_27scan_by_key_config_selectorIiiEEZZNS1_16scan_by_key_implILNS1_25lookback_scan_determinismE0ELb0ES3_N6thrust23THRUST_200600_302600_NS16reverse_iteratorIPKiEESD_NSA_IPiEEiN6hipcub16HIPCUB_304000_NS3MaxENSH_8EqualityEiEE10hipError_tPvRmT2_T3_T4_T5_mT6_T7_P12ihipStream_tbENKUlT_T0_E_clISt17integral_constantIbLb1EES10_EEDaSV_SW_EUlSV_E_NS1_11comp_targetILNS1_3genE9ELNS1_11target_archE1100ELNS1_3gpuE3ELNS1_3repE0EEENS1_30default_config_static_selectorELNS0_4arch9wavefront6targetE1EEEvT1_
	.globl	_ZN7rocprim17ROCPRIM_400000_NS6detail17trampoline_kernelINS0_14default_configENS1_27scan_by_key_config_selectorIiiEEZZNS1_16scan_by_key_implILNS1_25lookback_scan_determinismE0ELb0ES3_N6thrust23THRUST_200600_302600_NS16reverse_iteratorIPKiEESD_NSA_IPiEEiN6hipcub16HIPCUB_304000_NS3MaxENSH_8EqualityEiEE10hipError_tPvRmT2_T3_T4_T5_mT6_T7_P12ihipStream_tbENKUlT_T0_E_clISt17integral_constantIbLb1EES10_EEDaSV_SW_EUlSV_E_NS1_11comp_targetILNS1_3genE9ELNS1_11target_archE1100ELNS1_3gpuE3ELNS1_3repE0EEENS1_30default_config_static_selectorELNS0_4arch9wavefront6targetE1EEEvT1_
	.p2align	8
	.type	_ZN7rocprim17ROCPRIM_400000_NS6detail17trampoline_kernelINS0_14default_configENS1_27scan_by_key_config_selectorIiiEEZZNS1_16scan_by_key_implILNS1_25lookback_scan_determinismE0ELb0ES3_N6thrust23THRUST_200600_302600_NS16reverse_iteratorIPKiEESD_NSA_IPiEEiN6hipcub16HIPCUB_304000_NS3MaxENSH_8EqualityEiEE10hipError_tPvRmT2_T3_T4_T5_mT6_T7_P12ihipStream_tbENKUlT_T0_E_clISt17integral_constantIbLb1EES10_EEDaSV_SW_EUlSV_E_NS1_11comp_targetILNS1_3genE9ELNS1_11target_archE1100ELNS1_3gpuE3ELNS1_3repE0EEENS1_30default_config_static_selectorELNS0_4arch9wavefront6targetE1EEEvT1_,@function
_ZN7rocprim17ROCPRIM_400000_NS6detail17trampoline_kernelINS0_14default_configENS1_27scan_by_key_config_selectorIiiEEZZNS1_16scan_by_key_implILNS1_25lookback_scan_determinismE0ELb0ES3_N6thrust23THRUST_200600_302600_NS16reverse_iteratorIPKiEESD_NSA_IPiEEiN6hipcub16HIPCUB_304000_NS3MaxENSH_8EqualityEiEE10hipError_tPvRmT2_T3_T4_T5_mT6_T7_P12ihipStream_tbENKUlT_T0_E_clISt17integral_constantIbLb1EES10_EEDaSV_SW_EUlSV_E_NS1_11comp_targetILNS1_3genE9ELNS1_11target_archE1100ELNS1_3gpuE3ELNS1_3repE0EEENS1_30default_config_static_selectorELNS0_4arch9wavefront6targetE1EEEvT1_: ; @_ZN7rocprim17ROCPRIM_400000_NS6detail17trampoline_kernelINS0_14default_configENS1_27scan_by_key_config_selectorIiiEEZZNS1_16scan_by_key_implILNS1_25lookback_scan_determinismE0ELb0ES3_N6thrust23THRUST_200600_302600_NS16reverse_iteratorIPKiEESD_NSA_IPiEEiN6hipcub16HIPCUB_304000_NS3MaxENSH_8EqualityEiEE10hipError_tPvRmT2_T3_T4_T5_mT6_T7_P12ihipStream_tbENKUlT_T0_E_clISt17integral_constantIbLb1EES10_EEDaSV_SW_EUlSV_E_NS1_11comp_targetILNS1_3genE9ELNS1_11target_archE1100ELNS1_3gpuE3ELNS1_3repE0EEENS1_30default_config_static_selectorELNS0_4arch9wavefront6targetE1EEEvT1_
; %bb.0:
	.section	.rodata,"a",@progbits
	.p2align	6, 0x0
	.amdhsa_kernel _ZN7rocprim17ROCPRIM_400000_NS6detail17trampoline_kernelINS0_14default_configENS1_27scan_by_key_config_selectorIiiEEZZNS1_16scan_by_key_implILNS1_25lookback_scan_determinismE0ELb0ES3_N6thrust23THRUST_200600_302600_NS16reverse_iteratorIPKiEESD_NSA_IPiEEiN6hipcub16HIPCUB_304000_NS3MaxENSH_8EqualityEiEE10hipError_tPvRmT2_T3_T4_T5_mT6_T7_P12ihipStream_tbENKUlT_T0_E_clISt17integral_constantIbLb1EES10_EEDaSV_SW_EUlSV_E_NS1_11comp_targetILNS1_3genE9ELNS1_11target_archE1100ELNS1_3gpuE3ELNS1_3repE0EEENS1_30default_config_static_selectorELNS0_4arch9wavefront6targetE1EEEvT1_
		.amdhsa_group_segment_fixed_size 0
		.amdhsa_private_segment_fixed_size 0
		.amdhsa_kernarg_size 112
		.amdhsa_user_sgpr_count 2
		.amdhsa_user_sgpr_dispatch_ptr 0
		.amdhsa_user_sgpr_queue_ptr 0
		.amdhsa_user_sgpr_kernarg_segment_ptr 1
		.amdhsa_user_sgpr_dispatch_id 0
		.amdhsa_user_sgpr_kernarg_preload_length 0
		.amdhsa_user_sgpr_kernarg_preload_offset 0
		.amdhsa_user_sgpr_private_segment_size 0
		.amdhsa_uses_dynamic_stack 0
		.amdhsa_enable_private_segment 0
		.amdhsa_system_sgpr_workgroup_id_x 1
		.amdhsa_system_sgpr_workgroup_id_y 0
		.amdhsa_system_sgpr_workgroup_id_z 0
		.amdhsa_system_sgpr_workgroup_info 0
		.amdhsa_system_vgpr_workitem_id 0
		.amdhsa_next_free_vgpr 1
		.amdhsa_next_free_sgpr 0
		.amdhsa_accum_offset 4
		.amdhsa_reserve_vcc 0
		.amdhsa_float_round_mode_32 0
		.amdhsa_float_round_mode_16_64 0
		.amdhsa_float_denorm_mode_32 3
		.amdhsa_float_denorm_mode_16_64 3
		.amdhsa_dx10_clamp 1
		.amdhsa_ieee_mode 1
		.amdhsa_fp16_overflow 0
		.amdhsa_tg_split 0
		.amdhsa_exception_fp_ieee_invalid_op 0
		.amdhsa_exception_fp_denorm_src 0
		.amdhsa_exception_fp_ieee_div_zero 0
		.amdhsa_exception_fp_ieee_overflow 0
		.amdhsa_exception_fp_ieee_underflow 0
		.amdhsa_exception_fp_ieee_inexact 0
		.amdhsa_exception_int_div_zero 0
	.end_amdhsa_kernel
	.section	.text._ZN7rocprim17ROCPRIM_400000_NS6detail17trampoline_kernelINS0_14default_configENS1_27scan_by_key_config_selectorIiiEEZZNS1_16scan_by_key_implILNS1_25lookback_scan_determinismE0ELb0ES3_N6thrust23THRUST_200600_302600_NS16reverse_iteratorIPKiEESD_NSA_IPiEEiN6hipcub16HIPCUB_304000_NS3MaxENSH_8EqualityEiEE10hipError_tPvRmT2_T3_T4_T5_mT6_T7_P12ihipStream_tbENKUlT_T0_E_clISt17integral_constantIbLb1EES10_EEDaSV_SW_EUlSV_E_NS1_11comp_targetILNS1_3genE9ELNS1_11target_archE1100ELNS1_3gpuE3ELNS1_3repE0EEENS1_30default_config_static_selectorELNS0_4arch9wavefront6targetE1EEEvT1_,"axG",@progbits,_ZN7rocprim17ROCPRIM_400000_NS6detail17trampoline_kernelINS0_14default_configENS1_27scan_by_key_config_selectorIiiEEZZNS1_16scan_by_key_implILNS1_25lookback_scan_determinismE0ELb0ES3_N6thrust23THRUST_200600_302600_NS16reverse_iteratorIPKiEESD_NSA_IPiEEiN6hipcub16HIPCUB_304000_NS3MaxENSH_8EqualityEiEE10hipError_tPvRmT2_T3_T4_T5_mT6_T7_P12ihipStream_tbENKUlT_T0_E_clISt17integral_constantIbLb1EES10_EEDaSV_SW_EUlSV_E_NS1_11comp_targetILNS1_3genE9ELNS1_11target_archE1100ELNS1_3gpuE3ELNS1_3repE0EEENS1_30default_config_static_selectorELNS0_4arch9wavefront6targetE1EEEvT1_,comdat
.Lfunc_end70:
	.size	_ZN7rocprim17ROCPRIM_400000_NS6detail17trampoline_kernelINS0_14default_configENS1_27scan_by_key_config_selectorIiiEEZZNS1_16scan_by_key_implILNS1_25lookback_scan_determinismE0ELb0ES3_N6thrust23THRUST_200600_302600_NS16reverse_iteratorIPKiEESD_NSA_IPiEEiN6hipcub16HIPCUB_304000_NS3MaxENSH_8EqualityEiEE10hipError_tPvRmT2_T3_T4_T5_mT6_T7_P12ihipStream_tbENKUlT_T0_E_clISt17integral_constantIbLb1EES10_EEDaSV_SW_EUlSV_E_NS1_11comp_targetILNS1_3genE9ELNS1_11target_archE1100ELNS1_3gpuE3ELNS1_3repE0EEENS1_30default_config_static_selectorELNS0_4arch9wavefront6targetE1EEEvT1_, .Lfunc_end70-_ZN7rocprim17ROCPRIM_400000_NS6detail17trampoline_kernelINS0_14default_configENS1_27scan_by_key_config_selectorIiiEEZZNS1_16scan_by_key_implILNS1_25lookback_scan_determinismE0ELb0ES3_N6thrust23THRUST_200600_302600_NS16reverse_iteratorIPKiEESD_NSA_IPiEEiN6hipcub16HIPCUB_304000_NS3MaxENSH_8EqualityEiEE10hipError_tPvRmT2_T3_T4_T5_mT6_T7_P12ihipStream_tbENKUlT_T0_E_clISt17integral_constantIbLb1EES10_EEDaSV_SW_EUlSV_E_NS1_11comp_targetILNS1_3genE9ELNS1_11target_archE1100ELNS1_3gpuE3ELNS1_3repE0EEENS1_30default_config_static_selectorELNS0_4arch9wavefront6targetE1EEEvT1_
                                        ; -- End function
	.set _ZN7rocprim17ROCPRIM_400000_NS6detail17trampoline_kernelINS0_14default_configENS1_27scan_by_key_config_selectorIiiEEZZNS1_16scan_by_key_implILNS1_25lookback_scan_determinismE0ELb0ES3_N6thrust23THRUST_200600_302600_NS16reverse_iteratorIPKiEESD_NSA_IPiEEiN6hipcub16HIPCUB_304000_NS3MaxENSH_8EqualityEiEE10hipError_tPvRmT2_T3_T4_T5_mT6_T7_P12ihipStream_tbENKUlT_T0_E_clISt17integral_constantIbLb1EES10_EEDaSV_SW_EUlSV_E_NS1_11comp_targetILNS1_3genE9ELNS1_11target_archE1100ELNS1_3gpuE3ELNS1_3repE0EEENS1_30default_config_static_selectorELNS0_4arch9wavefront6targetE1EEEvT1_.num_vgpr, 0
	.set _ZN7rocprim17ROCPRIM_400000_NS6detail17trampoline_kernelINS0_14default_configENS1_27scan_by_key_config_selectorIiiEEZZNS1_16scan_by_key_implILNS1_25lookback_scan_determinismE0ELb0ES3_N6thrust23THRUST_200600_302600_NS16reverse_iteratorIPKiEESD_NSA_IPiEEiN6hipcub16HIPCUB_304000_NS3MaxENSH_8EqualityEiEE10hipError_tPvRmT2_T3_T4_T5_mT6_T7_P12ihipStream_tbENKUlT_T0_E_clISt17integral_constantIbLb1EES10_EEDaSV_SW_EUlSV_E_NS1_11comp_targetILNS1_3genE9ELNS1_11target_archE1100ELNS1_3gpuE3ELNS1_3repE0EEENS1_30default_config_static_selectorELNS0_4arch9wavefront6targetE1EEEvT1_.num_agpr, 0
	.set _ZN7rocprim17ROCPRIM_400000_NS6detail17trampoline_kernelINS0_14default_configENS1_27scan_by_key_config_selectorIiiEEZZNS1_16scan_by_key_implILNS1_25lookback_scan_determinismE0ELb0ES3_N6thrust23THRUST_200600_302600_NS16reverse_iteratorIPKiEESD_NSA_IPiEEiN6hipcub16HIPCUB_304000_NS3MaxENSH_8EqualityEiEE10hipError_tPvRmT2_T3_T4_T5_mT6_T7_P12ihipStream_tbENKUlT_T0_E_clISt17integral_constantIbLb1EES10_EEDaSV_SW_EUlSV_E_NS1_11comp_targetILNS1_3genE9ELNS1_11target_archE1100ELNS1_3gpuE3ELNS1_3repE0EEENS1_30default_config_static_selectorELNS0_4arch9wavefront6targetE1EEEvT1_.numbered_sgpr, 0
	.set _ZN7rocprim17ROCPRIM_400000_NS6detail17trampoline_kernelINS0_14default_configENS1_27scan_by_key_config_selectorIiiEEZZNS1_16scan_by_key_implILNS1_25lookback_scan_determinismE0ELb0ES3_N6thrust23THRUST_200600_302600_NS16reverse_iteratorIPKiEESD_NSA_IPiEEiN6hipcub16HIPCUB_304000_NS3MaxENSH_8EqualityEiEE10hipError_tPvRmT2_T3_T4_T5_mT6_T7_P12ihipStream_tbENKUlT_T0_E_clISt17integral_constantIbLb1EES10_EEDaSV_SW_EUlSV_E_NS1_11comp_targetILNS1_3genE9ELNS1_11target_archE1100ELNS1_3gpuE3ELNS1_3repE0EEENS1_30default_config_static_selectorELNS0_4arch9wavefront6targetE1EEEvT1_.num_named_barrier, 0
	.set _ZN7rocprim17ROCPRIM_400000_NS6detail17trampoline_kernelINS0_14default_configENS1_27scan_by_key_config_selectorIiiEEZZNS1_16scan_by_key_implILNS1_25lookback_scan_determinismE0ELb0ES3_N6thrust23THRUST_200600_302600_NS16reverse_iteratorIPKiEESD_NSA_IPiEEiN6hipcub16HIPCUB_304000_NS3MaxENSH_8EqualityEiEE10hipError_tPvRmT2_T3_T4_T5_mT6_T7_P12ihipStream_tbENKUlT_T0_E_clISt17integral_constantIbLb1EES10_EEDaSV_SW_EUlSV_E_NS1_11comp_targetILNS1_3genE9ELNS1_11target_archE1100ELNS1_3gpuE3ELNS1_3repE0EEENS1_30default_config_static_selectorELNS0_4arch9wavefront6targetE1EEEvT1_.private_seg_size, 0
	.set _ZN7rocprim17ROCPRIM_400000_NS6detail17trampoline_kernelINS0_14default_configENS1_27scan_by_key_config_selectorIiiEEZZNS1_16scan_by_key_implILNS1_25lookback_scan_determinismE0ELb0ES3_N6thrust23THRUST_200600_302600_NS16reverse_iteratorIPKiEESD_NSA_IPiEEiN6hipcub16HIPCUB_304000_NS3MaxENSH_8EqualityEiEE10hipError_tPvRmT2_T3_T4_T5_mT6_T7_P12ihipStream_tbENKUlT_T0_E_clISt17integral_constantIbLb1EES10_EEDaSV_SW_EUlSV_E_NS1_11comp_targetILNS1_3genE9ELNS1_11target_archE1100ELNS1_3gpuE3ELNS1_3repE0EEENS1_30default_config_static_selectorELNS0_4arch9wavefront6targetE1EEEvT1_.uses_vcc, 0
	.set _ZN7rocprim17ROCPRIM_400000_NS6detail17trampoline_kernelINS0_14default_configENS1_27scan_by_key_config_selectorIiiEEZZNS1_16scan_by_key_implILNS1_25lookback_scan_determinismE0ELb0ES3_N6thrust23THRUST_200600_302600_NS16reverse_iteratorIPKiEESD_NSA_IPiEEiN6hipcub16HIPCUB_304000_NS3MaxENSH_8EqualityEiEE10hipError_tPvRmT2_T3_T4_T5_mT6_T7_P12ihipStream_tbENKUlT_T0_E_clISt17integral_constantIbLb1EES10_EEDaSV_SW_EUlSV_E_NS1_11comp_targetILNS1_3genE9ELNS1_11target_archE1100ELNS1_3gpuE3ELNS1_3repE0EEENS1_30default_config_static_selectorELNS0_4arch9wavefront6targetE1EEEvT1_.uses_flat_scratch, 0
	.set _ZN7rocprim17ROCPRIM_400000_NS6detail17trampoline_kernelINS0_14default_configENS1_27scan_by_key_config_selectorIiiEEZZNS1_16scan_by_key_implILNS1_25lookback_scan_determinismE0ELb0ES3_N6thrust23THRUST_200600_302600_NS16reverse_iteratorIPKiEESD_NSA_IPiEEiN6hipcub16HIPCUB_304000_NS3MaxENSH_8EqualityEiEE10hipError_tPvRmT2_T3_T4_T5_mT6_T7_P12ihipStream_tbENKUlT_T0_E_clISt17integral_constantIbLb1EES10_EEDaSV_SW_EUlSV_E_NS1_11comp_targetILNS1_3genE9ELNS1_11target_archE1100ELNS1_3gpuE3ELNS1_3repE0EEENS1_30default_config_static_selectorELNS0_4arch9wavefront6targetE1EEEvT1_.has_dyn_sized_stack, 0
	.set _ZN7rocprim17ROCPRIM_400000_NS6detail17trampoline_kernelINS0_14default_configENS1_27scan_by_key_config_selectorIiiEEZZNS1_16scan_by_key_implILNS1_25lookback_scan_determinismE0ELb0ES3_N6thrust23THRUST_200600_302600_NS16reverse_iteratorIPKiEESD_NSA_IPiEEiN6hipcub16HIPCUB_304000_NS3MaxENSH_8EqualityEiEE10hipError_tPvRmT2_T3_T4_T5_mT6_T7_P12ihipStream_tbENKUlT_T0_E_clISt17integral_constantIbLb1EES10_EEDaSV_SW_EUlSV_E_NS1_11comp_targetILNS1_3genE9ELNS1_11target_archE1100ELNS1_3gpuE3ELNS1_3repE0EEENS1_30default_config_static_selectorELNS0_4arch9wavefront6targetE1EEEvT1_.has_recursion, 0
	.set _ZN7rocprim17ROCPRIM_400000_NS6detail17trampoline_kernelINS0_14default_configENS1_27scan_by_key_config_selectorIiiEEZZNS1_16scan_by_key_implILNS1_25lookback_scan_determinismE0ELb0ES3_N6thrust23THRUST_200600_302600_NS16reverse_iteratorIPKiEESD_NSA_IPiEEiN6hipcub16HIPCUB_304000_NS3MaxENSH_8EqualityEiEE10hipError_tPvRmT2_T3_T4_T5_mT6_T7_P12ihipStream_tbENKUlT_T0_E_clISt17integral_constantIbLb1EES10_EEDaSV_SW_EUlSV_E_NS1_11comp_targetILNS1_3genE9ELNS1_11target_archE1100ELNS1_3gpuE3ELNS1_3repE0EEENS1_30default_config_static_selectorELNS0_4arch9wavefront6targetE1EEEvT1_.has_indirect_call, 0
	.section	.AMDGPU.csdata,"",@progbits
; Kernel info:
; codeLenInByte = 0
; TotalNumSgprs: 6
; NumVgprs: 0
; NumAgprs: 0
; TotalNumVgprs: 0
; ScratchSize: 0
; MemoryBound: 0
; FloatMode: 240
; IeeeMode: 1
; LDSByteSize: 0 bytes/workgroup (compile time only)
; SGPRBlocks: 0
; VGPRBlocks: 0
; NumSGPRsForWavesPerEU: 6
; NumVGPRsForWavesPerEU: 1
; AccumOffset: 4
; Occupancy: 8
; WaveLimiterHint : 0
; COMPUTE_PGM_RSRC2:SCRATCH_EN: 0
; COMPUTE_PGM_RSRC2:USER_SGPR: 2
; COMPUTE_PGM_RSRC2:TRAP_HANDLER: 0
; COMPUTE_PGM_RSRC2:TGID_X_EN: 1
; COMPUTE_PGM_RSRC2:TGID_Y_EN: 0
; COMPUTE_PGM_RSRC2:TGID_Z_EN: 0
; COMPUTE_PGM_RSRC2:TIDIG_COMP_CNT: 0
; COMPUTE_PGM_RSRC3_GFX90A:ACCUM_OFFSET: 0
; COMPUTE_PGM_RSRC3_GFX90A:TG_SPLIT: 0
	.section	.text._ZN7rocprim17ROCPRIM_400000_NS6detail17trampoline_kernelINS0_14default_configENS1_27scan_by_key_config_selectorIiiEEZZNS1_16scan_by_key_implILNS1_25lookback_scan_determinismE0ELb0ES3_N6thrust23THRUST_200600_302600_NS16reverse_iteratorIPKiEESD_NSA_IPiEEiN6hipcub16HIPCUB_304000_NS3MaxENSH_8EqualityEiEE10hipError_tPvRmT2_T3_T4_T5_mT6_T7_P12ihipStream_tbENKUlT_T0_E_clISt17integral_constantIbLb1EES10_EEDaSV_SW_EUlSV_E_NS1_11comp_targetILNS1_3genE8ELNS1_11target_archE1030ELNS1_3gpuE2ELNS1_3repE0EEENS1_30default_config_static_selectorELNS0_4arch9wavefront6targetE1EEEvT1_,"axG",@progbits,_ZN7rocprim17ROCPRIM_400000_NS6detail17trampoline_kernelINS0_14default_configENS1_27scan_by_key_config_selectorIiiEEZZNS1_16scan_by_key_implILNS1_25lookback_scan_determinismE0ELb0ES3_N6thrust23THRUST_200600_302600_NS16reverse_iteratorIPKiEESD_NSA_IPiEEiN6hipcub16HIPCUB_304000_NS3MaxENSH_8EqualityEiEE10hipError_tPvRmT2_T3_T4_T5_mT6_T7_P12ihipStream_tbENKUlT_T0_E_clISt17integral_constantIbLb1EES10_EEDaSV_SW_EUlSV_E_NS1_11comp_targetILNS1_3genE8ELNS1_11target_archE1030ELNS1_3gpuE2ELNS1_3repE0EEENS1_30default_config_static_selectorELNS0_4arch9wavefront6targetE1EEEvT1_,comdat
	.protected	_ZN7rocprim17ROCPRIM_400000_NS6detail17trampoline_kernelINS0_14default_configENS1_27scan_by_key_config_selectorIiiEEZZNS1_16scan_by_key_implILNS1_25lookback_scan_determinismE0ELb0ES3_N6thrust23THRUST_200600_302600_NS16reverse_iteratorIPKiEESD_NSA_IPiEEiN6hipcub16HIPCUB_304000_NS3MaxENSH_8EqualityEiEE10hipError_tPvRmT2_T3_T4_T5_mT6_T7_P12ihipStream_tbENKUlT_T0_E_clISt17integral_constantIbLb1EES10_EEDaSV_SW_EUlSV_E_NS1_11comp_targetILNS1_3genE8ELNS1_11target_archE1030ELNS1_3gpuE2ELNS1_3repE0EEENS1_30default_config_static_selectorELNS0_4arch9wavefront6targetE1EEEvT1_ ; -- Begin function _ZN7rocprim17ROCPRIM_400000_NS6detail17trampoline_kernelINS0_14default_configENS1_27scan_by_key_config_selectorIiiEEZZNS1_16scan_by_key_implILNS1_25lookback_scan_determinismE0ELb0ES3_N6thrust23THRUST_200600_302600_NS16reverse_iteratorIPKiEESD_NSA_IPiEEiN6hipcub16HIPCUB_304000_NS3MaxENSH_8EqualityEiEE10hipError_tPvRmT2_T3_T4_T5_mT6_T7_P12ihipStream_tbENKUlT_T0_E_clISt17integral_constantIbLb1EES10_EEDaSV_SW_EUlSV_E_NS1_11comp_targetILNS1_3genE8ELNS1_11target_archE1030ELNS1_3gpuE2ELNS1_3repE0EEENS1_30default_config_static_selectorELNS0_4arch9wavefront6targetE1EEEvT1_
	.globl	_ZN7rocprim17ROCPRIM_400000_NS6detail17trampoline_kernelINS0_14default_configENS1_27scan_by_key_config_selectorIiiEEZZNS1_16scan_by_key_implILNS1_25lookback_scan_determinismE0ELb0ES3_N6thrust23THRUST_200600_302600_NS16reverse_iteratorIPKiEESD_NSA_IPiEEiN6hipcub16HIPCUB_304000_NS3MaxENSH_8EqualityEiEE10hipError_tPvRmT2_T3_T4_T5_mT6_T7_P12ihipStream_tbENKUlT_T0_E_clISt17integral_constantIbLb1EES10_EEDaSV_SW_EUlSV_E_NS1_11comp_targetILNS1_3genE8ELNS1_11target_archE1030ELNS1_3gpuE2ELNS1_3repE0EEENS1_30default_config_static_selectorELNS0_4arch9wavefront6targetE1EEEvT1_
	.p2align	8
	.type	_ZN7rocprim17ROCPRIM_400000_NS6detail17trampoline_kernelINS0_14default_configENS1_27scan_by_key_config_selectorIiiEEZZNS1_16scan_by_key_implILNS1_25lookback_scan_determinismE0ELb0ES3_N6thrust23THRUST_200600_302600_NS16reverse_iteratorIPKiEESD_NSA_IPiEEiN6hipcub16HIPCUB_304000_NS3MaxENSH_8EqualityEiEE10hipError_tPvRmT2_T3_T4_T5_mT6_T7_P12ihipStream_tbENKUlT_T0_E_clISt17integral_constantIbLb1EES10_EEDaSV_SW_EUlSV_E_NS1_11comp_targetILNS1_3genE8ELNS1_11target_archE1030ELNS1_3gpuE2ELNS1_3repE0EEENS1_30default_config_static_selectorELNS0_4arch9wavefront6targetE1EEEvT1_,@function
_ZN7rocprim17ROCPRIM_400000_NS6detail17trampoline_kernelINS0_14default_configENS1_27scan_by_key_config_selectorIiiEEZZNS1_16scan_by_key_implILNS1_25lookback_scan_determinismE0ELb0ES3_N6thrust23THRUST_200600_302600_NS16reverse_iteratorIPKiEESD_NSA_IPiEEiN6hipcub16HIPCUB_304000_NS3MaxENSH_8EqualityEiEE10hipError_tPvRmT2_T3_T4_T5_mT6_T7_P12ihipStream_tbENKUlT_T0_E_clISt17integral_constantIbLb1EES10_EEDaSV_SW_EUlSV_E_NS1_11comp_targetILNS1_3genE8ELNS1_11target_archE1030ELNS1_3gpuE2ELNS1_3repE0EEENS1_30default_config_static_selectorELNS0_4arch9wavefront6targetE1EEEvT1_: ; @_ZN7rocprim17ROCPRIM_400000_NS6detail17trampoline_kernelINS0_14default_configENS1_27scan_by_key_config_selectorIiiEEZZNS1_16scan_by_key_implILNS1_25lookback_scan_determinismE0ELb0ES3_N6thrust23THRUST_200600_302600_NS16reverse_iteratorIPKiEESD_NSA_IPiEEiN6hipcub16HIPCUB_304000_NS3MaxENSH_8EqualityEiEE10hipError_tPvRmT2_T3_T4_T5_mT6_T7_P12ihipStream_tbENKUlT_T0_E_clISt17integral_constantIbLb1EES10_EEDaSV_SW_EUlSV_E_NS1_11comp_targetILNS1_3genE8ELNS1_11target_archE1030ELNS1_3gpuE2ELNS1_3repE0EEENS1_30default_config_static_selectorELNS0_4arch9wavefront6targetE1EEEvT1_
; %bb.0:
	.section	.rodata,"a",@progbits
	.p2align	6, 0x0
	.amdhsa_kernel _ZN7rocprim17ROCPRIM_400000_NS6detail17trampoline_kernelINS0_14default_configENS1_27scan_by_key_config_selectorIiiEEZZNS1_16scan_by_key_implILNS1_25lookback_scan_determinismE0ELb0ES3_N6thrust23THRUST_200600_302600_NS16reverse_iteratorIPKiEESD_NSA_IPiEEiN6hipcub16HIPCUB_304000_NS3MaxENSH_8EqualityEiEE10hipError_tPvRmT2_T3_T4_T5_mT6_T7_P12ihipStream_tbENKUlT_T0_E_clISt17integral_constantIbLb1EES10_EEDaSV_SW_EUlSV_E_NS1_11comp_targetILNS1_3genE8ELNS1_11target_archE1030ELNS1_3gpuE2ELNS1_3repE0EEENS1_30default_config_static_selectorELNS0_4arch9wavefront6targetE1EEEvT1_
		.amdhsa_group_segment_fixed_size 0
		.amdhsa_private_segment_fixed_size 0
		.amdhsa_kernarg_size 112
		.amdhsa_user_sgpr_count 2
		.amdhsa_user_sgpr_dispatch_ptr 0
		.amdhsa_user_sgpr_queue_ptr 0
		.amdhsa_user_sgpr_kernarg_segment_ptr 1
		.amdhsa_user_sgpr_dispatch_id 0
		.amdhsa_user_sgpr_kernarg_preload_length 0
		.amdhsa_user_sgpr_kernarg_preload_offset 0
		.amdhsa_user_sgpr_private_segment_size 0
		.amdhsa_uses_dynamic_stack 0
		.amdhsa_enable_private_segment 0
		.amdhsa_system_sgpr_workgroup_id_x 1
		.amdhsa_system_sgpr_workgroup_id_y 0
		.amdhsa_system_sgpr_workgroup_id_z 0
		.amdhsa_system_sgpr_workgroup_info 0
		.amdhsa_system_vgpr_workitem_id 0
		.amdhsa_next_free_vgpr 1
		.amdhsa_next_free_sgpr 0
		.amdhsa_accum_offset 4
		.amdhsa_reserve_vcc 0
		.amdhsa_float_round_mode_32 0
		.amdhsa_float_round_mode_16_64 0
		.amdhsa_float_denorm_mode_32 3
		.amdhsa_float_denorm_mode_16_64 3
		.amdhsa_dx10_clamp 1
		.amdhsa_ieee_mode 1
		.amdhsa_fp16_overflow 0
		.amdhsa_tg_split 0
		.amdhsa_exception_fp_ieee_invalid_op 0
		.amdhsa_exception_fp_denorm_src 0
		.amdhsa_exception_fp_ieee_div_zero 0
		.amdhsa_exception_fp_ieee_overflow 0
		.amdhsa_exception_fp_ieee_underflow 0
		.amdhsa_exception_fp_ieee_inexact 0
		.amdhsa_exception_int_div_zero 0
	.end_amdhsa_kernel
	.section	.text._ZN7rocprim17ROCPRIM_400000_NS6detail17trampoline_kernelINS0_14default_configENS1_27scan_by_key_config_selectorIiiEEZZNS1_16scan_by_key_implILNS1_25lookback_scan_determinismE0ELb0ES3_N6thrust23THRUST_200600_302600_NS16reverse_iteratorIPKiEESD_NSA_IPiEEiN6hipcub16HIPCUB_304000_NS3MaxENSH_8EqualityEiEE10hipError_tPvRmT2_T3_T4_T5_mT6_T7_P12ihipStream_tbENKUlT_T0_E_clISt17integral_constantIbLb1EES10_EEDaSV_SW_EUlSV_E_NS1_11comp_targetILNS1_3genE8ELNS1_11target_archE1030ELNS1_3gpuE2ELNS1_3repE0EEENS1_30default_config_static_selectorELNS0_4arch9wavefront6targetE1EEEvT1_,"axG",@progbits,_ZN7rocprim17ROCPRIM_400000_NS6detail17trampoline_kernelINS0_14default_configENS1_27scan_by_key_config_selectorIiiEEZZNS1_16scan_by_key_implILNS1_25lookback_scan_determinismE0ELb0ES3_N6thrust23THRUST_200600_302600_NS16reverse_iteratorIPKiEESD_NSA_IPiEEiN6hipcub16HIPCUB_304000_NS3MaxENSH_8EqualityEiEE10hipError_tPvRmT2_T3_T4_T5_mT6_T7_P12ihipStream_tbENKUlT_T0_E_clISt17integral_constantIbLb1EES10_EEDaSV_SW_EUlSV_E_NS1_11comp_targetILNS1_3genE8ELNS1_11target_archE1030ELNS1_3gpuE2ELNS1_3repE0EEENS1_30default_config_static_selectorELNS0_4arch9wavefront6targetE1EEEvT1_,comdat
.Lfunc_end71:
	.size	_ZN7rocprim17ROCPRIM_400000_NS6detail17trampoline_kernelINS0_14default_configENS1_27scan_by_key_config_selectorIiiEEZZNS1_16scan_by_key_implILNS1_25lookback_scan_determinismE0ELb0ES3_N6thrust23THRUST_200600_302600_NS16reverse_iteratorIPKiEESD_NSA_IPiEEiN6hipcub16HIPCUB_304000_NS3MaxENSH_8EqualityEiEE10hipError_tPvRmT2_T3_T4_T5_mT6_T7_P12ihipStream_tbENKUlT_T0_E_clISt17integral_constantIbLb1EES10_EEDaSV_SW_EUlSV_E_NS1_11comp_targetILNS1_3genE8ELNS1_11target_archE1030ELNS1_3gpuE2ELNS1_3repE0EEENS1_30default_config_static_selectorELNS0_4arch9wavefront6targetE1EEEvT1_, .Lfunc_end71-_ZN7rocprim17ROCPRIM_400000_NS6detail17trampoline_kernelINS0_14default_configENS1_27scan_by_key_config_selectorIiiEEZZNS1_16scan_by_key_implILNS1_25lookback_scan_determinismE0ELb0ES3_N6thrust23THRUST_200600_302600_NS16reverse_iteratorIPKiEESD_NSA_IPiEEiN6hipcub16HIPCUB_304000_NS3MaxENSH_8EqualityEiEE10hipError_tPvRmT2_T3_T4_T5_mT6_T7_P12ihipStream_tbENKUlT_T0_E_clISt17integral_constantIbLb1EES10_EEDaSV_SW_EUlSV_E_NS1_11comp_targetILNS1_3genE8ELNS1_11target_archE1030ELNS1_3gpuE2ELNS1_3repE0EEENS1_30default_config_static_selectorELNS0_4arch9wavefront6targetE1EEEvT1_
                                        ; -- End function
	.set _ZN7rocprim17ROCPRIM_400000_NS6detail17trampoline_kernelINS0_14default_configENS1_27scan_by_key_config_selectorIiiEEZZNS1_16scan_by_key_implILNS1_25lookback_scan_determinismE0ELb0ES3_N6thrust23THRUST_200600_302600_NS16reverse_iteratorIPKiEESD_NSA_IPiEEiN6hipcub16HIPCUB_304000_NS3MaxENSH_8EqualityEiEE10hipError_tPvRmT2_T3_T4_T5_mT6_T7_P12ihipStream_tbENKUlT_T0_E_clISt17integral_constantIbLb1EES10_EEDaSV_SW_EUlSV_E_NS1_11comp_targetILNS1_3genE8ELNS1_11target_archE1030ELNS1_3gpuE2ELNS1_3repE0EEENS1_30default_config_static_selectorELNS0_4arch9wavefront6targetE1EEEvT1_.num_vgpr, 0
	.set _ZN7rocprim17ROCPRIM_400000_NS6detail17trampoline_kernelINS0_14default_configENS1_27scan_by_key_config_selectorIiiEEZZNS1_16scan_by_key_implILNS1_25lookback_scan_determinismE0ELb0ES3_N6thrust23THRUST_200600_302600_NS16reverse_iteratorIPKiEESD_NSA_IPiEEiN6hipcub16HIPCUB_304000_NS3MaxENSH_8EqualityEiEE10hipError_tPvRmT2_T3_T4_T5_mT6_T7_P12ihipStream_tbENKUlT_T0_E_clISt17integral_constantIbLb1EES10_EEDaSV_SW_EUlSV_E_NS1_11comp_targetILNS1_3genE8ELNS1_11target_archE1030ELNS1_3gpuE2ELNS1_3repE0EEENS1_30default_config_static_selectorELNS0_4arch9wavefront6targetE1EEEvT1_.num_agpr, 0
	.set _ZN7rocprim17ROCPRIM_400000_NS6detail17trampoline_kernelINS0_14default_configENS1_27scan_by_key_config_selectorIiiEEZZNS1_16scan_by_key_implILNS1_25lookback_scan_determinismE0ELb0ES3_N6thrust23THRUST_200600_302600_NS16reverse_iteratorIPKiEESD_NSA_IPiEEiN6hipcub16HIPCUB_304000_NS3MaxENSH_8EqualityEiEE10hipError_tPvRmT2_T3_T4_T5_mT6_T7_P12ihipStream_tbENKUlT_T0_E_clISt17integral_constantIbLb1EES10_EEDaSV_SW_EUlSV_E_NS1_11comp_targetILNS1_3genE8ELNS1_11target_archE1030ELNS1_3gpuE2ELNS1_3repE0EEENS1_30default_config_static_selectorELNS0_4arch9wavefront6targetE1EEEvT1_.numbered_sgpr, 0
	.set _ZN7rocprim17ROCPRIM_400000_NS6detail17trampoline_kernelINS0_14default_configENS1_27scan_by_key_config_selectorIiiEEZZNS1_16scan_by_key_implILNS1_25lookback_scan_determinismE0ELb0ES3_N6thrust23THRUST_200600_302600_NS16reverse_iteratorIPKiEESD_NSA_IPiEEiN6hipcub16HIPCUB_304000_NS3MaxENSH_8EqualityEiEE10hipError_tPvRmT2_T3_T4_T5_mT6_T7_P12ihipStream_tbENKUlT_T0_E_clISt17integral_constantIbLb1EES10_EEDaSV_SW_EUlSV_E_NS1_11comp_targetILNS1_3genE8ELNS1_11target_archE1030ELNS1_3gpuE2ELNS1_3repE0EEENS1_30default_config_static_selectorELNS0_4arch9wavefront6targetE1EEEvT1_.num_named_barrier, 0
	.set _ZN7rocprim17ROCPRIM_400000_NS6detail17trampoline_kernelINS0_14default_configENS1_27scan_by_key_config_selectorIiiEEZZNS1_16scan_by_key_implILNS1_25lookback_scan_determinismE0ELb0ES3_N6thrust23THRUST_200600_302600_NS16reverse_iteratorIPKiEESD_NSA_IPiEEiN6hipcub16HIPCUB_304000_NS3MaxENSH_8EqualityEiEE10hipError_tPvRmT2_T3_T4_T5_mT6_T7_P12ihipStream_tbENKUlT_T0_E_clISt17integral_constantIbLb1EES10_EEDaSV_SW_EUlSV_E_NS1_11comp_targetILNS1_3genE8ELNS1_11target_archE1030ELNS1_3gpuE2ELNS1_3repE0EEENS1_30default_config_static_selectorELNS0_4arch9wavefront6targetE1EEEvT1_.private_seg_size, 0
	.set _ZN7rocprim17ROCPRIM_400000_NS6detail17trampoline_kernelINS0_14default_configENS1_27scan_by_key_config_selectorIiiEEZZNS1_16scan_by_key_implILNS1_25lookback_scan_determinismE0ELb0ES3_N6thrust23THRUST_200600_302600_NS16reverse_iteratorIPKiEESD_NSA_IPiEEiN6hipcub16HIPCUB_304000_NS3MaxENSH_8EqualityEiEE10hipError_tPvRmT2_T3_T4_T5_mT6_T7_P12ihipStream_tbENKUlT_T0_E_clISt17integral_constantIbLb1EES10_EEDaSV_SW_EUlSV_E_NS1_11comp_targetILNS1_3genE8ELNS1_11target_archE1030ELNS1_3gpuE2ELNS1_3repE0EEENS1_30default_config_static_selectorELNS0_4arch9wavefront6targetE1EEEvT1_.uses_vcc, 0
	.set _ZN7rocprim17ROCPRIM_400000_NS6detail17trampoline_kernelINS0_14default_configENS1_27scan_by_key_config_selectorIiiEEZZNS1_16scan_by_key_implILNS1_25lookback_scan_determinismE0ELb0ES3_N6thrust23THRUST_200600_302600_NS16reverse_iteratorIPKiEESD_NSA_IPiEEiN6hipcub16HIPCUB_304000_NS3MaxENSH_8EqualityEiEE10hipError_tPvRmT2_T3_T4_T5_mT6_T7_P12ihipStream_tbENKUlT_T0_E_clISt17integral_constantIbLb1EES10_EEDaSV_SW_EUlSV_E_NS1_11comp_targetILNS1_3genE8ELNS1_11target_archE1030ELNS1_3gpuE2ELNS1_3repE0EEENS1_30default_config_static_selectorELNS0_4arch9wavefront6targetE1EEEvT1_.uses_flat_scratch, 0
	.set _ZN7rocprim17ROCPRIM_400000_NS6detail17trampoline_kernelINS0_14default_configENS1_27scan_by_key_config_selectorIiiEEZZNS1_16scan_by_key_implILNS1_25lookback_scan_determinismE0ELb0ES3_N6thrust23THRUST_200600_302600_NS16reverse_iteratorIPKiEESD_NSA_IPiEEiN6hipcub16HIPCUB_304000_NS3MaxENSH_8EqualityEiEE10hipError_tPvRmT2_T3_T4_T5_mT6_T7_P12ihipStream_tbENKUlT_T0_E_clISt17integral_constantIbLb1EES10_EEDaSV_SW_EUlSV_E_NS1_11comp_targetILNS1_3genE8ELNS1_11target_archE1030ELNS1_3gpuE2ELNS1_3repE0EEENS1_30default_config_static_selectorELNS0_4arch9wavefront6targetE1EEEvT1_.has_dyn_sized_stack, 0
	.set _ZN7rocprim17ROCPRIM_400000_NS6detail17trampoline_kernelINS0_14default_configENS1_27scan_by_key_config_selectorIiiEEZZNS1_16scan_by_key_implILNS1_25lookback_scan_determinismE0ELb0ES3_N6thrust23THRUST_200600_302600_NS16reverse_iteratorIPKiEESD_NSA_IPiEEiN6hipcub16HIPCUB_304000_NS3MaxENSH_8EqualityEiEE10hipError_tPvRmT2_T3_T4_T5_mT6_T7_P12ihipStream_tbENKUlT_T0_E_clISt17integral_constantIbLb1EES10_EEDaSV_SW_EUlSV_E_NS1_11comp_targetILNS1_3genE8ELNS1_11target_archE1030ELNS1_3gpuE2ELNS1_3repE0EEENS1_30default_config_static_selectorELNS0_4arch9wavefront6targetE1EEEvT1_.has_recursion, 0
	.set _ZN7rocprim17ROCPRIM_400000_NS6detail17trampoline_kernelINS0_14default_configENS1_27scan_by_key_config_selectorIiiEEZZNS1_16scan_by_key_implILNS1_25lookback_scan_determinismE0ELb0ES3_N6thrust23THRUST_200600_302600_NS16reverse_iteratorIPKiEESD_NSA_IPiEEiN6hipcub16HIPCUB_304000_NS3MaxENSH_8EqualityEiEE10hipError_tPvRmT2_T3_T4_T5_mT6_T7_P12ihipStream_tbENKUlT_T0_E_clISt17integral_constantIbLb1EES10_EEDaSV_SW_EUlSV_E_NS1_11comp_targetILNS1_3genE8ELNS1_11target_archE1030ELNS1_3gpuE2ELNS1_3repE0EEENS1_30default_config_static_selectorELNS0_4arch9wavefront6targetE1EEEvT1_.has_indirect_call, 0
	.section	.AMDGPU.csdata,"",@progbits
; Kernel info:
; codeLenInByte = 0
; TotalNumSgprs: 6
; NumVgprs: 0
; NumAgprs: 0
; TotalNumVgprs: 0
; ScratchSize: 0
; MemoryBound: 0
; FloatMode: 240
; IeeeMode: 1
; LDSByteSize: 0 bytes/workgroup (compile time only)
; SGPRBlocks: 0
; VGPRBlocks: 0
; NumSGPRsForWavesPerEU: 6
; NumVGPRsForWavesPerEU: 1
; AccumOffset: 4
; Occupancy: 8
; WaveLimiterHint : 0
; COMPUTE_PGM_RSRC2:SCRATCH_EN: 0
; COMPUTE_PGM_RSRC2:USER_SGPR: 2
; COMPUTE_PGM_RSRC2:TRAP_HANDLER: 0
; COMPUTE_PGM_RSRC2:TGID_X_EN: 1
; COMPUTE_PGM_RSRC2:TGID_Y_EN: 0
; COMPUTE_PGM_RSRC2:TGID_Z_EN: 0
; COMPUTE_PGM_RSRC2:TIDIG_COMP_CNT: 0
; COMPUTE_PGM_RSRC3_GFX90A:ACCUM_OFFSET: 0
; COMPUTE_PGM_RSRC3_GFX90A:TG_SPLIT: 0
	.section	.text._ZN7rocprim17ROCPRIM_400000_NS6detail30init_device_scan_by_key_kernelINS1_19lookback_scan_stateINS0_5tupleIJibEEELb1ELb1EEEN6thrust23THRUST_200600_302600_NS16reverse_iteratorIPKiEEjNS1_16block_id_wrapperIjLb0EEEEEvT_jjPNSF_10value_typeET0_PNSt15iterator_traitsISI_E10value_typeEmT1_T2_,"axG",@progbits,_ZN7rocprim17ROCPRIM_400000_NS6detail30init_device_scan_by_key_kernelINS1_19lookback_scan_stateINS0_5tupleIJibEEELb1ELb1EEEN6thrust23THRUST_200600_302600_NS16reverse_iteratorIPKiEEjNS1_16block_id_wrapperIjLb0EEEEEvT_jjPNSF_10value_typeET0_PNSt15iterator_traitsISI_E10value_typeEmT1_T2_,comdat
	.protected	_ZN7rocprim17ROCPRIM_400000_NS6detail30init_device_scan_by_key_kernelINS1_19lookback_scan_stateINS0_5tupleIJibEEELb1ELb1EEEN6thrust23THRUST_200600_302600_NS16reverse_iteratorIPKiEEjNS1_16block_id_wrapperIjLb0EEEEEvT_jjPNSF_10value_typeET0_PNSt15iterator_traitsISI_E10value_typeEmT1_T2_ ; -- Begin function _ZN7rocprim17ROCPRIM_400000_NS6detail30init_device_scan_by_key_kernelINS1_19lookback_scan_stateINS0_5tupleIJibEEELb1ELb1EEEN6thrust23THRUST_200600_302600_NS16reverse_iteratorIPKiEEjNS1_16block_id_wrapperIjLb0EEEEEvT_jjPNSF_10value_typeET0_PNSt15iterator_traitsISI_E10value_typeEmT1_T2_
	.globl	_ZN7rocprim17ROCPRIM_400000_NS6detail30init_device_scan_by_key_kernelINS1_19lookback_scan_stateINS0_5tupleIJibEEELb1ELb1EEEN6thrust23THRUST_200600_302600_NS16reverse_iteratorIPKiEEjNS1_16block_id_wrapperIjLb0EEEEEvT_jjPNSF_10value_typeET0_PNSt15iterator_traitsISI_E10value_typeEmT1_T2_
	.p2align	8
	.type	_ZN7rocprim17ROCPRIM_400000_NS6detail30init_device_scan_by_key_kernelINS1_19lookback_scan_stateINS0_5tupleIJibEEELb1ELb1EEEN6thrust23THRUST_200600_302600_NS16reverse_iteratorIPKiEEjNS1_16block_id_wrapperIjLb0EEEEEvT_jjPNSF_10value_typeET0_PNSt15iterator_traitsISI_E10value_typeEmT1_T2_,@function
_ZN7rocprim17ROCPRIM_400000_NS6detail30init_device_scan_by_key_kernelINS1_19lookback_scan_stateINS0_5tupleIJibEEELb1ELb1EEEN6thrust23THRUST_200600_302600_NS16reverse_iteratorIPKiEEjNS1_16block_id_wrapperIjLb0EEEEEvT_jjPNSF_10value_typeET0_PNSt15iterator_traitsISI_E10value_typeEmT1_T2_: ; @_ZN7rocprim17ROCPRIM_400000_NS6detail30init_device_scan_by_key_kernelINS1_19lookback_scan_stateINS0_5tupleIJibEEELb1ELb1EEEN6thrust23THRUST_200600_302600_NS16reverse_iteratorIPKiEEjNS1_16block_id_wrapperIjLb0EEEEEvT_jjPNSF_10value_typeET0_PNSt15iterator_traitsISI_E10value_typeEmT1_T2_
; %bb.0:
	s_load_dword s3, s[0:1], 0x44
	s_load_dwordx8 s[4:11], s[0:1], 0x0
	s_load_dword s18, s[0:1], 0x38
	s_waitcnt lgkmcnt(0)
	s_and_b32 s19, s3, 0xffff
	s_mul_i32 s2, s2, s19
	s_cmp_eq_u64 s[8:9], 0
	v_add_u32_e32 v4, s2, v0
	s_cbranch_scc1 .LBB72_10
; %bb.1:
	s_cmp_lt_u32 s7, s6
	s_cselect_b32 s2, s7, 0
	s_mov_b32 s13, 0
	v_cmp_eq_u32_e32 vcc, s2, v4
	s_and_saveexec_b64 s[2:3], vcc
	s_cbranch_execz .LBB72_9
; %bb.2:
	s_add_i32 s12, s7, 64
	s_lshl_b64 s[12:13], s[12:13], 4
	s_add_u32 s16, s4, s12
	s_addc_u32 s17, s5, s13
	v_mov_b64_e32 v[0:1], s[16:17]
	;;#ASMSTART
	global_load_dwordx4 v[0:3], v[0:1] off sc1	
s_waitcnt vmcnt(0)
	;;#ASMEND
	v_mov_b32_e32 v7, 0
	v_and_b32_e32 v6, 0xff, v2
	s_mov_b64 s[14:15], 0
	v_cmp_eq_u64_e32 vcc, 0, v[6:7]
	s_and_saveexec_b64 s[12:13], vcc
	s_cbranch_execz .LBB72_8
; %bb.3:
	s_mov_b32 s7, 1
	v_mov_b64_e32 v[8:9], s[16:17]
.LBB72_4:                               ; =>This Loop Header: Depth=1
                                        ;     Child Loop BB72_5 Depth 2
	s_mov_b32 s16, s7
.LBB72_5:                               ;   Parent Loop BB72_4 Depth=1
                                        ; =>  This Inner Loop Header: Depth=2
	s_add_i32 s16, s16, -1
	s_cmp_eq_u32 s16, 0
	s_sleep 1
	s_cbranch_scc0 .LBB72_5
; %bb.6:                                ;   in Loop: Header=BB72_4 Depth=1
	s_cmp_lt_u32 s7, 32
	s_cselect_b64 s[16:17], -1, 0
	s_cmp_lg_u64 s[16:17], 0
	;;#ASMSTART
	global_load_dwordx4 v[0:3], v[8:9] off sc1	
s_waitcnt vmcnt(0)
	;;#ASMEND
	s_addc_u32 s7, s7, 0
	v_and_b32_e32 v6, 0xff, v2
	v_cmp_ne_u64_e32 vcc, 0, v[6:7]
	s_or_b64 s[14:15], vcc, s[14:15]
	s_andn2_b64 exec, exec, s[14:15]
	s_cbranch_execnz .LBB72_4
; %bb.7:
	s_or_b64 exec, exec, s[14:15]
.LBB72_8:
	s_or_b64 exec, exec, s[12:13]
	v_mov_b32_e32 v2, 0
	global_store_dword v2, v0, s[8:9]
	global_store_byte v2, v1, s[8:9] offset:4
.LBB72_9:
	s_or_b64 exec, exec, s[2:3]
.LBB72_10:
	v_cmp_gt_u32_e32 vcc, s6, v4
	s_and_saveexec_b64 s[2:3], vcc
	s_cbranch_execz .LBB72_12
; %bb.11:
	v_add_u32_e32 v0, 64, v4
	v_mov_b32_e32 v1, 0
	v_lshl_add_u64 v[6:7], v[0:1], 4, s[4:5]
	v_mov_b32_e32 v0, v1
	v_mov_b32_e32 v2, v1
	;; [unrolled: 1-line block ×3, first 2 shown]
	global_store_dwordx4 v[6:7], v[0:3], off
.LBB72_12:
	s_or_b64 exec, exec, s[2:3]
	v_cmp_gt_u32_e32 vcc, 64, v4
	v_mov_b32_e32 v5, 0
	s_and_saveexec_b64 s[2:3], vcc
	s_cbranch_execz .LBB72_14
; %bb.13:
	v_lshl_add_u64 v[6:7], v[4:5], 4, s[4:5]
	v_mov_b32_e32 v2, 0xff
	v_mov_b32_e32 v0, v5
	v_mov_b32_e32 v1, v5
	v_mov_b32_e32 v3, v5
	global_store_dwordx4 v[6:7], v[0:3], off
.LBB72_14:
	s_or_b64 exec, exec, s[2:3]
	s_load_dwordx2 s[2:3], s[0:1], 0x28
	s_waitcnt lgkmcnt(0)
	v_cmp_gt_u64_e32 vcc, s[2:3], v[4:5]
	s_and_saveexec_b64 s[4:5], vcc
	s_cbranch_execz .LBB72_17
; %bb.15:
	s_load_dword s6, s[0:1], 0x30
	s_load_dwordx2 s[8:9], s[0:1], 0x20
	v_mov_b32_e32 v3, 0
	s_mul_i32 s0, s18, s19
	v_mov_b32_e32 v0, s10
	s_waitcnt lgkmcnt(0)
	s_add_i32 s4, s6, -1
	v_mov_b32_e32 v2, s4
	v_mad_u64_u32 v[2:3], s[4:5], s6, v4, v[2:3]
	s_mul_hi_u32 s5, s6, s0
	s_mul_i32 s4, s6, s0
	s_lshl_b64 s[6:7], s[4:5], 2
	v_mov_b32_e32 v1, s11
	s_mov_b32 s1, 0
	v_not_b32_e32 v3, v3
	v_not_b32_e32 v2, v2
	s_sub_u32 s6, 0, s6
	v_lshl_add_u64 v[0:1], v[2:3], 2, v[0:1]
	s_mov_b64 s[4:5], 0
	s_subb_u32 s7, 0, s7
	v_lshl_add_u64 v[2:3], v[4:5], 2, s[8:9]
	s_lshl_b64 s[8:9], s[0:1], 2
.LBB72_16:                              ; =>This Inner Loop Header: Depth=1
	global_load_dword v6, v[0:1], off
	v_lshl_add_u64 v[4:5], v[4:5], 0, s[0:1]
	v_cmp_le_u64_e32 vcc, s[2:3], v[4:5]
	v_lshl_add_u64 v[0:1], v[0:1], 0, s[6:7]
	s_or_b64 s[4:5], vcc, s[4:5]
	s_waitcnt vmcnt(0)
	global_store_dword v[2:3], v6, off
	v_lshl_add_u64 v[2:3], v[2:3], 0, s[8:9]
	s_andn2_b64 exec, exec, s[4:5]
	s_cbranch_execnz .LBB72_16
.LBB72_17:
	s_endpgm
	.section	.rodata,"a",@progbits
	.p2align	6, 0x0
	.amdhsa_kernel _ZN7rocprim17ROCPRIM_400000_NS6detail30init_device_scan_by_key_kernelINS1_19lookback_scan_stateINS0_5tupleIJibEEELb1ELb1EEEN6thrust23THRUST_200600_302600_NS16reverse_iteratorIPKiEEjNS1_16block_id_wrapperIjLb0EEEEEvT_jjPNSF_10value_typeET0_PNSt15iterator_traitsISI_E10value_typeEmT1_T2_
		.amdhsa_group_segment_fixed_size 0
		.amdhsa_private_segment_fixed_size 0
		.amdhsa_kernarg_size 312
		.amdhsa_user_sgpr_count 2
		.amdhsa_user_sgpr_dispatch_ptr 0
		.amdhsa_user_sgpr_queue_ptr 0
		.amdhsa_user_sgpr_kernarg_segment_ptr 1
		.amdhsa_user_sgpr_dispatch_id 0
		.amdhsa_user_sgpr_kernarg_preload_length 0
		.amdhsa_user_sgpr_kernarg_preload_offset 0
		.amdhsa_user_sgpr_private_segment_size 0
		.amdhsa_uses_dynamic_stack 0
		.amdhsa_enable_private_segment 0
		.amdhsa_system_sgpr_workgroup_id_x 1
		.amdhsa_system_sgpr_workgroup_id_y 0
		.amdhsa_system_sgpr_workgroup_id_z 0
		.amdhsa_system_sgpr_workgroup_info 0
		.amdhsa_system_vgpr_workitem_id 0
		.amdhsa_next_free_vgpr 10
		.amdhsa_next_free_sgpr 20
		.amdhsa_accum_offset 12
		.amdhsa_reserve_vcc 1
		.amdhsa_float_round_mode_32 0
		.amdhsa_float_round_mode_16_64 0
		.amdhsa_float_denorm_mode_32 3
		.amdhsa_float_denorm_mode_16_64 3
		.amdhsa_dx10_clamp 1
		.amdhsa_ieee_mode 1
		.amdhsa_fp16_overflow 0
		.amdhsa_tg_split 0
		.amdhsa_exception_fp_ieee_invalid_op 0
		.amdhsa_exception_fp_denorm_src 0
		.amdhsa_exception_fp_ieee_div_zero 0
		.amdhsa_exception_fp_ieee_overflow 0
		.amdhsa_exception_fp_ieee_underflow 0
		.amdhsa_exception_fp_ieee_inexact 0
		.amdhsa_exception_int_div_zero 0
	.end_amdhsa_kernel
	.section	.text._ZN7rocprim17ROCPRIM_400000_NS6detail30init_device_scan_by_key_kernelINS1_19lookback_scan_stateINS0_5tupleIJibEEELb1ELb1EEEN6thrust23THRUST_200600_302600_NS16reverse_iteratorIPKiEEjNS1_16block_id_wrapperIjLb0EEEEEvT_jjPNSF_10value_typeET0_PNSt15iterator_traitsISI_E10value_typeEmT1_T2_,"axG",@progbits,_ZN7rocprim17ROCPRIM_400000_NS6detail30init_device_scan_by_key_kernelINS1_19lookback_scan_stateINS0_5tupleIJibEEELb1ELb1EEEN6thrust23THRUST_200600_302600_NS16reverse_iteratorIPKiEEjNS1_16block_id_wrapperIjLb0EEEEEvT_jjPNSF_10value_typeET0_PNSt15iterator_traitsISI_E10value_typeEmT1_T2_,comdat
.Lfunc_end72:
	.size	_ZN7rocprim17ROCPRIM_400000_NS6detail30init_device_scan_by_key_kernelINS1_19lookback_scan_stateINS0_5tupleIJibEEELb1ELb1EEEN6thrust23THRUST_200600_302600_NS16reverse_iteratorIPKiEEjNS1_16block_id_wrapperIjLb0EEEEEvT_jjPNSF_10value_typeET0_PNSt15iterator_traitsISI_E10value_typeEmT1_T2_, .Lfunc_end72-_ZN7rocprim17ROCPRIM_400000_NS6detail30init_device_scan_by_key_kernelINS1_19lookback_scan_stateINS0_5tupleIJibEEELb1ELb1EEEN6thrust23THRUST_200600_302600_NS16reverse_iteratorIPKiEEjNS1_16block_id_wrapperIjLb0EEEEEvT_jjPNSF_10value_typeET0_PNSt15iterator_traitsISI_E10value_typeEmT1_T2_
                                        ; -- End function
	.set _ZN7rocprim17ROCPRIM_400000_NS6detail30init_device_scan_by_key_kernelINS1_19lookback_scan_stateINS0_5tupleIJibEEELb1ELb1EEEN6thrust23THRUST_200600_302600_NS16reverse_iteratorIPKiEEjNS1_16block_id_wrapperIjLb0EEEEEvT_jjPNSF_10value_typeET0_PNSt15iterator_traitsISI_E10value_typeEmT1_T2_.num_vgpr, 10
	.set _ZN7rocprim17ROCPRIM_400000_NS6detail30init_device_scan_by_key_kernelINS1_19lookback_scan_stateINS0_5tupleIJibEEELb1ELb1EEEN6thrust23THRUST_200600_302600_NS16reverse_iteratorIPKiEEjNS1_16block_id_wrapperIjLb0EEEEEvT_jjPNSF_10value_typeET0_PNSt15iterator_traitsISI_E10value_typeEmT1_T2_.num_agpr, 0
	.set _ZN7rocprim17ROCPRIM_400000_NS6detail30init_device_scan_by_key_kernelINS1_19lookback_scan_stateINS0_5tupleIJibEEELb1ELb1EEEN6thrust23THRUST_200600_302600_NS16reverse_iteratorIPKiEEjNS1_16block_id_wrapperIjLb0EEEEEvT_jjPNSF_10value_typeET0_PNSt15iterator_traitsISI_E10value_typeEmT1_T2_.numbered_sgpr, 20
	.set _ZN7rocprim17ROCPRIM_400000_NS6detail30init_device_scan_by_key_kernelINS1_19lookback_scan_stateINS0_5tupleIJibEEELb1ELb1EEEN6thrust23THRUST_200600_302600_NS16reverse_iteratorIPKiEEjNS1_16block_id_wrapperIjLb0EEEEEvT_jjPNSF_10value_typeET0_PNSt15iterator_traitsISI_E10value_typeEmT1_T2_.num_named_barrier, 0
	.set _ZN7rocprim17ROCPRIM_400000_NS6detail30init_device_scan_by_key_kernelINS1_19lookback_scan_stateINS0_5tupleIJibEEELb1ELb1EEEN6thrust23THRUST_200600_302600_NS16reverse_iteratorIPKiEEjNS1_16block_id_wrapperIjLb0EEEEEvT_jjPNSF_10value_typeET0_PNSt15iterator_traitsISI_E10value_typeEmT1_T2_.private_seg_size, 0
	.set _ZN7rocprim17ROCPRIM_400000_NS6detail30init_device_scan_by_key_kernelINS1_19lookback_scan_stateINS0_5tupleIJibEEELb1ELb1EEEN6thrust23THRUST_200600_302600_NS16reverse_iteratorIPKiEEjNS1_16block_id_wrapperIjLb0EEEEEvT_jjPNSF_10value_typeET0_PNSt15iterator_traitsISI_E10value_typeEmT1_T2_.uses_vcc, 1
	.set _ZN7rocprim17ROCPRIM_400000_NS6detail30init_device_scan_by_key_kernelINS1_19lookback_scan_stateINS0_5tupleIJibEEELb1ELb1EEEN6thrust23THRUST_200600_302600_NS16reverse_iteratorIPKiEEjNS1_16block_id_wrapperIjLb0EEEEEvT_jjPNSF_10value_typeET0_PNSt15iterator_traitsISI_E10value_typeEmT1_T2_.uses_flat_scratch, 0
	.set _ZN7rocprim17ROCPRIM_400000_NS6detail30init_device_scan_by_key_kernelINS1_19lookback_scan_stateINS0_5tupleIJibEEELb1ELb1EEEN6thrust23THRUST_200600_302600_NS16reverse_iteratorIPKiEEjNS1_16block_id_wrapperIjLb0EEEEEvT_jjPNSF_10value_typeET0_PNSt15iterator_traitsISI_E10value_typeEmT1_T2_.has_dyn_sized_stack, 0
	.set _ZN7rocprim17ROCPRIM_400000_NS6detail30init_device_scan_by_key_kernelINS1_19lookback_scan_stateINS0_5tupleIJibEEELb1ELb1EEEN6thrust23THRUST_200600_302600_NS16reverse_iteratorIPKiEEjNS1_16block_id_wrapperIjLb0EEEEEvT_jjPNSF_10value_typeET0_PNSt15iterator_traitsISI_E10value_typeEmT1_T2_.has_recursion, 0
	.set _ZN7rocprim17ROCPRIM_400000_NS6detail30init_device_scan_by_key_kernelINS1_19lookback_scan_stateINS0_5tupleIJibEEELb1ELb1EEEN6thrust23THRUST_200600_302600_NS16reverse_iteratorIPKiEEjNS1_16block_id_wrapperIjLb0EEEEEvT_jjPNSF_10value_typeET0_PNSt15iterator_traitsISI_E10value_typeEmT1_T2_.has_indirect_call, 0
	.section	.AMDGPU.csdata,"",@progbits
; Kernel info:
; codeLenInByte = 592
; TotalNumSgprs: 26
; NumVgprs: 10
; NumAgprs: 0
; TotalNumVgprs: 10
; ScratchSize: 0
; MemoryBound: 0
; FloatMode: 240
; IeeeMode: 1
; LDSByteSize: 0 bytes/workgroup (compile time only)
; SGPRBlocks: 3
; VGPRBlocks: 1
; NumSGPRsForWavesPerEU: 26
; NumVGPRsForWavesPerEU: 10
; AccumOffset: 12
; Occupancy: 8
; WaveLimiterHint : 0
; COMPUTE_PGM_RSRC2:SCRATCH_EN: 0
; COMPUTE_PGM_RSRC2:USER_SGPR: 2
; COMPUTE_PGM_RSRC2:TRAP_HANDLER: 0
; COMPUTE_PGM_RSRC2:TGID_X_EN: 1
; COMPUTE_PGM_RSRC2:TGID_Y_EN: 0
; COMPUTE_PGM_RSRC2:TGID_Z_EN: 0
; COMPUTE_PGM_RSRC2:TIDIG_COMP_CNT: 0
; COMPUTE_PGM_RSRC3_GFX90A:ACCUM_OFFSET: 2
; COMPUTE_PGM_RSRC3_GFX90A:TG_SPLIT: 0
	.section	.text._ZN7rocprim17ROCPRIM_400000_NS6detail17trampoline_kernelINS0_14default_configENS1_27scan_by_key_config_selectorIiiEEZZNS1_16scan_by_key_implILNS1_25lookback_scan_determinismE0ELb0ES3_N6thrust23THRUST_200600_302600_NS16reverse_iteratorIPKiEESD_NSA_IPiEEiN6hipcub16HIPCUB_304000_NS3MaxENSH_8EqualityEiEE10hipError_tPvRmT2_T3_T4_T5_mT6_T7_P12ihipStream_tbENKUlT_T0_E_clISt17integral_constantIbLb1EESZ_IbLb0EEEEDaSV_SW_EUlSV_E_NS1_11comp_targetILNS1_3genE0ELNS1_11target_archE4294967295ELNS1_3gpuE0ELNS1_3repE0EEENS1_30default_config_static_selectorELNS0_4arch9wavefront6targetE1EEEvT1_,"axG",@progbits,_ZN7rocprim17ROCPRIM_400000_NS6detail17trampoline_kernelINS0_14default_configENS1_27scan_by_key_config_selectorIiiEEZZNS1_16scan_by_key_implILNS1_25lookback_scan_determinismE0ELb0ES3_N6thrust23THRUST_200600_302600_NS16reverse_iteratorIPKiEESD_NSA_IPiEEiN6hipcub16HIPCUB_304000_NS3MaxENSH_8EqualityEiEE10hipError_tPvRmT2_T3_T4_T5_mT6_T7_P12ihipStream_tbENKUlT_T0_E_clISt17integral_constantIbLb1EESZ_IbLb0EEEEDaSV_SW_EUlSV_E_NS1_11comp_targetILNS1_3genE0ELNS1_11target_archE4294967295ELNS1_3gpuE0ELNS1_3repE0EEENS1_30default_config_static_selectorELNS0_4arch9wavefront6targetE1EEEvT1_,comdat
	.protected	_ZN7rocprim17ROCPRIM_400000_NS6detail17trampoline_kernelINS0_14default_configENS1_27scan_by_key_config_selectorIiiEEZZNS1_16scan_by_key_implILNS1_25lookback_scan_determinismE0ELb0ES3_N6thrust23THRUST_200600_302600_NS16reverse_iteratorIPKiEESD_NSA_IPiEEiN6hipcub16HIPCUB_304000_NS3MaxENSH_8EqualityEiEE10hipError_tPvRmT2_T3_T4_T5_mT6_T7_P12ihipStream_tbENKUlT_T0_E_clISt17integral_constantIbLb1EESZ_IbLb0EEEEDaSV_SW_EUlSV_E_NS1_11comp_targetILNS1_3genE0ELNS1_11target_archE4294967295ELNS1_3gpuE0ELNS1_3repE0EEENS1_30default_config_static_selectorELNS0_4arch9wavefront6targetE1EEEvT1_ ; -- Begin function _ZN7rocprim17ROCPRIM_400000_NS6detail17trampoline_kernelINS0_14default_configENS1_27scan_by_key_config_selectorIiiEEZZNS1_16scan_by_key_implILNS1_25lookback_scan_determinismE0ELb0ES3_N6thrust23THRUST_200600_302600_NS16reverse_iteratorIPKiEESD_NSA_IPiEEiN6hipcub16HIPCUB_304000_NS3MaxENSH_8EqualityEiEE10hipError_tPvRmT2_T3_T4_T5_mT6_T7_P12ihipStream_tbENKUlT_T0_E_clISt17integral_constantIbLb1EESZ_IbLb0EEEEDaSV_SW_EUlSV_E_NS1_11comp_targetILNS1_3genE0ELNS1_11target_archE4294967295ELNS1_3gpuE0ELNS1_3repE0EEENS1_30default_config_static_selectorELNS0_4arch9wavefront6targetE1EEEvT1_
	.globl	_ZN7rocprim17ROCPRIM_400000_NS6detail17trampoline_kernelINS0_14default_configENS1_27scan_by_key_config_selectorIiiEEZZNS1_16scan_by_key_implILNS1_25lookback_scan_determinismE0ELb0ES3_N6thrust23THRUST_200600_302600_NS16reverse_iteratorIPKiEESD_NSA_IPiEEiN6hipcub16HIPCUB_304000_NS3MaxENSH_8EqualityEiEE10hipError_tPvRmT2_T3_T4_T5_mT6_T7_P12ihipStream_tbENKUlT_T0_E_clISt17integral_constantIbLb1EESZ_IbLb0EEEEDaSV_SW_EUlSV_E_NS1_11comp_targetILNS1_3genE0ELNS1_11target_archE4294967295ELNS1_3gpuE0ELNS1_3repE0EEENS1_30default_config_static_selectorELNS0_4arch9wavefront6targetE1EEEvT1_
	.p2align	8
	.type	_ZN7rocprim17ROCPRIM_400000_NS6detail17trampoline_kernelINS0_14default_configENS1_27scan_by_key_config_selectorIiiEEZZNS1_16scan_by_key_implILNS1_25lookback_scan_determinismE0ELb0ES3_N6thrust23THRUST_200600_302600_NS16reverse_iteratorIPKiEESD_NSA_IPiEEiN6hipcub16HIPCUB_304000_NS3MaxENSH_8EqualityEiEE10hipError_tPvRmT2_T3_T4_T5_mT6_T7_P12ihipStream_tbENKUlT_T0_E_clISt17integral_constantIbLb1EESZ_IbLb0EEEEDaSV_SW_EUlSV_E_NS1_11comp_targetILNS1_3genE0ELNS1_11target_archE4294967295ELNS1_3gpuE0ELNS1_3repE0EEENS1_30default_config_static_selectorELNS0_4arch9wavefront6targetE1EEEvT1_,@function
_ZN7rocprim17ROCPRIM_400000_NS6detail17trampoline_kernelINS0_14default_configENS1_27scan_by_key_config_selectorIiiEEZZNS1_16scan_by_key_implILNS1_25lookback_scan_determinismE0ELb0ES3_N6thrust23THRUST_200600_302600_NS16reverse_iteratorIPKiEESD_NSA_IPiEEiN6hipcub16HIPCUB_304000_NS3MaxENSH_8EqualityEiEE10hipError_tPvRmT2_T3_T4_T5_mT6_T7_P12ihipStream_tbENKUlT_T0_E_clISt17integral_constantIbLb1EESZ_IbLb0EEEEDaSV_SW_EUlSV_E_NS1_11comp_targetILNS1_3genE0ELNS1_11target_archE4294967295ELNS1_3gpuE0ELNS1_3repE0EEENS1_30default_config_static_selectorELNS0_4arch9wavefront6targetE1EEEvT1_: ; @_ZN7rocprim17ROCPRIM_400000_NS6detail17trampoline_kernelINS0_14default_configENS1_27scan_by_key_config_selectorIiiEEZZNS1_16scan_by_key_implILNS1_25lookback_scan_determinismE0ELb0ES3_N6thrust23THRUST_200600_302600_NS16reverse_iteratorIPKiEESD_NSA_IPiEEiN6hipcub16HIPCUB_304000_NS3MaxENSH_8EqualityEiEE10hipError_tPvRmT2_T3_T4_T5_mT6_T7_P12ihipStream_tbENKUlT_T0_E_clISt17integral_constantIbLb1EESZ_IbLb0EEEEDaSV_SW_EUlSV_E_NS1_11comp_targetILNS1_3genE0ELNS1_11target_archE4294967295ELNS1_3gpuE0ELNS1_3repE0EEENS1_30default_config_static_selectorELNS0_4arch9wavefront6targetE1EEEvT1_
; %bb.0:
	s_endpgm
	.section	.rodata,"a",@progbits
	.p2align	6, 0x0
	.amdhsa_kernel _ZN7rocprim17ROCPRIM_400000_NS6detail17trampoline_kernelINS0_14default_configENS1_27scan_by_key_config_selectorIiiEEZZNS1_16scan_by_key_implILNS1_25lookback_scan_determinismE0ELb0ES3_N6thrust23THRUST_200600_302600_NS16reverse_iteratorIPKiEESD_NSA_IPiEEiN6hipcub16HIPCUB_304000_NS3MaxENSH_8EqualityEiEE10hipError_tPvRmT2_T3_T4_T5_mT6_T7_P12ihipStream_tbENKUlT_T0_E_clISt17integral_constantIbLb1EESZ_IbLb0EEEEDaSV_SW_EUlSV_E_NS1_11comp_targetILNS1_3genE0ELNS1_11target_archE4294967295ELNS1_3gpuE0ELNS1_3repE0EEENS1_30default_config_static_selectorELNS0_4arch9wavefront6targetE1EEEvT1_
		.amdhsa_group_segment_fixed_size 0
		.amdhsa_private_segment_fixed_size 0
		.amdhsa_kernarg_size 112
		.amdhsa_user_sgpr_count 2
		.amdhsa_user_sgpr_dispatch_ptr 0
		.amdhsa_user_sgpr_queue_ptr 0
		.amdhsa_user_sgpr_kernarg_segment_ptr 1
		.amdhsa_user_sgpr_dispatch_id 0
		.amdhsa_user_sgpr_kernarg_preload_length 0
		.amdhsa_user_sgpr_kernarg_preload_offset 0
		.amdhsa_user_sgpr_private_segment_size 0
		.amdhsa_uses_dynamic_stack 0
		.amdhsa_enable_private_segment 0
		.amdhsa_system_sgpr_workgroup_id_x 1
		.amdhsa_system_sgpr_workgroup_id_y 0
		.amdhsa_system_sgpr_workgroup_id_z 0
		.amdhsa_system_sgpr_workgroup_info 0
		.amdhsa_system_vgpr_workitem_id 0
		.amdhsa_next_free_vgpr 1
		.amdhsa_next_free_sgpr 0
		.amdhsa_accum_offset 4
		.amdhsa_reserve_vcc 0
		.amdhsa_float_round_mode_32 0
		.amdhsa_float_round_mode_16_64 0
		.amdhsa_float_denorm_mode_32 3
		.amdhsa_float_denorm_mode_16_64 3
		.amdhsa_dx10_clamp 1
		.amdhsa_ieee_mode 1
		.amdhsa_fp16_overflow 0
		.amdhsa_tg_split 0
		.amdhsa_exception_fp_ieee_invalid_op 0
		.amdhsa_exception_fp_denorm_src 0
		.amdhsa_exception_fp_ieee_div_zero 0
		.amdhsa_exception_fp_ieee_overflow 0
		.amdhsa_exception_fp_ieee_underflow 0
		.amdhsa_exception_fp_ieee_inexact 0
		.amdhsa_exception_int_div_zero 0
	.end_amdhsa_kernel
	.section	.text._ZN7rocprim17ROCPRIM_400000_NS6detail17trampoline_kernelINS0_14default_configENS1_27scan_by_key_config_selectorIiiEEZZNS1_16scan_by_key_implILNS1_25lookback_scan_determinismE0ELb0ES3_N6thrust23THRUST_200600_302600_NS16reverse_iteratorIPKiEESD_NSA_IPiEEiN6hipcub16HIPCUB_304000_NS3MaxENSH_8EqualityEiEE10hipError_tPvRmT2_T3_T4_T5_mT6_T7_P12ihipStream_tbENKUlT_T0_E_clISt17integral_constantIbLb1EESZ_IbLb0EEEEDaSV_SW_EUlSV_E_NS1_11comp_targetILNS1_3genE0ELNS1_11target_archE4294967295ELNS1_3gpuE0ELNS1_3repE0EEENS1_30default_config_static_selectorELNS0_4arch9wavefront6targetE1EEEvT1_,"axG",@progbits,_ZN7rocprim17ROCPRIM_400000_NS6detail17trampoline_kernelINS0_14default_configENS1_27scan_by_key_config_selectorIiiEEZZNS1_16scan_by_key_implILNS1_25lookback_scan_determinismE0ELb0ES3_N6thrust23THRUST_200600_302600_NS16reverse_iteratorIPKiEESD_NSA_IPiEEiN6hipcub16HIPCUB_304000_NS3MaxENSH_8EqualityEiEE10hipError_tPvRmT2_T3_T4_T5_mT6_T7_P12ihipStream_tbENKUlT_T0_E_clISt17integral_constantIbLb1EESZ_IbLb0EEEEDaSV_SW_EUlSV_E_NS1_11comp_targetILNS1_3genE0ELNS1_11target_archE4294967295ELNS1_3gpuE0ELNS1_3repE0EEENS1_30default_config_static_selectorELNS0_4arch9wavefront6targetE1EEEvT1_,comdat
.Lfunc_end73:
	.size	_ZN7rocprim17ROCPRIM_400000_NS6detail17trampoline_kernelINS0_14default_configENS1_27scan_by_key_config_selectorIiiEEZZNS1_16scan_by_key_implILNS1_25lookback_scan_determinismE0ELb0ES3_N6thrust23THRUST_200600_302600_NS16reverse_iteratorIPKiEESD_NSA_IPiEEiN6hipcub16HIPCUB_304000_NS3MaxENSH_8EqualityEiEE10hipError_tPvRmT2_T3_T4_T5_mT6_T7_P12ihipStream_tbENKUlT_T0_E_clISt17integral_constantIbLb1EESZ_IbLb0EEEEDaSV_SW_EUlSV_E_NS1_11comp_targetILNS1_3genE0ELNS1_11target_archE4294967295ELNS1_3gpuE0ELNS1_3repE0EEENS1_30default_config_static_selectorELNS0_4arch9wavefront6targetE1EEEvT1_, .Lfunc_end73-_ZN7rocprim17ROCPRIM_400000_NS6detail17trampoline_kernelINS0_14default_configENS1_27scan_by_key_config_selectorIiiEEZZNS1_16scan_by_key_implILNS1_25lookback_scan_determinismE0ELb0ES3_N6thrust23THRUST_200600_302600_NS16reverse_iteratorIPKiEESD_NSA_IPiEEiN6hipcub16HIPCUB_304000_NS3MaxENSH_8EqualityEiEE10hipError_tPvRmT2_T3_T4_T5_mT6_T7_P12ihipStream_tbENKUlT_T0_E_clISt17integral_constantIbLb1EESZ_IbLb0EEEEDaSV_SW_EUlSV_E_NS1_11comp_targetILNS1_3genE0ELNS1_11target_archE4294967295ELNS1_3gpuE0ELNS1_3repE0EEENS1_30default_config_static_selectorELNS0_4arch9wavefront6targetE1EEEvT1_
                                        ; -- End function
	.set _ZN7rocprim17ROCPRIM_400000_NS6detail17trampoline_kernelINS0_14default_configENS1_27scan_by_key_config_selectorIiiEEZZNS1_16scan_by_key_implILNS1_25lookback_scan_determinismE0ELb0ES3_N6thrust23THRUST_200600_302600_NS16reverse_iteratorIPKiEESD_NSA_IPiEEiN6hipcub16HIPCUB_304000_NS3MaxENSH_8EqualityEiEE10hipError_tPvRmT2_T3_T4_T5_mT6_T7_P12ihipStream_tbENKUlT_T0_E_clISt17integral_constantIbLb1EESZ_IbLb0EEEEDaSV_SW_EUlSV_E_NS1_11comp_targetILNS1_3genE0ELNS1_11target_archE4294967295ELNS1_3gpuE0ELNS1_3repE0EEENS1_30default_config_static_selectorELNS0_4arch9wavefront6targetE1EEEvT1_.num_vgpr, 0
	.set _ZN7rocprim17ROCPRIM_400000_NS6detail17trampoline_kernelINS0_14default_configENS1_27scan_by_key_config_selectorIiiEEZZNS1_16scan_by_key_implILNS1_25lookback_scan_determinismE0ELb0ES3_N6thrust23THRUST_200600_302600_NS16reverse_iteratorIPKiEESD_NSA_IPiEEiN6hipcub16HIPCUB_304000_NS3MaxENSH_8EqualityEiEE10hipError_tPvRmT2_T3_T4_T5_mT6_T7_P12ihipStream_tbENKUlT_T0_E_clISt17integral_constantIbLb1EESZ_IbLb0EEEEDaSV_SW_EUlSV_E_NS1_11comp_targetILNS1_3genE0ELNS1_11target_archE4294967295ELNS1_3gpuE0ELNS1_3repE0EEENS1_30default_config_static_selectorELNS0_4arch9wavefront6targetE1EEEvT1_.num_agpr, 0
	.set _ZN7rocprim17ROCPRIM_400000_NS6detail17trampoline_kernelINS0_14default_configENS1_27scan_by_key_config_selectorIiiEEZZNS1_16scan_by_key_implILNS1_25lookback_scan_determinismE0ELb0ES3_N6thrust23THRUST_200600_302600_NS16reverse_iteratorIPKiEESD_NSA_IPiEEiN6hipcub16HIPCUB_304000_NS3MaxENSH_8EqualityEiEE10hipError_tPvRmT2_T3_T4_T5_mT6_T7_P12ihipStream_tbENKUlT_T0_E_clISt17integral_constantIbLb1EESZ_IbLb0EEEEDaSV_SW_EUlSV_E_NS1_11comp_targetILNS1_3genE0ELNS1_11target_archE4294967295ELNS1_3gpuE0ELNS1_3repE0EEENS1_30default_config_static_selectorELNS0_4arch9wavefront6targetE1EEEvT1_.numbered_sgpr, 0
	.set _ZN7rocprim17ROCPRIM_400000_NS6detail17trampoline_kernelINS0_14default_configENS1_27scan_by_key_config_selectorIiiEEZZNS1_16scan_by_key_implILNS1_25lookback_scan_determinismE0ELb0ES3_N6thrust23THRUST_200600_302600_NS16reverse_iteratorIPKiEESD_NSA_IPiEEiN6hipcub16HIPCUB_304000_NS3MaxENSH_8EqualityEiEE10hipError_tPvRmT2_T3_T4_T5_mT6_T7_P12ihipStream_tbENKUlT_T0_E_clISt17integral_constantIbLb1EESZ_IbLb0EEEEDaSV_SW_EUlSV_E_NS1_11comp_targetILNS1_3genE0ELNS1_11target_archE4294967295ELNS1_3gpuE0ELNS1_3repE0EEENS1_30default_config_static_selectorELNS0_4arch9wavefront6targetE1EEEvT1_.num_named_barrier, 0
	.set _ZN7rocprim17ROCPRIM_400000_NS6detail17trampoline_kernelINS0_14default_configENS1_27scan_by_key_config_selectorIiiEEZZNS1_16scan_by_key_implILNS1_25lookback_scan_determinismE0ELb0ES3_N6thrust23THRUST_200600_302600_NS16reverse_iteratorIPKiEESD_NSA_IPiEEiN6hipcub16HIPCUB_304000_NS3MaxENSH_8EqualityEiEE10hipError_tPvRmT2_T3_T4_T5_mT6_T7_P12ihipStream_tbENKUlT_T0_E_clISt17integral_constantIbLb1EESZ_IbLb0EEEEDaSV_SW_EUlSV_E_NS1_11comp_targetILNS1_3genE0ELNS1_11target_archE4294967295ELNS1_3gpuE0ELNS1_3repE0EEENS1_30default_config_static_selectorELNS0_4arch9wavefront6targetE1EEEvT1_.private_seg_size, 0
	.set _ZN7rocprim17ROCPRIM_400000_NS6detail17trampoline_kernelINS0_14default_configENS1_27scan_by_key_config_selectorIiiEEZZNS1_16scan_by_key_implILNS1_25lookback_scan_determinismE0ELb0ES3_N6thrust23THRUST_200600_302600_NS16reverse_iteratorIPKiEESD_NSA_IPiEEiN6hipcub16HIPCUB_304000_NS3MaxENSH_8EqualityEiEE10hipError_tPvRmT2_T3_T4_T5_mT6_T7_P12ihipStream_tbENKUlT_T0_E_clISt17integral_constantIbLb1EESZ_IbLb0EEEEDaSV_SW_EUlSV_E_NS1_11comp_targetILNS1_3genE0ELNS1_11target_archE4294967295ELNS1_3gpuE0ELNS1_3repE0EEENS1_30default_config_static_selectorELNS0_4arch9wavefront6targetE1EEEvT1_.uses_vcc, 0
	.set _ZN7rocprim17ROCPRIM_400000_NS6detail17trampoline_kernelINS0_14default_configENS1_27scan_by_key_config_selectorIiiEEZZNS1_16scan_by_key_implILNS1_25lookback_scan_determinismE0ELb0ES3_N6thrust23THRUST_200600_302600_NS16reverse_iteratorIPKiEESD_NSA_IPiEEiN6hipcub16HIPCUB_304000_NS3MaxENSH_8EqualityEiEE10hipError_tPvRmT2_T3_T4_T5_mT6_T7_P12ihipStream_tbENKUlT_T0_E_clISt17integral_constantIbLb1EESZ_IbLb0EEEEDaSV_SW_EUlSV_E_NS1_11comp_targetILNS1_3genE0ELNS1_11target_archE4294967295ELNS1_3gpuE0ELNS1_3repE0EEENS1_30default_config_static_selectorELNS0_4arch9wavefront6targetE1EEEvT1_.uses_flat_scratch, 0
	.set _ZN7rocprim17ROCPRIM_400000_NS6detail17trampoline_kernelINS0_14default_configENS1_27scan_by_key_config_selectorIiiEEZZNS1_16scan_by_key_implILNS1_25lookback_scan_determinismE0ELb0ES3_N6thrust23THRUST_200600_302600_NS16reverse_iteratorIPKiEESD_NSA_IPiEEiN6hipcub16HIPCUB_304000_NS3MaxENSH_8EqualityEiEE10hipError_tPvRmT2_T3_T4_T5_mT6_T7_P12ihipStream_tbENKUlT_T0_E_clISt17integral_constantIbLb1EESZ_IbLb0EEEEDaSV_SW_EUlSV_E_NS1_11comp_targetILNS1_3genE0ELNS1_11target_archE4294967295ELNS1_3gpuE0ELNS1_3repE0EEENS1_30default_config_static_selectorELNS0_4arch9wavefront6targetE1EEEvT1_.has_dyn_sized_stack, 0
	.set _ZN7rocprim17ROCPRIM_400000_NS6detail17trampoline_kernelINS0_14default_configENS1_27scan_by_key_config_selectorIiiEEZZNS1_16scan_by_key_implILNS1_25lookback_scan_determinismE0ELb0ES3_N6thrust23THRUST_200600_302600_NS16reverse_iteratorIPKiEESD_NSA_IPiEEiN6hipcub16HIPCUB_304000_NS3MaxENSH_8EqualityEiEE10hipError_tPvRmT2_T3_T4_T5_mT6_T7_P12ihipStream_tbENKUlT_T0_E_clISt17integral_constantIbLb1EESZ_IbLb0EEEEDaSV_SW_EUlSV_E_NS1_11comp_targetILNS1_3genE0ELNS1_11target_archE4294967295ELNS1_3gpuE0ELNS1_3repE0EEENS1_30default_config_static_selectorELNS0_4arch9wavefront6targetE1EEEvT1_.has_recursion, 0
	.set _ZN7rocprim17ROCPRIM_400000_NS6detail17trampoline_kernelINS0_14default_configENS1_27scan_by_key_config_selectorIiiEEZZNS1_16scan_by_key_implILNS1_25lookback_scan_determinismE0ELb0ES3_N6thrust23THRUST_200600_302600_NS16reverse_iteratorIPKiEESD_NSA_IPiEEiN6hipcub16HIPCUB_304000_NS3MaxENSH_8EqualityEiEE10hipError_tPvRmT2_T3_T4_T5_mT6_T7_P12ihipStream_tbENKUlT_T0_E_clISt17integral_constantIbLb1EESZ_IbLb0EEEEDaSV_SW_EUlSV_E_NS1_11comp_targetILNS1_3genE0ELNS1_11target_archE4294967295ELNS1_3gpuE0ELNS1_3repE0EEENS1_30default_config_static_selectorELNS0_4arch9wavefront6targetE1EEEvT1_.has_indirect_call, 0
	.section	.AMDGPU.csdata,"",@progbits
; Kernel info:
; codeLenInByte = 4
; TotalNumSgprs: 6
; NumVgprs: 0
; NumAgprs: 0
; TotalNumVgprs: 0
; ScratchSize: 0
; MemoryBound: 0
; FloatMode: 240
; IeeeMode: 1
; LDSByteSize: 0 bytes/workgroup (compile time only)
; SGPRBlocks: 0
; VGPRBlocks: 0
; NumSGPRsForWavesPerEU: 6
; NumVGPRsForWavesPerEU: 1
; AccumOffset: 4
; Occupancy: 8
; WaveLimiterHint : 0
; COMPUTE_PGM_RSRC2:SCRATCH_EN: 0
; COMPUTE_PGM_RSRC2:USER_SGPR: 2
; COMPUTE_PGM_RSRC2:TRAP_HANDLER: 0
; COMPUTE_PGM_RSRC2:TGID_X_EN: 1
; COMPUTE_PGM_RSRC2:TGID_Y_EN: 0
; COMPUTE_PGM_RSRC2:TGID_Z_EN: 0
; COMPUTE_PGM_RSRC2:TIDIG_COMP_CNT: 0
; COMPUTE_PGM_RSRC3_GFX90A:ACCUM_OFFSET: 0
; COMPUTE_PGM_RSRC3_GFX90A:TG_SPLIT: 0
	.section	.text._ZN7rocprim17ROCPRIM_400000_NS6detail17trampoline_kernelINS0_14default_configENS1_27scan_by_key_config_selectorIiiEEZZNS1_16scan_by_key_implILNS1_25lookback_scan_determinismE0ELb0ES3_N6thrust23THRUST_200600_302600_NS16reverse_iteratorIPKiEESD_NSA_IPiEEiN6hipcub16HIPCUB_304000_NS3MaxENSH_8EqualityEiEE10hipError_tPvRmT2_T3_T4_T5_mT6_T7_P12ihipStream_tbENKUlT_T0_E_clISt17integral_constantIbLb1EESZ_IbLb0EEEEDaSV_SW_EUlSV_E_NS1_11comp_targetILNS1_3genE10ELNS1_11target_archE1201ELNS1_3gpuE5ELNS1_3repE0EEENS1_30default_config_static_selectorELNS0_4arch9wavefront6targetE1EEEvT1_,"axG",@progbits,_ZN7rocprim17ROCPRIM_400000_NS6detail17trampoline_kernelINS0_14default_configENS1_27scan_by_key_config_selectorIiiEEZZNS1_16scan_by_key_implILNS1_25lookback_scan_determinismE0ELb0ES3_N6thrust23THRUST_200600_302600_NS16reverse_iteratorIPKiEESD_NSA_IPiEEiN6hipcub16HIPCUB_304000_NS3MaxENSH_8EqualityEiEE10hipError_tPvRmT2_T3_T4_T5_mT6_T7_P12ihipStream_tbENKUlT_T0_E_clISt17integral_constantIbLb1EESZ_IbLb0EEEEDaSV_SW_EUlSV_E_NS1_11comp_targetILNS1_3genE10ELNS1_11target_archE1201ELNS1_3gpuE5ELNS1_3repE0EEENS1_30default_config_static_selectorELNS0_4arch9wavefront6targetE1EEEvT1_,comdat
	.protected	_ZN7rocprim17ROCPRIM_400000_NS6detail17trampoline_kernelINS0_14default_configENS1_27scan_by_key_config_selectorIiiEEZZNS1_16scan_by_key_implILNS1_25lookback_scan_determinismE0ELb0ES3_N6thrust23THRUST_200600_302600_NS16reverse_iteratorIPKiEESD_NSA_IPiEEiN6hipcub16HIPCUB_304000_NS3MaxENSH_8EqualityEiEE10hipError_tPvRmT2_T3_T4_T5_mT6_T7_P12ihipStream_tbENKUlT_T0_E_clISt17integral_constantIbLb1EESZ_IbLb0EEEEDaSV_SW_EUlSV_E_NS1_11comp_targetILNS1_3genE10ELNS1_11target_archE1201ELNS1_3gpuE5ELNS1_3repE0EEENS1_30default_config_static_selectorELNS0_4arch9wavefront6targetE1EEEvT1_ ; -- Begin function _ZN7rocprim17ROCPRIM_400000_NS6detail17trampoline_kernelINS0_14default_configENS1_27scan_by_key_config_selectorIiiEEZZNS1_16scan_by_key_implILNS1_25lookback_scan_determinismE0ELb0ES3_N6thrust23THRUST_200600_302600_NS16reverse_iteratorIPKiEESD_NSA_IPiEEiN6hipcub16HIPCUB_304000_NS3MaxENSH_8EqualityEiEE10hipError_tPvRmT2_T3_T4_T5_mT6_T7_P12ihipStream_tbENKUlT_T0_E_clISt17integral_constantIbLb1EESZ_IbLb0EEEEDaSV_SW_EUlSV_E_NS1_11comp_targetILNS1_3genE10ELNS1_11target_archE1201ELNS1_3gpuE5ELNS1_3repE0EEENS1_30default_config_static_selectorELNS0_4arch9wavefront6targetE1EEEvT1_
	.globl	_ZN7rocprim17ROCPRIM_400000_NS6detail17trampoline_kernelINS0_14default_configENS1_27scan_by_key_config_selectorIiiEEZZNS1_16scan_by_key_implILNS1_25lookback_scan_determinismE0ELb0ES3_N6thrust23THRUST_200600_302600_NS16reverse_iteratorIPKiEESD_NSA_IPiEEiN6hipcub16HIPCUB_304000_NS3MaxENSH_8EqualityEiEE10hipError_tPvRmT2_T3_T4_T5_mT6_T7_P12ihipStream_tbENKUlT_T0_E_clISt17integral_constantIbLb1EESZ_IbLb0EEEEDaSV_SW_EUlSV_E_NS1_11comp_targetILNS1_3genE10ELNS1_11target_archE1201ELNS1_3gpuE5ELNS1_3repE0EEENS1_30default_config_static_selectorELNS0_4arch9wavefront6targetE1EEEvT1_
	.p2align	8
	.type	_ZN7rocprim17ROCPRIM_400000_NS6detail17trampoline_kernelINS0_14default_configENS1_27scan_by_key_config_selectorIiiEEZZNS1_16scan_by_key_implILNS1_25lookback_scan_determinismE0ELb0ES3_N6thrust23THRUST_200600_302600_NS16reverse_iteratorIPKiEESD_NSA_IPiEEiN6hipcub16HIPCUB_304000_NS3MaxENSH_8EqualityEiEE10hipError_tPvRmT2_T3_T4_T5_mT6_T7_P12ihipStream_tbENKUlT_T0_E_clISt17integral_constantIbLb1EESZ_IbLb0EEEEDaSV_SW_EUlSV_E_NS1_11comp_targetILNS1_3genE10ELNS1_11target_archE1201ELNS1_3gpuE5ELNS1_3repE0EEENS1_30default_config_static_selectorELNS0_4arch9wavefront6targetE1EEEvT1_,@function
_ZN7rocprim17ROCPRIM_400000_NS6detail17trampoline_kernelINS0_14default_configENS1_27scan_by_key_config_selectorIiiEEZZNS1_16scan_by_key_implILNS1_25lookback_scan_determinismE0ELb0ES3_N6thrust23THRUST_200600_302600_NS16reverse_iteratorIPKiEESD_NSA_IPiEEiN6hipcub16HIPCUB_304000_NS3MaxENSH_8EqualityEiEE10hipError_tPvRmT2_T3_T4_T5_mT6_T7_P12ihipStream_tbENKUlT_T0_E_clISt17integral_constantIbLb1EESZ_IbLb0EEEEDaSV_SW_EUlSV_E_NS1_11comp_targetILNS1_3genE10ELNS1_11target_archE1201ELNS1_3gpuE5ELNS1_3repE0EEENS1_30default_config_static_selectorELNS0_4arch9wavefront6targetE1EEEvT1_: ; @_ZN7rocprim17ROCPRIM_400000_NS6detail17trampoline_kernelINS0_14default_configENS1_27scan_by_key_config_selectorIiiEEZZNS1_16scan_by_key_implILNS1_25lookback_scan_determinismE0ELb0ES3_N6thrust23THRUST_200600_302600_NS16reverse_iteratorIPKiEESD_NSA_IPiEEiN6hipcub16HIPCUB_304000_NS3MaxENSH_8EqualityEiEE10hipError_tPvRmT2_T3_T4_T5_mT6_T7_P12ihipStream_tbENKUlT_T0_E_clISt17integral_constantIbLb1EESZ_IbLb0EEEEDaSV_SW_EUlSV_E_NS1_11comp_targetILNS1_3genE10ELNS1_11target_archE1201ELNS1_3gpuE5ELNS1_3repE0EEENS1_30default_config_static_selectorELNS0_4arch9wavefront6targetE1EEEvT1_
; %bb.0:
	.section	.rodata,"a",@progbits
	.p2align	6, 0x0
	.amdhsa_kernel _ZN7rocprim17ROCPRIM_400000_NS6detail17trampoline_kernelINS0_14default_configENS1_27scan_by_key_config_selectorIiiEEZZNS1_16scan_by_key_implILNS1_25lookback_scan_determinismE0ELb0ES3_N6thrust23THRUST_200600_302600_NS16reverse_iteratorIPKiEESD_NSA_IPiEEiN6hipcub16HIPCUB_304000_NS3MaxENSH_8EqualityEiEE10hipError_tPvRmT2_T3_T4_T5_mT6_T7_P12ihipStream_tbENKUlT_T0_E_clISt17integral_constantIbLb1EESZ_IbLb0EEEEDaSV_SW_EUlSV_E_NS1_11comp_targetILNS1_3genE10ELNS1_11target_archE1201ELNS1_3gpuE5ELNS1_3repE0EEENS1_30default_config_static_selectorELNS0_4arch9wavefront6targetE1EEEvT1_
		.amdhsa_group_segment_fixed_size 0
		.amdhsa_private_segment_fixed_size 0
		.amdhsa_kernarg_size 112
		.amdhsa_user_sgpr_count 2
		.amdhsa_user_sgpr_dispatch_ptr 0
		.amdhsa_user_sgpr_queue_ptr 0
		.amdhsa_user_sgpr_kernarg_segment_ptr 1
		.amdhsa_user_sgpr_dispatch_id 0
		.amdhsa_user_sgpr_kernarg_preload_length 0
		.amdhsa_user_sgpr_kernarg_preload_offset 0
		.amdhsa_user_sgpr_private_segment_size 0
		.amdhsa_uses_dynamic_stack 0
		.amdhsa_enable_private_segment 0
		.amdhsa_system_sgpr_workgroup_id_x 1
		.amdhsa_system_sgpr_workgroup_id_y 0
		.amdhsa_system_sgpr_workgroup_id_z 0
		.amdhsa_system_sgpr_workgroup_info 0
		.amdhsa_system_vgpr_workitem_id 0
		.amdhsa_next_free_vgpr 1
		.amdhsa_next_free_sgpr 0
		.amdhsa_accum_offset 4
		.amdhsa_reserve_vcc 0
		.amdhsa_float_round_mode_32 0
		.amdhsa_float_round_mode_16_64 0
		.amdhsa_float_denorm_mode_32 3
		.amdhsa_float_denorm_mode_16_64 3
		.amdhsa_dx10_clamp 1
		.amdhsa_ieee_mode 1
		.amdhsa_fp16_overflow 0
		.amdhsa_tg_split 0
		.amdhsa_exception_fp_ieee_invalid_op 0
		.amdhsa_exception_fp_denorm_src 0
		.amdhsa_exception_fp_ieee_div_zero 0
		.amdhsa_exception_fp_ieee_overflow 0
		.amdhsa_exception_fp_ieee_underflow 0
		.amdhsa_exception_fp_ieee_inexact 0
		.amdhsa_exception_int_div_zero 0
	.end_amdhsa_kernel
	.section	.text._ZN7rocprim17ROCPRIM_400000_NS6detail17trampoline_kernelINS0_14default_configENS1_27scan_by_key_config_selectorIiiEEZZNS1_16scan_by_key_implILNS1_25lookback_scan_determinismE0ELb0ES3_N6thrust23THRUST_200600_302600_NS16reverse_iteratorIPKiEESD_NSA_IPiEEiN6hipcub16HIPCUB_304000_NS3MaxENSH_8EqualityEiEE10hipError_tPvRmT2_T3_T4_T5_mT6_T7_P12ihipStream_tbENKUlT_T0_E_clISt17integral_constantIbLb1EESZ_IbLb0EEEEDaSV_SW_EUlSV_E_NS1_11comp_targetILNS1_3genE10ELNS1_11target_archE1201ELNS1_3gpuE5ELNS1_3repE0EEENS1_30default_config_static_selectorELNS0_4arch9wavefront6targetE1EEEvT1_,"axG",@progbits,_ZN7rocprim17ROCPRIM_400000_NS6detail17trampoline_kernelINS0_14default_configENS1_27scan_by_key_config_selectorIiiEEZZNS1_16scan_by_key_implILNS1_25lookback_scan_determinismE0ELb0ES3_N6thrust23THRUST_200600_302600_NS16reverse_iteratorIPKiEESD_NSA_IPiEEiN6hipcub16HIPCUB_304000_NS3MaxENSH_8EqualityEiEE10hipError_tPvRmT2_T3_T4_T5_mT6_T7_P12ihipStream_tbENKUlT_T0_E_clISt17integral_constantIbLb1EESZ_IbLb0EEEEDaSV_SW_EUlSV_E_NS1_11comp_targetILNS1_3genE10ELNS1_11target_archE1201ELNS1_3gpuE5ELNS1_3repE0EEENS1_30default_config_static_selectorELNS0_4arch9wavefront6targetE1EEEvT1_,comdat
.Lfunc_end74:
	.size	_ZN7rocprim17ROCPRIM_400000_NS6detail17trampoline_kernelINS0_14default_configENS1_27scan_by_key_config_selectorIiiEEZZNS1_16scan_by_key_implILNS1_25lookback_scan_determinismE0ELb0ES3_N6thrust23THRUST_200600_302600_NS16reverse_iteratorIPKiEESD_NSA_IPiEEiN6hipcub16HIPCUB_304000_NS3MaxENSH_8EqualityEiEE10hipError_tPvRmT2_T3_T4_T5_mT6_T7_P12ihipStream_tbENKUlT_T0_E_clISt17integral_constantIbLb1EESZ_IbLb0EEEEDaSV_SW_EUlSV_E_NS1_11comp_targetILNS1_3genE10ELNS1_11target_archE1201ELNS1_3gpuE5ELNS1_3repE0EEENS1_30default_config_static_selectorELNS0_4arch9wavefront6targetE1EEEvT1_, .Lfunc_end74-_ZN7rocprim17ROCPRIM_400000_NS6detail17trampoline_kernelINS0_14default_configENS1_27scan_by_key_config_selectorIiiEEZZNS1_16scan_by_key_implILNS1_25lookback_scan_determinismE0ELb0ES3_N6thrust23THRUST_200600_302600_NS16reverse_iteratorIPKiEESD_NSA_IPiEEiN6hipcub16HIPCUB_304000_NS3MaxENSH_8EqualityEiEE10hipError_tPvRmT2_T3_T4_T5_mT6_T7_P12ihipStream_tbENKUlT_T0_E_clISt17integral_constantIbLb1EESZ_IbLb0EEEEDaSV_SW_EUlSV_E_NS1_11comp_targetILNS1_3genE10ELNS1_11target_archE1201ELNS1_3gpuE5ELNS1_3repE0EEENS1_30default_config_static_selectorELNS0_4arch9wavefront6targetE1EEEvT1_
                                        ; -- End function
	.set _ZN7rocprim17ROCPRIM_400000_NS6detail17trampoline_kernelINS0_14default_configENS1_27scan_by_key_config_selectorIiiEEZZNS1_16scan_by_key_implILNS1_25lookback_scan_determinismE0ELb0ES3_N6thrust23THRUST_200600_302600_NS16reverse_iteratorIPKiEESD_NSA_IPiEEiN6hipcub16HIPCUB_304000_NS3MaxENSH_8EqualityEiEE10hipError_tPvRmT2_T3_T4_T5_mT6_T7_P12ihipStream_tbENKUlT_T0_E_clISt17integral_constantIbLb1EESZ_IbLb0EEEEDaSV_SW_EUlSV_E_NS1_11comp_targetILNS1_3genE10ELNS1_11target_archE1201ELNS1_3gpuE5ELNS1_3repE0EEENS1_30default_config_static_selectorELNS0_4arch9wavefront6targetE1EEEvT1_.num_vgpr, 0
	.set _ZN7rocprim17ROCPRIM_400000_NS6detail17trampoline_kernelINS0_14default_configENS1_27scan_by_key_config_selectorIiiEEZZNS1_16scan_by_key_implILNS1_25lookback_scan_determinismE0ELb0ES3_N6thrust23THRUST_200600_302600_NS16reverse_iteratorIPKiEESD_NSA_IPiEEiN6hipcub16HIPCUB_304000_NS3MaxENSH_8EqualityEiEE10hipError_tPvRmT2_T3_T4_T5_mT6_T7_P12ihipStream_tbENKUlT_T0_E_clISt17integral_constantIbLb1EESZ_IbLb0EEEEDaSV_SW_EUlSV_E_NS1_11comp_targetILNS1_3genE10ELNS1_11target_archE1201ELNS1_3gpuE5ELNS1_3repE0EEENS1_30default_config_static_selectorELNS0_4arch9wavefront6targetE1EEEvT1_.num_agpr, 0
	.set _ZN7rocprim17ROCPRIM_400000_NS6detail17trampoline_kernelINS0_14default_configENS1_27scan_by_key_config_selectorIiiEEZZNS1_16scan_by_key_implILNS1_25lookback_scan_determinismE0ELb0ES3_N6thrust23THRUST_200600_302600_NS16reverse_iteratorIPKiEESD_NSA_IPiEEiN6hipcub16HIPCUB_304000_NS3MaxENSH_8EqualityEiEE10hipError_tPvRmT2_T3_T4_T5_mT6_T7_P12ihipStream_tbENKUlT_T0_E_clISt17integral_constantIbLb1EESZ_IbLb0EEEEDaSV_SW_EUlSV_E_NS1_11comp_targetILNS1_3genE10ELNS1_11target_archE1201ELNS1_3gpuE5ELNS1_3repE0EEENS1_30default_config_static_selectorELNS0_4arch9wavefront6targetE1EEEvT1_.numbered_sgpr, 0
	.set _ZN7rocprim17ROCPRIM_400000_NS6detail17trampoline_kernelINS0_14default_configENS1_27scan_by_key_config_selectorIiiEEZZNS1_16scan_by_key_implILNS1_25lookback_scan_determinismE0ELb0ES3_N6thrust23THRUST_200600_302600_NS16reverse_iteratorIPKiEESD_NSA_IPiEEiN6hipcub16HIPCUB_304000_NS3MaxENSH_8EqualityEiEE10hipError_tPvRmT2_T3_T4_T5_mT6_T7_P12ihipStream_tbENKUlT_T0_E_clISt17integral_constantIbLb1EESZ_IbLb0EEEEDaSV_SW_EUlSV_E_NS1_11comp_targetILNS1_3genE10ELNS1_11target_archE1201ELNS1_3gpuE5ELNS1_3repE0EEENS1_30default_config_static_selectorELNS0_4arch9wavefront6targetE1EEEvT1_.num_named_barrier, 0
	.set _ZN7rocprim17ROCPRIM_400000_NS6detail17trampoline_kernelINS0_14default_configENS1_27scan_by_key_config_selectorIiiEEZZNS1_16scan_by_key_implILNS1_25lookback_scan_determinismE0ELb0ES3_N6thrust23THRUST_200600_302600_NS16reverse_iteratorIPKiEESD_NSA_IPiEEiN6hipcub16HIPCUB_304000_NS3MaxENSH_8EqualityEiEE10hipError_tPvRmT2_T3_T4_T5_mT6_T7_P12ihipStream_tbENKUlT_T0_E_clISt17integral_constantIbLb1EESZ_IbLb0EEEEDaSV_SW_EUlSV_E_NS1_11comp_targetILNS1_3genE10ELNS1_11target_archE1201ELNS1_3gpuE5ELNS1_3repE0EEENS1_30default_config_static_selectorELNS0_4arch9wavefront6targetE1EEEvT1_.private_seg_size, 0
	.set _ZN7rocprim17ROCPRIM_400000_NS6detail17trampoline_kernelINS0_14default_configENS1_27scan_by_key_config_selectorIiiEEZZNS1_16scan_by_key_implILNS1_25lookback_scan_determinismE0ELb0ES3_N6thrust23THRUST_200600_302600_NS16reverse_iteratorIPKiEESD_NSA_IPiEEiN6hipcub16HIPCUB_304000_NS3MaxENSH_8EqualityEiEE10hipError_tPvRmT2_T3_T4_T5_mT6_T7_P12ihipStream_tbENKUlT_T0_E_clISt17integral_constantIbLb1EESZ_IbLb0EEEEDaSV_SW_EUlSV_E_NS1_11comp_targetILNS1_3genE10ELNS1_11target_archE1201ELNS1_3gpuE5ELNS1_3repE0EEENS1_30default_config_static_selectorELNS0_4arch9wavefront6targetE1EEEvT1_.uses_vcc, 0
	.set _ZN7rocprim17ROCPRIM_400000_NS6detail17trampoline_kernelINS0_14default_configENS1_27scan_by_key_config_selectorIiiEEZZNS1_16scan_by_key_implILNS1_25lookback_scan_determinismE0ELb0ES3_N6thrust23THRUST_200600_302600_NS16reverse_iteratorIPKiEESD_NSA_IPiEEiN6hipcub16HIPCUB_304000_NS3MaxENSH_8EqualityEiEE10hipError_tPvRmT2_T3_T4_T5_mT6_T7_P12ihipStream_tbENKUlT_T0_E_clISt17integral_constantIbLb1EESZ_IbLb0EEEEDaSV_SW_EUlSV_E_NS1_11comp_targetILNS1_3genE10ELNS1_11target_archE1201ELNS1_3gpuE5ELNS1_3repE0EEENS1_30default_config_static_selectorELNS0_4arch9wavefront6targetE1EEEvT1_.uses_flat_scratch, 0
	.set _ZN7rocprim17ROCPRIM_400000_NS6detail17trampoline_kernelINS0_14default_configENS1_27scan_by_key_config_selectorIiiEEZZNS1_16scan_by_key_implILNS1_25lookback_scan_determinismE0ELb0ES3_N6thrust23THRUST_200600_302600_NS16reverse_iteratorIPKiEESD_NSA_IPiEEiN6hipcub16HIPCUB_304000_NS3MaxENSH_8EqualityEiEE10hipError_tPvRmT2_T3_T4_T5_mT6_T7_P12ihipStream_tbENKUlT_T0_E_clISt17integral_constantIbLb1EESZ_IbLb0EEEEDaSV_SW_EUlSV_E_NS1_11comp_targetILNS1_3genE10ELNS1_11target_archE1201ELNS1_3gpuE5ELNS1_3repE0EEENS1_30default_config_static_selectorELNS0_4arch9wavefront6targetE1EEEvT1_.has_dyn_sized_stack, 0
	.set _ZN7rocprim17ROCPRIM_400000_NS6detail17trampoline_kernelINS0_14default_configENS1_27scan_by_key_config_selectorIiiEEZZNS1_16scan_by_key_implILNS1_25lookback_scan_determinismE0ELb0ES3_N6thrust23THRUST_200600_302600_NS16reverse_iteratorIPKiEESD_NSA_IPiEEiN6hipcub16HIPCUB_304000_NS3MaxENSH_8EqualityEiEE10hipError_tPvRmT2_T3_T4_T5_mT6_T7_P12ihipStream_tbENKUlT_T0_E_clISt17integral_constantIbLb1EESZ_IbLb0EEEEDaSV_SW_EUlSV_E_NS1_11comp_targetILNS1_3genE10ELNS1_11target_archE1201ELNS1_3gpuE5ELNS1_3repE0EEENS1_30default_config_static_selectorELNS0_4arch9wavefront6targetE1EEEvT1_.has_recursion, 0
	.set _ZN7rocprim17ROCPRIM_400000_NS6detail17trampoline_kernelINS0_14default_configENS1_27scan_by_key_config_selectorIiiEEZZNS1_16scan_by_key_implILNS1_25lookback_scan_determinismE0ELb0ES3_N6thrust23THRUST_200600_302600_NS16reverse_iteratorIPKiEESD_NSA_IPiEEiN6hipcub16HIPCUB_304000_NS3MaxENSH_8EqualityEiEE10hipError_tPvRmT2_T3_T4_T5_mT6_T7_P12ihipStream_tbENKUlT_T0_E_clISt17integral_constantIbLb1EESZ_IbLb0EEEEDaSV_SW_EUlSV_E_NS1_11comp_targetILNS1_3genE10ELNS1_11target_archE1201ELNS1_3gpuE5ELNS1_3repE0EEENS1_30default_config_static_selectorELNS0_4arch9wavefront6targetE1EEEvT1_.has_indirect_call, 0
	.section	.AMDGPU.csdata,"",@progbits
; Kernel info:
; codeLenInByte = 0
; TotalNumSgprs: 6
; NumVgprs: 0
; NumAgprs: 0
; TotalNumVgprs: 0
; ScratchSize: 0
; MemoryBound: 0
; FloatMode: 240
; IeeeMode: 1
; LDSByteSize: 0 bytes/workgroup (compile time only)
; SGPRBlocks: 0
; VGPRBlocks: 0
; NumSGPRsForWavesPerEU: 6
; NumVGPRsForWavesPerEU: 1
; AccumOffset: 4
; Occupancy: 8
; WaveLimiterHint : 0
; COMPUTE_PGM_RSRC2:SCRATCH_EN: 0
; COMPUTE_PGM_RSRC2:USER_SGPR: 2
; COMPUTE_PGM_RSRC2:TRAP_HANDLER: 0
; COMPUTE_PGM_RSRC2:TGID_X_EN: 1
; COMPUTE_PGM_RSRC2:TGID_Y_EN: 0
; COMPUTE_PGM_RSRC2:TGID_Z_EN: 0
; COMPUTE_PGM_RSRC2:TIDIG_COMP_CNT: 0
; COMPUTE_PGM_RSRC3_GFX90A:ACCUM_OFFSET: 0
; COMPUTE_PGM_RSRC3_GFX90A:TG_SPLIT: 0
	.section	.text._ZN7rocprim17ROCPRIM_400000_NS6detail17trampoline_kernelINS0_14default_configENS1_27scan_by_key_config_selectorIiiEEZZNS1_16scan_by_key_implILNS1_25lookback_scan_determinismE0ELb0ES3_N6thrust23THRUST_200600_302600_NS16reverse_iteratorIPKiEESD_NSA_IPiEEiN6hipcub16HIPCUB_304000_NS3MaxENSH_8EqualityEiEE10hipError_tPvRmT2_T3_T4_T5_mT6_T7_P12ihipStream_tbENKUlT_T0_E_clISt17integral_constantIbLb1EESZ_IbLb0EEEEDaSV_SW_EUlSV_E_NS1_11comp_targetILNS1_3genE5ELNS1_11target_archE942ELNS1_3gpuE9ELNS1_3repE0EEENS1_30default_config_static_selectorELNS0_4arch9wavefront6targetE1EEEvT1_,"axG",@progbits,_ZN7rocprim17ROCPRIM_400000_NS6detail17trampoline_kernelINS0_14default_configENS1_27scan_by_key_config_selectorIiiEEZZNS1_16scan_by_key_implILNS1_25lookback_scan_determinismE0ELb0ES3_N6thrust23THRUST_200600_302600_NS16reverse_iteratorIPKiEESD_NSA_IPiEEiN6hipcub16HIPCUB_304000_NS3MaxENSH_8EqualityEiEE10hipError_tPvRmT2_T3_T4_T5_mT6_T7_P12ihipStream_tbENKUlT_T0_E_clISt17integral_constantIbLb1EESZ_IbLb0EEEEDaSV_SW_EUlSV_E_NS1_11comp_targetILNS1_3genE5ELNS1_11target_archE942ELNS1_3gpuE9ELNS1_3repE0EEENS1_30default_config_static_selectorELNS0_4arch9wavefront6targetE1EEEvT1_,comdat
	.protected	_ZN7rocprim17ROCPRIM_400000_NS6detail17trampoline_kernelINS0_14default_configENS1_27scan_by_key_config_selectorIiiEEZZNS1_16scan_by_key_implILNS1_25lookback_scan_determinismE0ELb0ES3_N6thrust23THRUST_200600_302600_NS16reverse_iteratorIPKiEESD_NSA_IPiEEiN6hipcub16HIPCUB_304000_NS3MaxENSH_8EqualityEiEE10hipError_tPvRmT2_T3_T4_T5_mT6_T7_P12ihipStream_tbENKUlT_T0_E_clISt17integral_constantIbLb1EESZ_IbLb0EEEEDaSV_SW_EUlSV_E_NS1_11comp_targetILNS1_3genE5ELNS1_11target_archE942ELNS1_3gpuE9ELNS1_3repE0EEENS1_30default_config_static_selectorELNS0_4arch9wavefront6targetE1EEEvT1_ ; -- Begin function _ZN7rocprim17ROCPRIM_400000_NS6detail17trampoline_kernelINS0_14default_configENS1_27scan_by_key_config_selectorIiiEEZZNS1_16scan_by_key_implILNS1_25lookback_scan_determinismE0ELb0ES3_N6thrust23THRUST_200600_302600_NS16reverse_iteratorIPKiEESD_NSA_IPiEEiN6hipcub16HIPCUB_304000_NS3MaxENSH_8EqualityEiEE10hipError_tPvRmT2_T3_T4_T5_mT6_T7_P12ihipStream_tbENKUlT_T0_E_clISt17integral_constantIbLb1EESZ_IbLb0EEEEDaSV_SW_EUlSV_E_NS1_11comp_targetILNS1_3genE5ELNS1_11target_archE942ELNS1_3gpuE9ELNS1_3repE0EEENS1_30default_config_static_selectorELNS0_4arch9wavefront6targetE1EEEvT1_
	.globl	_ZN7rocprim17ROCPRIM_400000_NS6detail17trampoline_kernelINS0_14default_configENS1_27scan_by_key_config_selectorIiiEEZZNS1_16scan_by_key_implILNS1_25lookback_scan_determinismE0ELb0ES3_N6thrust23THRUST_200600_302600_NS16reverse_iteratorIPKiEESD_NSA_IPiEEiN6hipcub16HIPCUB_304000_NS3MaxENSH_8EqualityEiEE10hipError_tPvRmT2_T3_T4_T5_mT6_T7_P12ihipStream_tbENKUlT_T0_E_clISt17integral_constantIbLb1EESZ_IbLb0EEEEDaSV_SW_EUlSV_E_NS1_11comp_targetILNS1_3genE5ELNS1_11target_archE942ELNS1_3gpuE9ELNS1_3repE0EEENS1_30default_config_static_selectorELNS0_4arch9wavefront6targetE1EEEvT1_
	.p2align	8
	.type	_ZN7rocprim17ROCPRIM_400000_NS6detail17trampoline_kernelINS0_14default_configENS1_27scan_by_key_config_selectorIiiEEZZNS1_16scan_by_key_implILNS1_25lookback_scan_determinismE0ELb0ES3_N6thrust23THRUST_200600_302600_NS16reverse_iteratorIPKiEESD_NSA_IPiEEiN6hipcub16HIPCUB_304000_NS3MaxENSH_8EqualityEiEE10hipError_tPvRmT2_T3_T4_T5_mT6_T7_P12ihipStream_tbENKUlT_T0_E_clISt17integral_constantIbLb1EESZ_IbLb0EEEEDaSV_SW_EUlSV_E_NS1_11comp_targetILNS1_3genE5ELNS1_11target_archE942ELNS1_3gpuE9ELNS1_3repE0EEENS1_30default_config_static_selectorELNS0_4arch9wavefront6targetE1EEEvT1_,@function
_ZN7rocprim17ROCPRIM_400000_NS6detail17trampoline_kernelINS0_14default_configENS1_27scan_by_key_config_selectorIiiEEZZNS1_16scan_by_key_implILNS1_25lookback_scan_determinismE0ELb0ES3_N6thrust23THRUST_200600_302600_NS16reverse_iteratorIPKiEESD_NSA_IPiEEiN6hipcub16HIPCUB_304000_NS3MaxENSH_8EqualityEiEE10hipError_tPvRmT2_T3_T4_T5_mT6_T7_P12ihipStream_tbENKUlT_T0_E_clISt17integral_constantIbLb1EESZ_IbLb0EEEEDaSV_SW_EUlSV_E_NS1_11comp_targetILNS1_3genE5ELNS1_11target_archE942ELNS1_3gpuE9ELNS1_3repE0EEENS1_30default_config_static_selectorELNS0_4arch9wavefront6targetE1EEEvT1_: ; @_ZN7rocprim17ROCPRIM_400000_NS6detail17trampoline_kernelINS0_14default_configENS1_27scan_by_key_config_selectorIiiEEZZNS1_16scan_by_key_implILNS1_25lookback_scan_determinismE0ELb0ES3_N6thrust23THRUST_200600_302600_NS16reverse_iteratorIPKiEESD_NSA_IPiEEiN6hipcub16HIPCUB_304000_NS3MaxENSH_8EqualityEiEE10hipError_tPvRmT2_T3_T4_T5_mT6_T7_P12ihipStream_tbENKUlT_T0_E_clISt17integral_constantIbLb1EESZ_IbLb0EEEEDaSV_SW_EUlSV_E_NS1_11comp_targetILNS1_3genE5ELNS1_11target_archE942ELNS1_3gpuE9ELNS1_3repE0EEENS1_30default_config_static_selectorELNS0_4arch9wavefront6targetE1EEEvT1_
; %bb.0:
	.section	.rodata,"a",@progbits
	.p2align	6, 0x0
	.amdhsa_kernel _ZN7rocprim17ROCPRIM_400000_NS6detail17trampoline_kernelINS0_14default_configENS1_27scan_by_key_config_selectorIiiEEZZNS1_16scan_by_key_implILNS1_25lookback_scan_determinismE0ELb0ES3_N6thrust23THRUST_200600_302600_NS16reverse_iteratorIPKiEESD_NSA_IPiEEiN6hipcub16HIPCUB_304000_NS3MaxENSH_8EqualityEiEE10hipError_tPvRmT2_T3_T4_T5_mT6_T7_P12ihipStream_tbENKUlT_T0_E_clISt17integral_constantIbLb1EESZ_IbLb0EEEEDaSV_SW_EUlSV_E_NS1_11comp_targetILNS1_3genE5ELNS1_11target_archE942ELNS1_3gpuE9ELNS1_3repE0EEENS1_30default_config_static_selectorELNS0_4arch9wavefront6targetE1EEEvT1_
		.amdhsa_group_segment_fixed_size 0
		.amdhsa_private_segment_fixed_size 0
		.amdhsa_kernarg_size 112
		.amdhsa_user_sgpr_count 2
		.amdhsa_user_sgpr_dispatch_ptr 0
		.amdhsa_user_sgpr_queue_ptr 0
		.amdhsa_user_sgpr_kernarg_segment_ptr 1
		.amdhsa_user_sgpr_dispatch_id 0
		.amdhsa_user_sgpr_kernarg_preload_length 0
		.amdhsa_user_sgpr_kernarg_preload_offset 0
		.amdhsa_user_sgpr_private_segment_size 0
		.amdhsa_uses_dynamic_stack 0
		.amdhsa_enable_private_segment 0
		.amdhsa_system_sgpr_workgroup_id_x 1
		.amdhsa_system_sgpr_workgroup_id_y 0
		.amdhsa_system_sgpr_workgroup_id_z 0
		.amdhsa_system_sgpr_workgroup_info 0
		.amdhsa_system_vgpr_workitem_id 0
		.amdhsa_next_free_vgpr 1
		.amdhsa_next_free_sgpr 0
		.amdhsa_accum_offset 4
		.amdhsa_reserve_vcc 0
		.amdhsa_float_round_mode_32 0
		.amdhsa_float_round_mode_16_64 0
		.amdhsa_float_denorm_mode_32 3
		.amdhsa_float_denorm_mode_16_64 3
		.amdhsa_dx10_clamp 1
		.amdhsa_ieee_mode 1
		.amdhsa_fp16_overflow 0
		.amdhsa_tg_split 0
		.amdhsa_exception_fp_ieee_invalid_op 0
		.amdhsa_exception_fp_denorm_src 0
		.amdhsa_exception_fp_ieee_div_zero 0
		.amdhsa_exception_fp_ieee_overflow 0
		.amdhsa_exception_fp_ieee_underflow 0
		.amdhsa_exception_fp_ieee_inexact 0
		.amdhsa_exception_int_div_zero 0
	.end_amdhsa_kernel
	.section	.text._ZN7rocprim17ROCPRIM_400000_NS6detail17trampoline_kernelINS0_14default_configENS1_27scan_by_key_config_selectorIiiEEZZNS1_16scan_by_key_implILNS1_25lookback_scan_determinismE0ELb0ES3_N6thrust23THRUST_200600_302600_NS16reverse_iteratorIPKiEESD_NSA_IPiEEiN6hipcub16HIPCUB_304000_NS3MaxENSH_8EqualityEiEE10hipError_tPvRmT2_T3_T4_T5_mT6_T7_P12ihipStream_tbENKUlT_T0_E_clISt17integral_constantIbLb1EESZ_IbLb0EEEEDaSV_SW_EUlSV_E_NS1_11comp_targetILNS1_3genE5ELNS1_11target_archE942ELNS1_3gpuE9ELNS1_3repE0EEENS1_30default_config_static_selectorELNS0_4arch9wavefront6targetE1EEEvT1_,"axG",@progbits,_ZN7rocprim17ROCPRIM_400000_NS6detail17trampoline_kernelINS0_14default_configENS1_27scan_by_key_config_selectorIiiEEZZNS1_16scan_by_key_implILNS1_25lookback_scan_determinismE0ELb0ES3_N6thrust23THRUST_200600_302600_NS16reverse_iteratorIPKiEESD_NSA_IPiEEiN6hipcub16HIPCUB_304000_NS3MaxENSH_8EqualityEiEE10hipError_tPvRmT2_T3_T4_T5_mT6_T7_P12ihipStream_tbENKUlT_T0_E_clISt17integral_constantIbLb1EESZ_IbLb0EEEEDaSV_SW_EUlSV_E_NS1_11comp_targetILNS1_3genE5ELNS1_11target_archE942ELNS1_3gpuE9ELNS1_3repE0EEENS1_30default_config_static_selectorELNS0_4arch9wavefront6targetE1EEEvT1_,comdat
.Lfunc_end75:
	.size	_ZN7rocprim17ROCPRIM_400000_NS6detail17trampoline_kernelINS0_14default_configENS1_27scan_by_key_config_selectorIiiEEZZNS1_16scan_by_key_implILNS1_25lookback_scan_determinismE0ELb0ES3_N6thrust23THRUST_200600_302600_NS16reverse_iteratorIPKiEESD_NSA_IPiEEiN6hipcub16HIPCUB_304000_NS3MaxENSH_8EqualityEiEE10hipError_tPvRmT2_T3_T4_T5_mT6_T7_P12ihipStream_tbENKUlT_T0_E_clISt17integral_constantIbLb1EESZ_IbLb0EEEEDaSV_SW_EUlSV_E_NS1_11comp_targetILNS1_3genE5ELNS1_11target_archE942ELNS1_3gpuE9ELNS1_3repE0EEENS1_30default_config_static_selectorELNS0_4arch9wavefront6targetE1EEEvT1_, .Lfunc_end75-_ZN7rocprim17ROCPRIM_400000_NS6detail17trampoline_kernelINS0_14default_configENS1_27scan_by_key_config_selectorIiiEEZZNS1_16scan_by_key_implILNS1_25lookback_scan_determinismE0ELb0ES3_N6thrust23THRUST_200600_302600_NS16reverse_iteratorIPKiEESD_NSA_IPiEEiN6hipcub16HIPCUB_304000_NS3MaxENSH_8EqualityEiEE10hipError_tPvRmT2_T3_T4_T5_mT6_T7_P12ihipStream_tbENKUlT_T0_E_clISt17integral_constantIbLb1EESZ_IbLb0EEEEDaSV_SW_EUlSV_E_NS1_11comp_targetILNS1_3genE5ELNS1_11target_archE942ELNS1_3gpuE9ELNS1_3repE0EEENS1_30default_config_static_selectorELNS0_4arch9wavefront6targetE1EEEvT1_
                                        ; -- End function
	.set _ZN7rocprim17ROCPRIM_400000_NS6detail17trampoline_kernelINS0_14default_configENS1_27scan_by_key_config_selectorIiiEEZZNS1_16scan_by_key_implILNS1_25lookback_scan_determinismE0ELb0ES3_N6thrust23THRUST_200600_302600_NS16reverse_iteratorIPKiEESD_NSA_IPiEEiN6hipcub16HIPCUB_304000_NS3MaxENSH_8EqualityEiEE10hipError_tPvRmT2_T3_T4_T5_mT6_T7_P12ihipStream_tbENKUlT_T0_E_clISt17integral_constantIbLb1EESZ_IbLb0EEEEDaSV_SW_EUlSV_E_NS1_11comp_targetILNS1_3genE5ELNS1_11target_archE942ELNS1_3gpuE9ELNS1_3repE0EEENS1_30default_config_static_selectorELNS0_4arch9wavefront6targetE1EEEvT1_.num_vgpr, 0
	.set _ZN7rocprim17ROCPRIM_400000_NS6detail17trampoline_kernelINS0_14default_configENS1_27scan_by_key_config_selectorIiiEEZZNS1_16scan_by_key_implILNS1_25lookback_scan_determinismE0ELb0ES3_N6thrust23THRUST_200600_302600_NS16reverse_iteratorIPKiEESD_NSA_IPiEEiN6hipcub16HIPCUB_304000_NS3MaxENSH_8EqualityEiEE10hipError_tPvRmT2_T3_T4_T5_mT6_T7_P12ihipStream_tbENKUlT_T0_E_clISt17integral_constantIbLb1EESZ_IbLb0EEEEDaSV_SW_EUlSV_E_NS1_11comp_targetILNS1_3genE5ELNS1_11target_archE942ELNS1_3gpuE9ELNS1_3repE0EEENS1_30default_config_static_selectorELNS0_4arch9wavefront6targetE1EEEvT1_.num_agpr, 0
	.set _ZN7rocprim17ROCPRIM_400000_NS6detail17trampoline_kernelINS0_14default_configENS1_27scan_by_key_config_selectorIiiEEZZNS1_16scan_by_key_implILNS1_25lookback_scan_determinismE0ELb0ES3_N6thrust23THRUST_200600_302600_NS16reverse_iteratorIPKiEESD_NSA_IPiEEiN6hipcub16HIPCUB_304000_NS3MaxENSH_8EqualityEiEE10hipError_tPvRmT2_T3_T4_T5_mT6_T7_P12ihipStream_tbENKUlT_T0_E_clISt17integral_constantIbLb1EESZ_IbLb0EEEEDaSV_SW_EUlSV_E_NS1_11comp_targetILNS1_3genE5ELNS1_11target_archE942ELNS1_3gpuE9ELNS1_3repE0EEENS1_30default_config_static_selectorELNS0_4arch9wavefront6targetE1EEEvT1_.numbered_sgpr, 0
	.set _ZN7rocprim17ROCPRIM_400000_NS6detail17trampoline_kernelINS0_14default_configENS1_27scan_by_key_config_selectorIiiEEZZNS1_16scan_by_key_implILNS1_25lookback_scan_determinismE0ELb0ES3_N6thrust23THRUST_200600_302600_NS16reverse_iteratorIPKiEESD_NSA_IPiEEiN6hipcub16HIPCUB_304000_NS3MaxENSH_8EqualityEiEE10hipError_tPvRmT2_T3_T4_T5_mT6_T7_P12ihipStream_tbENKUlT_T0_E_clISt17integral_constantIbLb1EESZ_IbLb0EEEEDaSV_SW_EUlSV_E_NS1_11comp_targetILNS1_3genE5ELNS1_11target_archE942ELNS1_3gpuE9ELNS1_3repE0EEENS1_30default_config_static_selectorELNS0_4arch9wavefront6targetE1EEEvT1_.num_named_barrier, 0
	.set _ZN7rocprim17ROCPRIM_400000_NS6detail17trampoline_kernelINS0_14default_configENS1_27scan_by_key_config_selectorIiiEEZZNS1_16scan_by_key_implILNS1_25lookback_scan_determinismE0ELb0ES3_N6thrust23THRUST_200600_302600_NS16reverse_iteratorIPKiEESD_NSA_IPiEEiN6hipcub16HIPCUB_304000_NS3MaxENSH_8EqualityEiEE10hipError_tPvRmT2_T3_T4_T5_mT6_T7_P12ihipStream_tbENKUlT_T0_E_clISt17integral_constantIbLb1EESZ_IbLb0EEEEDaSV_SW_EUlSV_E_NS1_11comp_targetILNS1_3genE5ELNS1_11target_archE942ELNS1_3gpuE9ELNS1_3repE0EEENS1_30default_config_static_selectorELNS0_4arch9wavefront6targetE1EEEvT1_.private_seg_size, 0
	.set _ZN7rocprim17ROCPRIM_400000_NS6detail17trampoline_kernelINS0_14default_configENS1_27scan_by_key_config_selectorIiiEEZZNS1_16scan_by_key_implILNS1_25lookback_scan_determinismE0ELb0ES3_N6thrust23THRUST_200600_302600_NS16reverse_iteratorIPKiEESD_NSA_IPiEEiN6hipcub16HIPCUB_304000_NS3MaxENSH_8EqualityEiEE10hipError_tPvRmT2_T3_T4_T5_mT6_T7_P12ihipStream_tbENKUlT_T0_E_clISt17integral_constantIbLb1EESZ_IbLb0EEEEDaSV_SW_EUlSV_E_NS1_11comp_targetILNS1_3genE5ELNS1_11target_archE942ELNS1_3gpuE9ELNS1_3repE0EEENS1_30default_config_static_selectorELNS0_4arch9wavefront6targetE1EEEvT1_.uses_vcc, 0
	.set _ZN7rocprim17ROCPRIM_400000_NS6detail17trampoline_kernelINS0_14default_configENS1_27scan_by_key_config_selectorIiiEEZZNS1_16scan_by_key_implILNS1_25lookback_scan_determinismE0ELb0ES3_N6thrust23THRUST_200600_302600_NS16reverse_iteratorIPKiEESD_NSA_IPiEEiN6hipcub16HIPCUB_304000_NS3MaxENSH_8EqualityEiEE10hipError_tPvRmT2_T3_T4_T5_mT6_T7_P12ihipStream_tbENKUlT_T0_E_clISt17integral_constantIbLb1EESZ_IbLb0EEEEDaSV_SW_EUlSV_E_NS1_11comp_targetILNS1_3genE5ELNS1_11target_archE942ELNS1_3gpuE9ELNS1_3repE0EEENS1_30default_config_static_selectorELNS0_4arch9wavefront6targetE1EEEvT1_.uses_flat_scratch, 0
	.set _ZN7rocprim17ROCPRIM_400000_NS6detail17trampoline_kernelINS0_14default_configENS1_27scan_by_key_config_selectorIiiEEZZNS1_16scan_by_key_implILNS1_25lookback_scan_determinismE0ELb0ES3_N6thrust23THRUST_200600_302600_NS16reverse_iteratorIPKiEESD_NSA_IPiEEiN6hipcub16HIPCUB_304000_NS3MaxENSH_8EqualityEiEE10hipError_tPvRmT2_T3_T4_T5_mT6_T7_P12ihipStream_tbENKUlT_T0_E_clISt17integral_constantIbLb1EESZ_IbLb0EEEEDaSV_SW_EUlSV_E_NS1_11comp_targetILNS1_3genE5ELNS1_11target_archE942ELNS1_3gpuE9ELNS1_3repE0EEENS1_30default_config_static_selectorELNS0_4arch9wavefront6targetE1EEEvT1_.has_dyn_sized_stack, 0
	.set _ZN7rocprim17ROCPRIM_400000_NS6detail17trampoline_kernelINS0_14default_configENS1_27scan_by_key_config_selectorIiiEEZZNS1_16scan_by_key_implILNS1_25lookback_scan_determinismE0ELb0ES3_N6thrust23THRUST_200600_302600_NS16reverse_iteratorIPKiEESD_NSA_IPiEEiN6hipcub16HIPCUB_304000_NS3MaxENSH_8EqualityEiEE10hipError_tPvRmT2_T3_T4_T5_mT6_T7_P12ihipStream_tbENKUlT_T0_E_clISt17integral_constantIbLb1EESZ_IbLb0EEEEDaSV_SW_EUlSV_E_NS1_11comp_targetILNS1_3genE5ELNS1_11target_archE942ELNS1_3gpuE9ELNS1_3repE0EEENS1_30default_config_static_selectorELNS0_4arch9wavefront6targetE1EEEvT1_.has_recursion, 0
	.set _ZN7rocprim17ROCPRIM_400000_NS6detail17trampoline_kernelINS0_14default_configENS1_27scan_by_key_config_selectorIiiEEZZNS1_16scan_by_key_implILNS1_25lookback_scan_determinismE0ELb0ES3_N6thrust23THRUST_200600_302600_NS16reverse_iteratorIPKiEESD_NSA_IPiEEiN6hipcub16HIPCUB_304000_NS3MaxENSH_8EqualityEiEE10hipError_tPvRmT2_T3_T4_T5_mT6_T7_P12ihipStream_tbENKUlT_T0_E_clISt17integral_constantIbLb1EESZ_IbLb0EEEEDaSV_SW_EUlSV_E_NS1_11comp_targetILNS1_3genE5ELNS1_11target_archE942ELNS1_3gpuE9ELNS1_3repE0EEENS1_30default_config_static_selectorELNS0_4arch9wavefront6targetE1EEEvT1_.has_indirect_call, 0
	.section	.AMDGPU.csdata,"",@progbits
; Kernel info:
; codeLenInByte = 0
; TotalNumSgprs: 6
; NumVgprs: 0
; NumAgprs: 0
; TotalNumVgprs: 0
; ScratchSize: 0
; MemoryBound: 0
; FloatMode: 240
; IeeeMode: 1
; LDSByteSize: 0 bytes/workgroup (compile time only)
; SGPRBlocks: 0
; VGPRBlocks: 0
; NumSGPRsForWavesPerEU: 6
; NumVGPRsForWavesPerEU: 1
; AccumOffset: 4
; Occupancy: 8
; WaveLimiterHint : 0
; COMPUTE_PGM_RSRC2:SCRATCH_EN: 0
; COMPUTE_PGM_RSRC2:USER_SGPR: 2
; COMPUTE_PGM_RSRC2:TRAP_HANDLER: 0
; COMPUTE_PGM_RSRC2:TGID_X_EN: 1
; COMPUTE_PGM_RSRC2:TGID_Y_EN: 0
; COMPUTE_PGM_RSRC2:TGID_Z_EN: 0
; COMPUTE_PGM_RSRC2:TIDIG_COMP_CNT: 0
; COMPUTE_PGM_RSRC3_GFX90A:ACCUM_OFFSET: 0
; COMPUTE_PGM_RSRC3_GFX90A:TG_SPLIT: 0
	.section	.text._ZN7rocprim17ROCPRIM_400000_NS6detail17trampoline_kernelINS0_14default_configENS1_27scan_by_key_config_selectorIiiEEZZNS1_16scan_by_key_implILNS1_25lookback_scan_determinismE0ELb0ES3_N6thrust23THRUST_200600_302600_NS16reverse_iteratorIPKiEESD_NSA_IPiEEiN6hipcub16HIPCUB_304000_NS3MaxENSH_8EqualityEiEE10hipError_tPvRmT2_T3_T4_T5_mT6_T7_P12ihipStream_tbENKUlT_T0_E_clISt17integral_constantIbLb1EESZ_IbLb0EEEEDaSV_SW_EUlSV_E_NS1_11comp_targetILNS1_3genE4ELNS1_11target_archE910ELNS1_3gpuE8ELNS1_3repE0EEENS1_30default_config_static_selectorELNS0_4arch9wavefront6targetE1EEEvT1_,"axG",@progbits,_ZN7rocprim17ROCPRIM_400000_NS6detail17trampoline_kernelINS0_14default_configENS1_27scan_by_key_config_selectorIiiEEZZNS1_16scan_by_key_implILNS1_25lookback_scan_determinismE0ELb0ES3_N6thrust23THRUST_200600_302600_NS16reverse_iteratorIPKiEESD_NSA_IPiEEiN6hipcub16HIPCUB_304000_NS3MaxENSH_8EqualityEiEE10hipError_tPvRmT2_T3_T4_T5_mT6_T7_P12ihipStream_tbENKUlT_T0_E_clISt17integral_constantIbLb1EESZ_IbLb0EEEEDaSV_SW_EUlSV_E_NS1_11comp_targetILNS1_3genE4ELNS1_11target_archE910ELNS1_3gpuE8ELNS1_3repE0EEENS1_30default_config_static_selectorELNS0_4arch9wavefront6targetE1EEEvT1_,comdat
	.protected	_ZN7rocprim17ROCPRIM_400000_NS6detail17trampoline_kernelINS0_14default_configENS1_27scan_by_key_config_selectorIiiEEZZNS1_16scan_by_key_implILNS1_25lookback_scan_determinismE0ELb0ES3_N6thrust23THRUST_200600_302600_NS16reverse_iteratorIPKiEESD_NSA_IPiEEiN6hipcub16HIPCUB_304000_NS3MaxENSH_8EqualityEiEE10hipError_tPvRmT2_T3_T4_T5_mT6_T7_P12ihipStream_tbENKUlT_T0_E_clISt17integral_constantIbLb1EESZ_IbLb0EEEEDaSV_SW_EUlSV_E_NS1_11comp_targetILNS1_3genE4ELNS1_11target_archE910ELNS1_3gpuE8ELNS1_3repE0EEENS1_30default_config_static_selectorELNS0_4arch9wavefront6targetE1EEEvT1_ ; -- Begin function _ZN7rocprim17ROCPRIM_400000_NS6detail17trampoline_kernelINS0_14default_configENS1_27scan_by_key_config_selectorIiiEEZZNS1_16scan_by_key_implILNS1_25lookback_scan_determinismE0ELb0ES3_N6thrust23THRUST_200600_302600_NS16reverse_iteratorIPKiEESD_NSA_IPiEEiN6hipcub16HIPCUB_304000_NS3MaxENSH_8EqualityEiEE10hipError_tPvRmT2_T3_T4_T5_mT6_T7_P12ihipStream_tbENKUlT_T0_E_clISt17integral_constantIbLb1EESZ_IbLb0EEEEDaSV_SW_EUlSV_E_NS1_11comp_targetILNS1_3genE4ELNS1_11target_archE910ELNS1_3gpuE8ELNS1_3repE0EEENS1_30default_config_static_selectorELNS0_4arch9wavefront6targetE1EEEvT1_
	.globl	_ZN7rocprim17ROCPRIM_400000_NS6detail17trampoline_kernelINS0_14default_configENS1_27scan_by_key_config_selectorIiiEEZZNS1_16scan_by_key_implILNS1_25lookback_scan_determinismE0ELb0ES3_N6thrust23THRUST_200600_302600_NS16reverse_iteratorIPKiEESD_NSA_IPiEEiN6hipcub16HIPCUB_304000_NS3MaxENSH_8EqualityEiEE10hipError_tPvRmT2_T3_T4_T5_mT6_T7_P12ihipStream_tbENKUlT_T0_E_clISt17integral_constantIbLb1EESZ_IbLb0EEEEDaSV_SW_EUlSV_E_NS1_11comp_targetILNS1_3genE4ELNS1_11target_archE910ELNS1_3gpuE8ELNS1_3repE0EEENS1_30default_config_static_selectorELNS0_4arch9wavefront6targetE1EEEvT1_
	.p2align	8
	.type	_ZN7rocprim17ROCPRIM_400000_NS6detail17trampoline_kernelINS0_14default_configENS1_27scan_by_key_config_selectorIiiEEZZNS1_16scan_by_key_implILNS1_25lookback_scan_determinismE0ELb0ES3_N6thrust23THRUST_200600_302600_NS16reverse_iteratorIPKiEESD_NSA_IPiEEiN6hipcub16HIPCUB_304000_NS3MaxENSH_8EqualityEiEE10hipError_tPvRmT2_T3_T4_T5_mT6_T7_P12ihipStream_tbENKUlT_T0_E_clISt17integral_constantIbLb1EESZ_IbLb0EEEEDaSV_SW_EUlSV_E_NS1_11comp_targetILNS1_3genE4ELNS1_11target_archE910ELNS1_3gpuE8ELNS1_3repE0EEENS1_30default_config_static_selectorELNS0_4arch9wavefront6targetE1EEEvT1_,@function
_ZN7rocprim17ROCPRIM_400000_NS6detail17trampoline_kernelINS0_14default_configENS1_27scan_by_key_config_selectorIiiEEZZNS1_16scan_by_key_implILNS1_25lookback_scan_determinismE0ELb0ES3_N6thrust23THRUST_200600_302600_NS16reverse_iteratorIPKiEESD_NSA_IPiEEiN6hipcub16HIPCUB_304000_NS3MaxENSH_8EqualityEiEE10hipError_tPvRmT2_T3_T4_T5_mT6_T7_P12ihipStream_tbENKUlT_T0_E_clISt17integral_constantIbLb1EESZ_IbLb0EEEEDaSV_SW_EUlSV_E_NS1_11comp_targetILNS1_3genE4ELNS1_11target_archE910ELNS1_3gpuE8ELNS1_3repE0EEENS1_30default_config_static_selectorELNS0_4arch9wavefront6targetE1EEEvT1_: ; @_ZN7rocprim17ROCPRIM_400000_NS6detail17trampoline_kernelINS0_14default_configENS1_27scan_by_key_config_selectorIiiEEZZNS1_16scan_by_key_implILNS1_25lookback_scan_determinismE0ELb0ES3_N6thrust23THRUST_200600_302600_NS16reverse_iteratorIPKiEESD_NSA_IPiEEiN6hipcub16HIPCUB_304000_NS3MaxENSH_8EqualityEiEE10hipError_tPvRmT2_T3_T4_T5_mT6_T7_P12ihipStream_tbENKUlT_T0_E_clISt17integral_constantIbLb1EESZ_IbLb0EEEEDaSV_SW_EUlSV_E_NS1_11comp_targetILNS1_3genE4ELNS1_11target_archE910ELNS1_3gpuE8ELNS1_3repE0EEENS1_30default_config_static_selectorELNS0_4arch9wavefront6targetE1EEEvT1_
; %bb.0:
	.section	.rodata,"a",@progbits
	.p2align	6, 0x0
	.amdhsa_kernel _ZN7rocprim17ROCPRIM_400000_NS6detail17trampoline_kernelINS0_14default_configENS1_27scan_by_key_config_selectorIiiEEZZNS1_16scan_by_key_implILNS1_25lookback_scan_determinismE0ELb0ES3_N6thrust23THRUST_200600_302600_NS16reverse_iteratorIPKiEESD_NSA_IPiEEiN6hipcub16HIPCUB_304000_NS3MaxENSH_8EqualityEiEE10hipError_tPvRmT2_T3_T4_T5_mT6_T7_P12ihipStream_tbENKUlT_T0_E_clISt17integral_constantIbLb1EESZ_IbLb0EEEEDaSV_SW_EUlSV_E_NS1_11comp_targetILNS1_3genE4ELNS1_11target_archE910ELNS1_3gpuE8ELNS1_3repE0EEENS1_30default_config_static_selectorELNS0_4arch9wavefront6targetE1EEEvT1_
		.amdhsa_group_segment_fixed_size 0
		.amdhsa_private_segment_fixed_size 0
		.amdhsa_kernarg_size 112
		.amdhsa_user_sgpr_count 2
		.amdhsa_user_sgpr_dispatch_ptr 0
		.amdhsa_user_sgpr_queue_ptr 0
		.amdhsa_user_sgpr_kernarg_segment_ptr 1
		.amdhsa_user_sgpr_dispatch_id 0
		.amdhsa_user_sgpr_kernarg_preload_length 0
		.amdhsa_user_sgpr_kernarg_preload_offset 0
		.amdhsa_user_sgpr_private_segment_size 0
		.amdhsa_uses_dynamic_stack 0
		.amdhsa_enable_private_segment 0
		.amdhsa_system_sgpr_workgroup_id_x 1
		.amdhsa_system_sgpr_workgroup_id_y 0
		.amdhsa_system_sgpr_workgroup_id_z 0
		.amdhsa_system_sgpr_workgroup_info 0
		.amdhsa_system_vgpr_workitem_id 0
		.amdhsa_next_free_vgpr 1
		.amdhsa_next_free_sgpr 0
		.amdhsa_accum_offset 4
		.amdhsa_reserve_vcc 0
		.amdhsa_float_round_mode_32 0
		.amdhsa_float_round_mode_16_64 0
		.amdhsa_float_denorm_mode_32 3
		.amdhsa_float_denorm_mode_16_64 3
		.amdhsa_dx10_clamp 1
		.amdhsa_ieee_mode 1
		.amdhsa_fp16_overflow 0
		.amdhsa_tg_split 0
		.amdhsa_exception_fp_ieee_invalid_op 0
		.amdhsa_exception_fp_denorm_src 0
		.amdhsa_exception_fp_ieee_div_zero 0
		.amdhsa_exception_fp_ieee_overflow 0
		.amdhsa_exception_fp_ieee_underflow 0
		.amdhsa_exception_fp_ieee_inexact 0
		.amdhsa_exception_int_div_zero 0
	.end_amdhsa_kernel
	.section	.text._ZN7rocprim17ROCPRIM_400000_NS6detail17trampoline_kernelINS0_14default_configENS1_27scan_by_key_config_selectorIiiEEZZNS1_16scan_by_key_implILNS1_25lookback_scan_determinismE0ELb0ES3_N6thrust23THRUST_200600_302600_NS16reverse_iteratorIPKiEESD_NSA_IPiEEiN6hipcub16HIPCUB_304000_NS3MaxENSH_8EqualityEiEE10hipError_tPvRmT2_T3_T4_T5_mT6_T7_P12ihipStream_tbENKUlT_T0_E_clISt17integral_constantIbLb1EESZ_IbLb0EEEEDaSV_SW_EUlSV_E_NS1_11comp_targetILNS1_3genE4ELNS1_11target_archE910ELNS1_3gpuE8ELNS1_3repE0EEENS1_30default_config_static_selectorELNS0_4arch9wavefront6targetE1EEEvT1_,"axG",@progbits,_ZN7rocprim17ROCPRIM_400000_NS6detail17trampoline_kernelINS0_14default_configENS1_27scan_by_key_config_selectorIiiEEZZNS1_16scan_by_key_implILNS1_25lookback_scan_determinismE0ELb0ES3_N6thrust23THRUST_200600_302600_NS16reverse_iteratorIPKiEESD_NSA_IPiEEiN6hipcub16HIPCUB_304000_NS3MaxENSH_8EqualityEiEE10hipError_tPvRmT2_T3_T4_T5_mT6_T7_P12ihipStream_tbENKUlT_T0_E_clISt17integral_constantIbLb1EESZ_IbLb0EEEEDaSV_SW_EUlSV_E_NS1_11comp_targetILNS1_3genE4ELNS1_11target_archE910ELNS1_3gpuE8ELNS1_3repE0EEENS1_30default_config_static_selectorELNS0_4arch9wavefront6targetE1EEEvT1_,comdat
.Lfunc_end76:
	.size	_ZN7rocprim17ROCPRIM_400000_NS6detail17trampoline_kernelINS0_14default_configENS1_27scan_by_key_config_selectorIiiEEZZNS1_16scan_by_key_implILNS1_25lookback_scan_determinismE0ELb0ES3_N6thrust23THRUST_200600_302600_NS16reverse_iteratorIPKiEESD_NSA_IPiEEiN6hipcub16HIPCUB_304000_NS3MaxENSH_8EqualityEiEE10hipError_tPvRmT2_T3_T4_T5_mT6_T7_P12ihipStream_tbENKUlT_T0_E_clISt17integral_constantIbLb1EESZ_IbLb0EEEEDaSV_SW_EUlSV_E_NS1_11comp_targetILNS1_3genE4ELNS1_11target_archE910ELNS1_3gpuE8ELNS1_3repE0EEENS1_30default_config_static_selectorELNS0_4arch9wavefront6targetE1EEEvT1_, .Lfunc_end76-_ZN7rocprim17ROCPRIM_400000_NS6detail17trampoline_kernelINS0_14default_configENS1_27scan_by_key_config_selectorIiiEEZZNS1_16scan_by_key_implILNS1_25lookback_scan_determinismE0ELb0ES3_N6thrust23THRUST_200600_302600_NS16reverse_iteratorIPKiEESD_NSA_IPiEEiN6hipcub16HIPCUB_304000_NS3MaxENSH_8EqualityEiEE10hipError_tPvRmT2_T3_T4_T5_mT6_T7_P12ihipStream_tbENKUlT_T0_E_clISt17integral_constantIbLb1EESZ_IbLb0EEEEDaSV_SW_EUlSV_E_NS1_11comp_targetILNS1_3genE4ELNS1_11target_archE910ELNS1_3gpuE8ELNS1_3repE0EEENS1_30default_config_static_selectorELNS0_4arch9wavefront6targetE1EEEvT1_
                                        ; -- End function
	.set _ZN7rocprim17ROCPRIM_400000_NS6detail17trampoline_kernelINS0_14default_configENS1_27scan_by_key_config_selectorIiiEEZZNS1_16scan_by_key_implILNS1_25lookback_scan_determinismE0ELb0ES3_N6thrust23THRUST_200600_302600_NS16reverse_iteratorIPKiEESD_NSA_IPiEEiN6hipcub16HIPCUB_304000_NS3MaxENSH_8EqualityEiEE10hipError_tPvRmT2_T3_T4_T5_mT6_T7_P12ihipStream_tbENKUlT_T0_E_clISt17integral_constantIbLb1EESZ_IbLb0EEEEDaSV_SW_EUlSV_E_NS1_11comp_targetILNS1_3genE4ELNS1_11target_archE910ELNS1_3gpuE8ELNS1_3repE0EEENS1_30default_config_static_selectorELNS0_4arch9wavefront6targetE1EEEvT1_.num_vgpr, 0
	.set _ZN7rocprim17ROCPRIM_400000_NS6detail17trampoline_kernelINS0_14default_configENS1_27scan_by_key_config_selectorIiiEEZZNS1_16scan_by_key_implILNS1_25lookback_scan_determinismE0ELb0ES3_N6thrust23THRUST_200600_302600_NS16reverse_iteratorIPKiEESD_NSA_IPiEEiN6hipcub16HIPCUB_304000_NS3MaxENSH_8EqualityEiEE10hipError_tPvRmT2_T3_T4_T5_mT6_T7_P12ihipStream_tbENKUlT_T0_E_clISt17integral_constantIbLb1EESZ_IbLb0EEEEDaSV_SW_EUlSV_E_NS1_11comp_targetILNS1_3genE4ELNS1_11target_archE910ELNS1_3gpuE8ELNS1_3repE0EEENS1_30default_config_static_selectorELNS0_4arch9wavefront6targetE1EEEvT1_.num_agpr, 0
	.set _ZN7rocprim17ROCPRIM_400000_NS6detail17trampoline_kernelINS0_14default_configENS1_27scan_by_key_config_selectorIiiEEZZNS1_16scan_by_key_implILNS1_25lookback_scan_determinismE0ELb0ES3_N6thrust23THRUST_200600_302600_NS16reverse_iteratorIPKiEESD_NSA_IPiEEiN6hipcub16HIPCUB_304000_NS3MaxENSH_8EqualityEiEE10hipError_tPvRmT2_T3_T4_T5_mT6_T7_P12ihipStream_tbENKUlT_T0_E_clISt17integral_constantIbLb1EESZ_IbLb0EEEEDaSV_SW_EUlSV_E_NS1_11comp_targetILNS1_3genE4ELNS1_11target_archE910ELNS1_3gpuE8ELNS1_3repE0EEENS1_30default_config_static_selectorELNS0_4arch9wavefront6targetE1EEEvT1_.numbered_sgpr, 0
	.set _ZN7rocprim17ROCPRIM_400000_NS6detail17trampoline_kernelINS0_14default_configENS1_27scan_by_key_config_selectorIiiEEZZNS1_16scan_by_key_implILNS1_25lookback_scan_determinismE0ELb0ES3_N6thrust23THRUST_200600_302600_NS16reverse_iteratorIPKiEESD_NSA_IPiEEiN6hipcub16HIPCUB_304000_NS3MaxENSH_8EqualityEiEE10hipError_tPvRmT2_T3_T4_T5_mT6_T7_P12ihipStream_tbENKUlT_T0_E_clISt17integral_constantIbLb1EESZ_IbLb0EEEEDaSV_SW_EUlSV_E_NS1_11comp_targetILNS1_3genE4ELNS1_11target_archE910ELNS1_3gpuE8ELNS1_3repE0EEENS1_30default_config_static_selectorELNS0_4arch9wavefront6targetE1EEEvT1_.num_named_barrier, 0
	.set _ZN7rocprim17ROCPRIM_400000_NS6detail17trampoline_kernelINS0_14default_configENS1_27scan_by_key_config_selectorIiiEEZZNS1_16scan_by_key_implILNS1_25lookback_scan_determinismE0ELb0ES3_N6thrust23THRUST_200600_302600_NS16reverse_iteratorIPKiEESD_NSA_IPiEEiN6hipcub16HIPCUB_304000_NS3MaxENSH_8EqualityEiEE10hipError_tPvRmT2_T3_T4_T5_mT6_T7_P12ihipStream_tbENKUlT_T0_E_clISt17integral_constantIbLb1EESZ_IbLb0EEEEDaSV_SW_EUlSV_E_NS1_11comp_targetILNS1_3genE4ELNS1_11target_archE910ELNS1_3gpuE8ELNS1_3repE0EEENS1_30default_config_static_selectorELNS0_4arch9wavefront6targetE1EEEvT1_.private_seg_size, 0
	.set _ZN7rocprim17ROCPRIM_400000_NS6detail17trampoline_kernelINS0_14default_configENS1_27scan_by_key_config_selectorIiiEEZZNS1_16scan_by_key_implILNS1_25lookback_scan_determinismE0ELb0ES3_N6thrust23THRUST_200600_302600_NS16reverse_iteratorIPKiEESD_NSA_IPiEEiN6hipcub16HIPCUB_304000_NS3MaxENSH_8EqualityEiEE10hipError_tPvRmT2_T3_T4_T5_mT6_T7_P12ihipStream_tbENKUlT_T0_E_clISt17integral_constantIbLb1EESZ_IbLb0EEEEDaSV_SW_EUlSV_E_NS1_11comp_targetILNS1_3genE4ELNS1_11target_archE910ELNS1_3gpuE8ELNS1_3repE0EEENS1_30default_config_static_selectorELNS0_4arch9wavefront6targetE1EEEvT1_.uses_vcc, 0
	.set _ZN7rocprim17ROCPRIM_400000_NS6detail17trampoline_kernelINS0_14default_configENS1_27scan_by_key_config_selectorIiiEEZZNS1_16scan_by_key_implILNS1_25lookback_scan_determinismE0ELb0ES3_N6thrust23THRUST_200600_302600_NS16reverse_iteratorIPKiEESD_NSA_IPiEEiN6hipcub16HIPCUB_304000_NS3MaxENSH_8EqualityEiEE10hipError_tPvRmT2_T3_T4_T5_mT6_T7_P12ihipStream_tbENKUlT_T0_E_clISt17integral_constantIbLb1EESZ_IbLb0EEEEDaSV_SW_EUlSV_E_NS1_11comp_targetILNS1_3genE4ELNS1_11target_archE910ELNS1_3gpuE8ELNS1_3repE0EEENS1_30default_config_static_selectorELNS0_4arch9wavefront6targetE1EEEvT1_.uses_flat_scratch, 0
	.set _ZN7rocprim17ROCPRIM_400000_NS6detail17trampoline_kernelINS0_14default_configENS1_27scan_by_key_config_selectorIiiEEZZNS1_16scan_by_key_implILNS1_25lookback_scan_determinismE0ELb0ES3_N6thrust23THRUST_200600_302600_NS16reverse_iteratorIPKiEESD_NSA_IPiEEiN6hipcub16HIPCUB_304000_NS3MaxENSH_8EqualityEiEE10hipError_tPvRmT2_T3_T4_T5_mT6_T7_P12ihipStream_tbENKUlT_T0_E_clISt17integral_constantIbLb1EESZ_IbLb0EEEEDaSV_SW_EUlSV_E_NS1_11comp_targetILNS1_3genE4ELNS1_11target_archE910ELNS1_3gpuE8ELNS1_3repE0EEENS1_30default_config_static_selectorELNS0_4arch9wavefront6targetE1EEEvT1_.has_dyn_sized_stack, 0
	.set _ZN7rocprim17ROCPRIM_400000_NS6detail17trampoline_kernelINS0_14default_configENS1_27scan_by_key_config_selectorIiiEEZZNS1_16scan_by_key_implILNS1_25lookback_scan_determinismE0ELb0ES3_N6thrust23THRUST_200600_302600_NS16reverse_iteratorIPKiEESD_NSA_IPiEEiN6hipcub16HIPCUB_304000_NS3MaxENSH_8EqualityEiEE10hipError_tPvRmT2_T3_T4_T5_mT6_T7_P12ihipStream_tbENKUlT_T0_E_clISt17integral_constantIbLb1EESZ_IbLb0EEEEDaSV_SW_EUlSV_E_NS1_11comp_targetILNS1_3genE4ELNS1_11target_archE910ELNS1_3gpuE8ELNS1_3repE0EEENS1_30default_config_static_selectorELNS0_4arch9wavefront6targetE1EEEvT1_.has_recursion, 0
	.set _ZN7rocprim17ROCPRIM_400000_NS6detail17trampoline_kernelINS0_14default_configENS1_27scan_by_key_config_selectorIiiEEZZNS1_16scan_by_key_implILNS1_25lookback_scan_determinismE0ELb0ES3_N6thrust23THRUST_200600_302600_NS16reverse_iteratorIPKiEESD_NSA_IPiEEiN6hipcub16HIPCUB_304000_NS3MaxENSH_8EqualityEiEE10hipError_tPvRmT2_T3_T4_T5_mT6_T7_P12ihipStream_tbENKUlT_T0_E_clISt17integral_constantIbLb1EESZ_IbLb0EEEEDaSV_SW_EUlSV_E_NS1_11comp_targetILNS1_3genE4ELNS1_11target_archE910ELNS1_3gpuE8ELNS1_3repE0EEENS1_30default_config_static_selectorELNS0_4arch9wavefront6targetE1EEEvT1_.has_indirect_call, 0
	.section	.AMDGPU.csdata,"",@progbits
; Kernel info:
; codeLenInByte = 0
; TotalNumSgprs: 6
; NumVgprs: 0
; NumAgprs: 0
; TotalNumVgprs: 0
; ScratchSize: 0
; MemoryBound: 0
; FloatMode: 240
; IeeeMode: 1
; LDSByteSize: 0 bytes/workgroup (compile time only)
; SGPRBlocks: 0
; VGPRBlocks: 0
; NumSGPRsForWavesPerEU: 6
; NumVGPRsForWavesPerEU: 1
; AccumOffset: 4
; Occupancy: 8
; WaveLimiterHint : 0
; COMPUTE_PGM_RSRC2:SCRATCH_EN: 0
; COMPUTE_PGM_RSRC2:USER_SGPR: 2
; COMPUTE_PGM_RSRC2:TRAP_HANDLER: 0
; COMPUTE_PGM_RSRC2:TGID_X_EN: 1
; COMPUTE_PGM_RSRC2:TGID_Y_EN: 0
; COMPUTE_PGM_RSRC2:TGID_Z_EN: 0
; COMPUTE_PGM_RSRC2:TIDIG_COMP_CNT: 0
; COMPUTE_PGM_RSRC3_GFX90A:ACCUM_OFFSET: 0
; COMPUTE_PGM_RSRC3_GFX90A:TG_SPLIT: 0
	.section	.text._ZN7rocprim17ROCPRIM_400000_NS6detail17trampoline_kernelINS0_14default_configENS1_27scan_by_key_config_selectorIiiEEZZNS1_16scan_by_key_implILNS1_25lookback_scan_determinismE0ELb0ES3_N6thrust23THRUST_200600_302600_NS16reverse_iteratorIPKiEESD_NSA_IPiEEiN6hipcub16HIPCUB_304000_NS3MaxENSH_8EqualityEiEE10hipError_tPvRmT2_T3_T4_T5_mT6_T7_P12ihipStream_tbENKUlT_T0_E_clISt17integral_constantIbLb1EESZ_IbLb0EEEEDaSV_SW_EUlSV_E_NS1_11comp_targetILNS1_3genE3ELNS1_11target_archE908ELNS1_3gpuE7ELNS1_3repE0EEENS1_30default_config_static_selectorELNS0_4arch9wavefront6targetE1EEEvT1_,"axG",@progbits,_ZN7rocprim17ROCPRIM_400000_NS6detail17trampoline_kernelINS0_14default_configENS1_27scan_by_key_config_selectorIiiEEZZNS1_16scan_by_key_implILNS1_25lookback_scan_determinismE0ELb0ES3_N6thrust23THRUST_200600_302600_NS16reverse_iteratorIPKiEESD_NSA_IPiEEiN6hipcub16HIPCUB_304000_NS3MaxENSH_8EqualityEiEE10hipError_tPvRmT2_T3_T4_T5_mT6_T7_P12ihipStream_tbENKUlT_T0_E_clISt17integral_constantIbLb1EESZ_IbLb0EEEEDaSV_SW_EUlSV_E_NS1_11comp_targetILNS1_3genE3ELNS1_11target_archE908ELNS1_3gpuE7ELNS1_3repE0EEENS1_30default_config_static_selectorELNS0_4arch9wavefront6targetE1EEEvT1_,comdat
	.protected	_ZN7rocprim17ROCPRIM_400000_NS6detail17trampoline_kernelINS0_14default_configENS1_27scan_by_key_config_selectorIiiEEZZNS1_16scan_by_key_implILNS1_25lookback_scan_determinismE0ELb0ES3_N6thrust23THRUST_200600_302600_NS16reverse_iteratorIPKiEESD_NSA_IPiEEiN6hipcub16HIPCUB_304000_NS3MaxENSH_8EqualityEiEE10hipError_tPvRmT2_T3_T4_T5_mT6_T7_P12ihipStream_tbENKUlT_T0_E_clISt17integral_constantIbLb1EESZ_IbLb0EEEEDaSV_SW_EUlSV_E_NS1_11comp_targetILNS1_3genE3ELNS1_11target_archE908ELNS1_3gpuE7ELNS1_3repE0EEENS1_30default_config_static_selectorELNS0_4arch9wavefront6targetE1EEEvT1_ ; -- Begin function _ZN7rocprim17ROCPRIM_400000_NS6detail17trampoline_kernelINS0_14default_configENS1_27scan_by_key_config_selectorIiiEEZZNS1_16scan_by_key_implILNS1_25lookback_scan_determinismE0ELb0ES3_N6thrust23THRUST_200600_302600_NS16reverse_iteratorIPKiEESD_NSA_IPiEEiN6hipcub16HIPCUB_304000_NS3MaxENSH_8EqualityEiEE10hipError_tPvRmT2_T3_T4_T5_mT6_T7_P12ihipStream_tbENKUlT_T0_E_clISt17integral_constantIbLb1EESZ_IbLb0EEEEDaSV_SW_EUlSV_E_NS1_11comp_targetILNS1_3genE3ELNS1_11target_archE908ELNS1_3gpuE7ELNS1_3repE0EEENS1_30default_config_static_selectorELNS0_4arch9wavefront6targetE1EEEvT1_
	.globl	_ZN7rocprim17ROCPRIM_400000_NS6detail17trampoline_kernelINS0_14default_configENS1_27scan_by_key_config_selectorIiiEEZZNS1_16scan_by_key_implILNS1_25lookback_scan_determinismE0ELb0ES3_N6thrust23THRUST_200600_302600_NS16reverse_iteratorIPKiEESD_NSA_IPiEEiN6hipcub16HIPCUB_304000_NS3MaxENSH_8EqualityEiEE10hipError_tPvRmT2_T3_T4_T5_mT6_T7_P12ihipStream_tbENKUlT_T0_E_clISt17integral_constantIbLb1EESZ_IbLb0EEEEDaSV_SW_EUlSV_E_NS1_11comp_targetILNS1_3genE3ELNS1_11target_archE908ELNS1_3gpuE7ELNS1_3repE0EEENS1_30default_config_static_selectorELNS0_4arch9wavefront6targetE1EEEvT1_
	.p2align	8
	.type	_ZN7rocprim17ROCPRIM_400000_NS6detail17trampoline_kernelINS0_14default_configENS1_27scan_by_key_config_selectorIiiEEZZNS1_16scan_by_key_implILNS1_25lookback_scan_determinismE0ELb0ES3_N6thrust23THRUST_200600_302600_NS16reverse_iteratorIPKiEESD_NSA_IPiEEiN6hipcub16HIPCUB_304000_NS3MaxENSH_8EqualityEiEE10hipError_tPvRmT2_T3_T4_T5_mT6_T7_P12ihipStream_tbENKUlT_T0_E_clISt17integral_constantIbLb1EESZ_IbLb0EEEEDaSV_SW_EUlSV_E_NS1_11comp_targetILNS1_3genE3ELNS1_11target_archE908ELNS1_3gpuE7ELNS1_3repE0EEENS1_30default_config_static_selectorELNS0_4arch9wavefront6targetE1EEEvT1_,@function
_ZN7rocprim17ROCPRIM_400000_NS6detail17trampoline_kernelINS0_14default_configENS1_27scan_by_key_config_selectorIiiEEZZNS1_16scan_by_key_implILNS1_25lookback_scan_determinismE0ELb0ES3_N6thrust23THRUST_200600_302600_NS16reverse_iteratorIPKiEESD_NSA_IPiEEiN6hipcub16HIPCUB_304000_NS3MaxENSH_8EqualityEiEE10hipError_tPvRmT2_T3_T4_T5_mT6_T7_P12ihipStream_tbENKUlT_T0_E_clISt17integral_constantIbLb1EESZ_IbLb0EEEEDaSV_SW_EUlSV_E_NS1_11comp_targetILNS1_3genE3ELNS1_11target_archE908ELNS1_3gpuE7ELNS1_3repE0EEENS1_30default_config_static_selectorELNS0_4arch9wavefront6targetE1EEEvT1_: ; @_ZN7rocprim17ROCPRIM_400000_NS6detail17trampoline_kernelINS0_14default_configENS1_27scan_by_key_config_selectorIiiEEZZNS1_16scan_by_key_implILNS1_25lookback_scan_determinismE0ELb0ES3_N6thrust23THRUST_200600_302600_NS16reverse_iteratorIPKiEESD_NSA_IPiEEiN6hipcub16HIPCUB_304000_NS3MaxENSH_8EqualityEiEE10hipError_tPvRmT2_T3_T4_T5_mT6_T7_P12ihipStream_tbENKUlT_T0_E_clISt17integral_constantIbLb1EESZ_IbLb0EEEEDaSV_SW_EUlSV_E_NS1_11comp_targetILNS1_3genE3ELNS1_11target_archE908ELNS1_3gpuE7ELNS1_3repE0EEENS1_30default_config_static_selectorELNS0_4arch9wavefront6targetE1EEEvT1_
; %bb.0:
	.section	.rodata,"a",@progbits
	.p2align	6, 0x0
	.amdhsa_kernel _ZN7rocprim17ROCPRIM_400000_NS6detail17trampoline_kernelINS0_14default_configENS1_27scan_by_key_config_selectorIiiEEZZNS1_16scan_by_key_implILNS1_25lookback_scan_determinismE0ELb0ES3_N6thrust23THRUST_200600_302600_NS16reverse_iteratorIPKiEESD_NSA_IPiEEiN6hipcub16HIPCUB_304000_NS3MaxENSH_8EqualityEiEE10hipError_tPvRmT2_T3_T4_T5_mT6_T7_P12ihipStream_tbENKUlT_T0_E_clISt17integral_constantIbLb1EESZ_IbLb0EEEEDaSV_SW_EUlSV_E_NS1_11comp_targetILNS1_3genE3ELNS1_11target_archE908ELNS1_3gpuE7ELNS1_3repE0EEENS1_30default_config_static_selectorELNS0_4arch9wavefront6targetE1EEEvT1_
		.amdhsa_group_segment_fixed_size 0
		.amdhsa_private_segment_fixed_size 0
		.amdhsa_kernarg_size 112
		.amdhsa_user_sgpr_count 2
		.amdhsa_user_sgpr_dispatch_ptr 0
		.amdhsa_user_sgpr_queue_ptr 0
		.amdhsa_user_sgpr_kernarg_segment_ptr 1
		.amdhsa_user_sgpr_dispatch_id 0
		.amdhsa_user_sgpr_kernarg_preload_length 0
		.amdhsa_user_sgpr_kernarg_preload_offset 0
		.amdhsa_user_sgpr_private_segment_size 0
		.amdhsa_uses_dynamic_stack 0
		.amdhsa_enable_private_segment 0
		.amdhsa_system_sgpr_workgroup_id_x 1
		.amdhsa_system_sgpr_workgroup_id_y 0
		.amdhsa_system_sgpr_workgroup_id_z 0
		.amdhsa_system_sgpr_workgroup_info 0
		.amdhsa_system_vgpr_workitem_id 0
		.amdhsa_next_free_vgpr 1
		.amdhsa_next_free_sgpr 0
		.amdhsa_accum_offset 4
		.amdhsa_reserve_vcc 0
		.amdhsa_float_round_mode_32 0
		.amdhsa_float_round_mode_16_64 0
		.amdhsa_float_denorm_mode_32 3
		.amdhsa_float_denorm_mode_16_64 3
		.amdhsa_dx10_clamp 1
		.amdhsa_ieee_mode 1
		.amdhsa_fp16_overflow 0
		.amdhsa_tg_split 0
		.amdhsa_exception_fp_ieee_invalid_op 0
		.amdhsa_exception_fp_denorm_src 0
		.amdhsa_exception_fp_ieee_div_zero 0
		.amdhsa_exception_fp_ieee_overflow 0
		.amdhsa_exception_fp_ieee_underflow 0
		.amdhsa_exception_fp_ieee_inexact 0
		.amdhsa_exception_int_div_zero 0
	.end_amdhsa_kernel
	.section	.text._ZN7rocprim17ROCPRIM_400000_NS6detail17trampoline_kernelINS0_14default_configENS1_27scan_by_key_config_selectorIiiEEZZNS1_16scan_by_key_implILNS1_25lookback_scan_determinismE0ELb0ES3_N6thrust23THRUST_200600_302600_NS16reverse_iteratorIPKiEESD_NSA_IPiEEiN6hipcub16HIPCUB_304000_NS3MaxENSH_8EqualityEiEE10hipError_tPvRmT2_T3_T4_T5_mT6_T7_P12ihipStream_tbENKUlT_T0_E_clISt17integral_constantIbLb1EESZ_IbLb0EEEEDaSV_SW_EUlSV_E_NS1_11comp_targetILNS1_3genE3ELNS1_11target_archE908ELNS1_3gpuE7ELNS1_3repE0EEENS1_30default_config_static_selectorELNS0_4arch9wavefront6targetE1EEEvT1_,"axG",@progbits,_ZN7rocprim17ROCPRIM_400000_NS6detail17trampoline_kernelINS0_14default_configENS1_27scan_by_key_config_selectorIiiEEZZNS1_16scan_by_key_implILNS1_25lookback_scan_determinismE0ELb0ES3_N6thrust23THRUST_200600_302600_NS16reverse_iteratorIPKiEESD_NSA_IPiEEiN6hipcub16HIPCUB_304000_NS3MaxENSH_8EqualityEiEE10hipError_tPvRmT2_T3_T4_T5_mT6_T7_P12ihipStream_tbENKUlT_T0_E_clISt17integral_constantIbLb1EESZ_IbLb0EEEEDaSV_SW_EUlSV_E_NS1_11comp_targetILNS1_3genE3ELNS1_11target_archE908ELNS1_3gpuE7ELNS1_3repE0EEENS1_30default_config_static_selectorELNS0_4arch9wavefront6targetE1EEEvT1_,comdat
.Lfunc_end77:
	.size	_ZN7rocprim17ROCPRIM_400000_NS6detail17trampoline_kernelINS0_14default_configENS1_27scan_by_key_config_selectorIiiEEZZNS1_16scan_by_key_implILNS1_25lookback_scan_determinismE0ELb0ES3_N6thrust23THRUST_200600_302600_NS16reverse_iteratorIPKiEESD_NSA_IPiEEiN6hipcub16HIPCUB_304000_NS3MaxENSH_8EqualityEiEE10hipError_tPvRmT2_T3_T4_T5_mT6_T7_P12ihipStream_tbENKUlT_T0_E_clISt17integral_constantIbLb1EESZ_IbLb0EEEEDaSV_SW_EUlSV_E_NS1_11comp_targetILNS1_3genE3ELNS1_11target_archE908ELNS1_3gpuE7ELNS1_3repE0EEENS1_30default_config_static_selectorELNS0_4arch9wavefront6targetE1EEEvT1_, .Lfunc_end77-_ZN7rocprim17ROCPRIM_400000_NS6detail17trampoline_kernelINS0_14default_configENS1_27scan_by_key_config_selectorIiiEEZZNS1_16scan_by_key_implILNS1_25lookback_scan_determinismE0ELb0ES3_N6thrust23THRUST_200600_302600_NS16reverse_iteratorIPKiEESD_NSA_IPiEEiN6hipcub16HIPCUB_304000_NS3MaxENSH_8EqualityEiEE10hipError_tPvRmT2_T3_T4_T5_mT6_T7_P12ihipStream_tbENKUlT_T0_E_clISt17integral_constantIbLb1EESZ_IbLb0EEEEDaSV_SW_EUlSV_E_NS1_11comp_targetILNS1_3genE3ELNS1_11target_archE908ELNS1_3gpuE7ELNS1_3repE0EEENS1_30default_config_static_selectorELNS0_4arch9wavefront6targetE1EEEvT1_
                                        ; -- End function
	.set _ZN7rocprim17ROCPRIM_400000_NS6detail17trampoline_kernelINS0_14default_configENS1_27scan_by_key_config_selectorIiiEEZZNS1_16scan_by_key_implILNS1_25lookback_scan_determinismE0ELb0ES3_N6thrust23THRUST_200600_302600_NS16reverse_iteratorIPKiEESD_NSA_IPiEEiN6hipcub16HIPCUB_304000_NS3MaxENSH_8EqualityEiEE10hipError_tPvRmT2_T3_T4_T5_mT6_T7_P12ihipStream_tbENKUlT_T0_E_clISt17integral_constantIbLb1EESZ_IbLb0EEEEDaSV_SW_EUlSV_E_NS1_11comp_targetILNS1_3genE3ELNS1_11target_archE908ELNS1_3gpuE7ELNS1_3repE0EEENS1_30default_config_static_selectorELNS0_4arch9wavefront6targetE1EEEvT1_.num_vgpr, 0
	.set _ZN7rocprim17ROCPRIM_400000_NS6detail17trampoline_kernelINS0_14default_configENS1_27scan_by_key_config_selectorIiiEEZZNS1_16scan_by_key_implILNS1_25lookback_scan_determinismE0ELb0ES3_N6thrust23THRUST_200600_302600_NS16reverse_iteratorIPKiEESD_NSA_IPiEEiN6hipcub16HIPCUB_304000_NS3MaxENSH_8EqualityEiEE10hipError_tPvRmT2_T3_T4_T5_mT6_T7_P12ihipStream_tbENKUlT_T0_E_clISt17integral_constantIbLb1EESZ_IbLb0EEEEDaSV_SW_EUlSV_E_NS1_11comp_targetILNS1_3genE3ELNS1_11target_archE908ELNS1_3gpuE7ELNS1_3repE0EEENS1_30default_config_static_selectorELNS0_4arch9wavefront6targetE1EEEvT1_.num_agpr, 0
	.set _ZN7rocprim17ROCPRIM_400000_NS6detail17trampoline_kernelINS0_14default_configENS1_27scan_by_key_config_selectorIiiEEZZNS1_16scan_by_key_implILNS1_25lookback_scan_determinismE0ELb0ES3_N6thrust23THRUST_200600_302600_NS16reverse_iteratorIPKiEESD_NSA_IPiEEiN6hipcub16HIPCUB_304000_NS3MaxENSH_8EqualityEiEE10hipError_tPvRmT2_T3_T4_T5_mT6_T7_P12ihipStream_tbENKUlT_T0_E_clISt17integral_constantIbLb1EESZ_IbLb0EEEEDaSV_SW_EUlSV_E_NS1_11comp_targetILNS1_3genE3ELNS1_11target_archE908ELNS1_3gpuE7ELNS1_3repE0EEENS1_30default_config_static_selectorELNS0_4arch9wavefront6targetE1EEEvT1_.numbered_sgpr, 0
	.set _ZN7rocprim17ROCPRIM_400000_NS6detail17trampoline_kernelINS0_14default_configENS1_27scan_by_key_config_selectorIiiEEZZNS1_16scan_by_key_implILNS1_25lookback_scan_determinismE0ELb0ES3_N6thrust23THRUST_200600_302600_NS16reverse_iteratorIPKiEESD_NSA_IPiEEiN6hipcub16HIPCUB_304000_NS3MaxENSH_8EqualityEiEE10hipError_tPvRmT2_T3_T4_T5_mT6_T7_P12ihipStream_tbENKUlT_T0_E_clISt17integral_constantIbLb1EESZ_IbLb0EEEEDaSV_SW_EUlSV_E_NS1_11comp_targetILNS1_3genE3ELNS1_11target_archE908ELNS1_3gpuE7ELNS1_3repE0EEENS1_30default_config_static_selectorELNS0_4arch9wavefront6targetE1EEEvT1_.num_named_barrier, 0
	.set _ZN7rocprim17ROCPRIM_400000_NS6detail17trampoline_kernelINS0_14default_configENS1_27scan_by_key_config_selectorIiiEEZZNS1_16scan_by_key_implILNS1_25lookback_scan_determinismE0ELb0ES3_N6thrust23THRUST_200600_302600_NS16reverse_iteratorIPKiEESD_NSA_IPiEEiN6hipcub16HIPCUB_304000_NS3MaxENSH_8EqualityEiEE10hipError_tPvRmT2_T3_T4_T5_mT6_T7_P12ihipStream_tbENKUlT_T0_E_clISt17integral_constantIbLb1EESZ_IbLb0EEEEDaSV_SW_EUlSV_E_NS1_11comp_targetILNS1_3genE3ELNS1_11target_archE908ELNS1_3gpuE7ELNS1_3repE0EEENS1_30default_config_static_selectorELNS0_4arch9wavefront6targetE1EEEvT1_.private_seg_size, 0
	.set _ZN7rocprim17ROCPRIM_400000_NS6detail17trampoline_kernelINS0_14default_configENS1_27scan_by_key_config_selectorIiiEEZZNS1_16scan_by_key_implILNS1_25lookback_scan_determinismE0ELb0ES3_N6thrust23THRUST_200600_302600_NS16reverse_iteratorIPKiEESD_NSA_IPiEEiN6hipcub16HIPCUB_304000_NS3MaxENSH_8EqualityEiEE10hipError_tPvRmT2_T3_T4_T5_mT6_T7_P12ihipStream_tbENKUlT_T0_E_clISt17integral_constantIbLb1EESZ_IbLb0EEEEDaSV_SW_EUlSV_E_NS1_11comp_targetILNS1_3genE3ELNS1_11target_archE908ELNS1_3gpuE7ELNS1_3repE0EEENS1_30default_config_static_selectorELNS0_4arch9wavefront6targetE1EEEvT1_.uses_vcc, 0
	.set _ZN7rocprim17ROCPRIM_400000_NS6detail17trampoline_kernelINS0_14default_configENS1_27scan_by_key_config_selectorIiiEEZZNS1_16scan_by_key_implILNS1_25lookback_scan_determinismE0ELb0ES3_N6thrust23THRUST_200600_302600_NS16reverse_iteratorIPKiEESD_NSA_IPiEEiN6hipcub16HIPCUB_304000_NS3MaxENSH_8EqualityEiEE10hipError_tPvRmT2_T3_T4_T5_mT6_T7_P12ihipStream_tbENKUlT_T0_E_clISt17integral_constantIbLb1EESZ_IbLb0EEEEDaSV_SW_EUlSV_E_NS1_11comp_targetILNS1_3genE3ELNS1_11target_archE908ELNS1_3gpuE7ELNS1_3repE0EEENS1_30default_config_static_selectorELNS0_4arch9wavefront6targetE1EEEvT1_.uses_flat_scratch, 0
	.set _ZN7rocprim17ROCPRIM_400000_NS6detail17trampoline_kernelINS0_14default_configENS1_27scan_by_key_config_selectorIiiEEZZNS1_16scan_by_key_implILNS1_25lookback_scan_determinismE0ELb0ES3_N6thrust23THRUST_200600_302600_NS16reverse_iteratorIPKiEESD_NSA_IPiEEiN6hipcub16HIPCUB_304000_NS3MaxENSH_8EqualityEiEE10hipError_tPvRmT2_T3_T4_T5_mT6_T7_P12ihipStream_tbENKUlT_T0_E_clISt17integral_constantIbLb1EESZ_IbLb0EEEEDaSV_SW_EUlSV_E_NS1_11comp_targetILNS1_3genE3ELNS1_11target_archE908ELNS1_3gpuE7ELNS1_3repE0EEENS1_30default_config_static_selectorELNS0_4arch9wavefront6targetE1EEEvT1_.has_dyn_sized_stack, 0
	.set _ZN7rocprim17ROCPRIM_400000_NS6detail17trampoline_kernelINS0_14default_configENS1_27scan_by_key_config_selectorIiiEEZZNS1_16scan_by_key_implILNS1_25lookback_scan_determinismE0ELb0ES3_N6thrust23THRUST_200600_302600_NS16reverse_iteratorIPKiEESD_NSA_IPiEEiN6hipcub16HIPCUB_304000_NS3MaxENSH_8EqualityEiEE10hipError_tPvRmT2_T3_T4_T5_mT6_T7_P12ihipStream_tbENKUlT_T0_E_clISt17integral_constantIbLb1EESZ_IbLb0EEEEDaSV_SW_EUlSV_E_NS1_11comp_targetILNS1_3genE3ELNS1_11target_archE908ELNS1_3gpuE7ELNS1_3repE0EEENS1_30default_config_static_selectorELNS0_4arch9wavefront6targetE1EEEvT1_.has_recursion, 0
	.set _ZN7rocprim17ROCPRIM_400000_NS6detail17trampoline_kernelINS0_14default_configENS1_27scan_by_key_config_selectorIiiEEZZNS1_16scan_by_key_implILNS1_25lookback_scan_determinismE0ELb0ES3_N6thrust23THRUST_200600_302600_NS16reverse_iteratorIPKiEESD_NSA_IPiEEiN6hipcub16HIPCUB_304000_NS3MaxENSH_8EqualityEiEE10hipError_tPvRmT2_T3_T4_T5_mT6_T7_P12ihipStream_tbENKUlT_T0_E_clISt17integral_constantIbLb1EESZ_IbLb0EEEEDaSV_SW_EUlSV_E_NS1_11comp_targetILNS1_3genE3ELNS1_11target_archE908ELNS1_3gpuE7ELNS1_3repE0EEENS1_30default_config_static_selectorELNS0_4arch9wavefront6targetE1EEEvT1_.has_indirect_call, 0
	.section	.AMDGPU.csdata,"",@progbits
; Kernel info:
; codeLenInByte = 0
; TotalNumSgprs: 6
; NumVgprs: 0
; NumAgprs: 0
; TotalNumVgprs: 0
; ScratchSize: 0
; MemoryBound: 0
; FloatMode: 240
; IeeeMode: 1
; LDSByteSize: 0 bytes/workgroup (compile time only)
; SGPRBlocks: 0
; VGPRBlocks: 0
; NumSGPRsForWavesPerEU: 6
; NumVGPRsForWavesPerEU: 1
; AccumOffset: 4
; Occupancy: 8
; WaveLimiterHint : 0
; COMPUTE_PGM_RSRC2:SCRATCH_EN: 0
; COMPUTE_PGM_RSRC2:USER_SGPR: 2
; COMPUTE_PGM_RSRC2:TRAP_HANDLER: 0
; COMPUTE_PGM_RSRC2:TGID_X_EN: 1
; COMPUTE_PGM_RSRC2:TGID_Y_EN: 0
; COMPUTE_PGM_RSRC2:TGID_Z_EN: 0
; COMPUTE_PGM_RSRC2:TIDIG_COMP_CNT: 0
; COMPUTE_PGM_RSRC3_GFX90A:ACCUM_OFFSET: 0
; COMPUTE_PGM_RSRC3_GFX90A:TG_SPLIT: 0
	.section	.text._ZN7rocprim17ROCPRIM_400000_NS6detail17trampoline_kernelINS0_14default_configENS1_27scan_by_key_config_selectorIiiEEZZNS1_16scan_by_key_implILNS1_25lookback_scan_determinismE0ELb0ES3_N6thrust23THRUST_200600_302600_NS16reverse_iteratorIPKiEESD_NSA_IPiEEiN6hipcub16HIPCUB_304000_NS3MaxENSH_8EqualityEiEE10hipError_tPvRmT2_T3_T4_T5_mT6_T7_P12ihipStream_tbENKUlT_T0_E_clISt17integral_constantIbLb1EESZ_IbLb0EEEEDaSV_SW_EUlSV_E_NS1_11comp_targetILNS1_3genE2ELNS1_11target_archE906ELNS1_3gpuE6ELNS1_3repE0EEENS1_30default_config_static_selectorELNS0_4arch9wavefront6targetE1EEEvT1_,"axG",@progbits,_ZN7rocprim17ROCPRIM_400000_NS6detail17trampoline_kernelINS0_14default_configENS1_27scan_by_key_config_selectorIiiEEZZNS1_16scan_by_key_implILNS1_25lookback_scan_determinismE0ELb0ES3_N6thrust23THRUST_200600_302600_NS16reverse_iteratorIPKiEESD_NSA_IPiEEiN6hipcub16HIPCUB_304000_NS3MaxENSH_8EqualityEiEE10hipError_tPvRmT2_T3_T4_T5_mT6_T7_P12ihipStream_tbENKUlT_T0_E_clISt17integral_constantIbLb1EESZ_IbLb0EEEEDaSV_SW_EUlSV_E_NS1_11comp_targetILNS1_3genE2ELNS1_11target_archE906ELNS1_3gpuE6ELNS1_3repE0EEENS1_30default_config_static_selectorELNS0_4arch9wavefront6targetE1EEEvT1_,comdat
	.protected	_ZN7rocprim17ROCPRIM_400000_NS6detail17trampoline_kernelINS0_14default_configENS1_27scan_by_key_config_selectorIiiEEZZNS1_16scan_by_key_implILNS1_25lookback_scan_determinismE0ELb0ES3_N6thrust23THRUST_200600_302600_NS16reverse_iteratorIPKiEESD_NSA_IPiEEiN6hipcub16HIPCUB_304000_NS3MaxENSH_8EqualityEiEE10hipError_tPvRmT2_T3_T4_T5_mT6_T7_P12ihipStream_tbENKUlT_T0_E_clISt17integral_constantIbLb1EESZ_IbLb0EEEEDaSV_SW_EUlSV_E_NS1_11comp_targetILNS1_3genE2ELNS1_11target_archE906ELNS1_3gpuE6ELNS1_3repE0EEENS1_30default_config_static_selectorELNS0_4arch9wavefront6targetE1EEEvT1_ ; -- Begin function _ZN7rocprim17ROCPRIM_400000_NS6detail17trampoline_kernelINS0_14default_configENS1_27scan_by_key_config_selectorIiiEEZZNS1_16scan_by_key_implILNS1_25lookback_scan_determinismE0ELb0ES3_N6thrust23THRUST_200600_302600_NS16reverse_iteratorIPKiEESD_NSA_IPiEEiN6hipcub16HIPCUB_304000_NS3MaxENSH_8EqualityEiEE10hipError_tPvRmT2_T3_T4_T5_mT6_T7_P12ihipStream_tbENKUlT_T0_E_clISt17integral_constantIbLb1EESZ_IbLb0EEEEDaSV_SW_EUlSV_E_NS1_11comp_targetILNS1_3genE2ELNS1_11target_archE906ELNS1_3gpuE6ELNS1_3repE0EEENS1_30default_config_static_selectorELNS0_4arch9wavefront6targetE1EEEvT1_
	.globl	_ZN7rocprim17ROCPRIM_400000_NS6detail17trampoline_kernelINS0_14default_configENS1_27scan_by_key_config_selectorIiiEEZZNS1_16scan_by_key_implILNS1_25lookback_scan_determinismE0ELb0ES3_N6thrust23THRUST_200600_302600_NS16reverse_iteratorIPKiEESD_NSA_IPiEEiN6hipcub16HIPCUB_304000_NS3MaxENSH_8EqualityEiEE10hipError_tPvRmT2_T3_T4_T5_mT6_T7_P12ihipStream_tbENKUlT_T0_E_clISt17integral_constantIbLb1EESZ_IbLb0EEEEDaSV_SW_EUlSV_E_NS1_11comp_targetILNS1_3genE2ELNS1_11target_archE906ELNS1_3gpuE6ELNS1_3repE0EEENS1_30default_config_static_selectorELNS0_4arch9wavefront6targetE1EEEvT1_
	.p2align	8
	.type	_ZN7rocprim17ROCPRIM_400000_NS6detail17trampoline_kernelINS0_14default_configENS1_27scan_by_key_config_selectorIiiEEZZNS1_16scan_by_key_implILNS1_25lookback_scan_determinismE0ELb0ES3_N6thrust23THRUST_200600_302600_NS16reverse_iteratorIPKiEESD_NSA_IPiEEiN6hipcub16HIPCUB_304000_NS3MaxENSH_8EqualityEiEE10hipError_tPvRmT2_T3_T4_T5_mT6_T7_P12ihipStream_tbENKUlT_T0_E_clISt17integral_constantIbLb1EESZ_IbLb0EEEEDaSV_SW_EUlSV_E_NS1_11comp_targetILNS1_3genE2ELNS1_11target_archE906ELNS1_3gpuE6ELNS1_3repE0EEENS1_30default_config_static_selectorELNS0_4arch9wavefront6targetE1EEEvT1_,@function
_ZN7rocprim17ROCPRIM_400000_NS6detail17trampoline_kernelINS0_14default_configENS1_27scan_by_key_config_selectorIiiEEZZNS1_16scan_by_key_implILNS1_25lookback_scan_determinismE0ELb0ES3_N6thrust23THRUST_200600_302600_NS16reverse_iteratorIPKiEESD_NSA_IPiEEiN6hipcub16HIPCUB_304000_NS3MaxENSH_8EqualityEiEE10hipError_tPvRmT2_T3_T4_T5_mT6_T7_P12ihipStream_tbENKUlT_T0_E_clISt17integral_constantIbLb1EESZ_IbLb0EEEEDaSV_SW_EUlSV_E_NS1_11comp_targetILNS1_3genE2ELNS1_11target_archE906ELNS1_3gpuE6ELNS1_3repE0EEENS1_30default_config_static_selectorELNS0_4arch9wavefront6targetE1EEEvT1_: ; @_ZN7rocprim17ROCPRIM_400000_NS6detail17trampoline_kernelINS0_14default_configENS1_27scan_by_key_config_selectorIiiEEZZNS1_16scan_by_key_implILNS1_25lookback_scan_determinismE0ELb0ES3_N6thrust23THRUST_200600_302600_NS16reverse_iteratorIPKiEESD_NSA_IPiEEiN6hipcub16HIPCUB_304000_NS3MaxENSH_8EqualityEiEE10hipError_tPvRmT2_T3_T4_T5_mT6_T7_P12ihipStream_tbENKUlT_T0_E_clISt17integral_constantIbLb1EESZ_IbLb0EEEEDaSV_SW_EUlSV_E_NS1_11comp_targetILNS1_3genE2ELNS1_11target_archE906ELNS1_3gpuE6ELNS1_3repE0EEENS1_30default_config_static_selectorELNS0_4arch9wavefront6targetE1EEEvT1_
; %bb.0:
	.section	.rodata,"a",@progbits
	.p2align	6, 0x0
	.amdhsa_kernel _ZN7rocprim17ROCPRIM_400000_NS6detail17trampoline_kernelINS0_14default_configENS1_27scan_by_key_config_selectorIiiEEZZNS1_16scan_by_key_implILNS1_25lookback_scan_determinismE0ELb0ES3_N6thrust23THRUST_200600_302600_NS16reverse_iteratorIPKiEESD_NSA_IPiEEiN6hipcub16HIPCUB_304000_NS3MaxENSH_8EqualityEiEE10hipError_tPvRmT2_T3_T4_T5_mT6_T7_P12ihipStream_tbENKUlT_T0_E_clISt17integral_constantIbLb1EESZ_IbLb0EEEEDaSV_SW_EUlSV_E_NS1_11comp_targetILNS1_3genE2ELNS1_11target_archE906ELNS1_3gpuE6ELNS1_3repE0EEENS1_30default_config_static_selectorELNS0_4arch9wavefront6targetE1EEEvT1_
		.amdhsa_group_segment_fixed_size 0
		.amdhsa_private_segment_fixed_size 0
		.amdhsa_kernarg_size 112
		.amdhsa_user_sgpr_count 2
		.amdhsa_user_sgpr_dispatch_ptr 0
		.amdhsa_user_sgpr_queue_ptr 0
		.amdhsa_user_sgpr_kernarg_segment_ptr 1
		.amdhsa_user_sgpr_dispatch_id 0
		.amdhsa_user_sgpr_kernarg_preload_length 0
		.amdhsa_user_sgpr_kernarg_preload_offset 0
		.amdhsa_user_sgpr_private_segment_size 0
		.amdhsa_uses_dynamic_stack 0
		.amdhsa_enable_private_segment 0
		.amdhsa_system_sgpr_workgroup_id_x 1
		.amdhsa_system_sgpr_workgroup_id_y 0
		.amdhsa_system_sgpr_workgroup_id_z 0
		.amdhsa_system_sgpr_workgroup_info 0
		.amdhsa_system_vgpr_workitem_id 0
		.amdhsa_next_free_vgpr 1
		.amdhsa_next_free_sgpr 0
		.amdhsa_accum_offset 4
		.amdhsa_reserve_vcc 0
		.amdhsa_float_round_mode_32 0
		.amdhsa_float_round_mode_16_64 0
		.amdhsa_float_denorm_mode_32 3
		.amdhsa_float_denorm_mode_16_64 3
		.amdhsa_dx10_clamp 1
		.amdhsa_ieee_mode 1
		.amdhsa_fp16_overflow 0
		.amdhsa_tg_split 0
		.amdhsa_exception_fp_ieee_invalid_op 0
		.amdhsa_exception_fp_denorm_src 0
		.amdhsa_exception_fp_ieee_div_zero 0
		.amdhsa_exception_fp_ieee_overflow 0
		.amdhsa_exception_fp_ieee_underflow 0
		.amdhsa_exception_fp_ieee_inexact 0
		.amdhsa_exception_int_div_zero 0
	.end_amdhsa_kernel
	.section	.text._ZN7rocprim17ROCPRIM_400000_NS6detail17trampoline_kernelINS0_14default_configENS1_27scan_by_key_config_selectorIiiEEZZNS1_16scan_by_key_implILNS1_25lookback_scan_determinismE0ELb0ES3_N6thrust23THRUST_200600_302600_NS16reverse_iteratorIPKiEESD_NSA_IPiEEiN6hipcub16HIPCUB_304000_NS3MaxENSH_8EqualityEiEE10hipError_tPvRmT2_T3_T4_T5_mT6_T7_P12ihipStream_tbENKUlT_T0_E_clISt17integral_constantIbLb1EESZ_IbLb0EEEEDaSV_SW_EUlSV_E_NS1_11comp_targetILNS1_3genE2ELNS1_11target_archE906ELNS1_3gpuE6ELNS1_3repE0EEENS1_30default_config_static_selectorELNS0_4arch9wavefront6targetE1EEEvT1_,"axG",@progbits,_ZN7rocprim17ROCPRIM_400000_NS6detail17trampoline_kernelINS0_14default_configENS1_27scan_by_key_config_selectorIiiEEZZNS1_16scan_by_key_implILNS1_25lookback_scan_determinismE0ELb0ES3_N6thrust23THRUST_200600_302600_NS16reverse_iteratorIPKiEESD_NSA_IPiEEiN6hipcub16HIPCUB_304000_NS3MaxENSH_8EqualityEiEE10hipError_tPvRmT2_T3_T4_T5_mT6_T7_P12ihipStream_tbENKUlT_T0_E_clISt17integral_constantIbLb1EESZ_IbLb0EEEEDaSV_SW_EUlSV_E_NS1_11comp_targetILNS1_3genE2ELNS1_11target_archE906ELNS1_3gpuE6ELNS1_3repE0EEENS1_30default_config_static_selectorELNS0_4arch9wavefront6targetE1EEEvT1_,comdat
.Lfunc_end78:
	.size	_ZN7rocprim17ROCPRIM_400000_NS6detail17trampoline_kernelINS0_14default_configENS1_27scan_by_key_config_selectorIiiEEZZNS1_16scan_by_key_implILNS1_25lookback_scan_determinismE0ELb0ES3_N6thrust23THRUST_200600_302600_NS16reverse_iteratorIPKiEESD_NSA_IPiEEiN6hipcub16HIPCUB_304000_NS3MaxENSH_8EqualityEiEE10hipError_tPvRmT2_T3_T4_T5_mT6_T7_P12ihipStream_tbENKUlT_T0_E_clISt17integral_constantIbLb1EESZ_IbLb0EEEEDaSV_SW_EUlSV_E_NS1_11comp_targetILNS1_3genE2ELNS1_11target_archE906ELNS1_3gpuE6ELNS1_3repE0EEENS1_30default_config_static_selectorELNS0_4arch9wavefront6targetE1EEEvT1_, .Lfunc_end78-_ZN7rocprim17ROCPRIM_400000_NS6detail17trampoline_kernelINS0_14default_configENS1_27scan_by_key_config_selectorIiiEEZZNS1_16scan_by_key_implILNS1_25lookback_scan_determinismE0ELb0ES3_N6thrust23THRUST_200600_302600_NS16reverse_iteratorIPKiEESD_NSA_IPiEEiN6hipcub16HIPCUB_304000_NS3MaxENSH_8EqualityEiEE10hipError_tPvRmT2_T3_T4_T5_mT6_T7_P12ihipStream_tbENKUlT_T0_E_clISt17integral_constantIbLb1EESZ_IbLb0EEEEDaSV_SW_EUlSV_E_NS1_11comp_targetILNS1_3genE2ELNS1_11target_archE906ELNS1_3gpuE6ELNS1_3repE0EEENS1_30default_config_static_selectorELNS0_4arch9wavefront6targetE1EEEvT1_
                                        ; -- End function
	.set _ZN7rocprim17ROCPRIM_400000_NS6detail17trampoline_kernelINS0_14default_configENS1_27scan_by_key_config_selectorIiiEEZZNS1_16scan_by_key_implILNS1_25lookback_scan_determinismE0ELb0ES3_N6thrust23THRUST_200600_302600_NS16reverse_iteratorIPKiEESD_NSA_IPiEEiN6hipcub16HIPCUB_304000_NS3MaxENSH_8EqualityEiEE10hipError_tPvRmT2_T3_T4_T5_mT6_T7_P12ihipStream_tbENKUlT_T0_E_clISt17integral_constantIbLb1EESZ_IbLb0EEEEDaSV_SW_EUlSV_E_NS1_11comp_targetILNS1_3genE2ELNS1_11target_archE906ELNS1_3gpuE6ELNS1_3repE0EEENS1_30default_config_static_selectorELNS0_4arch9wavefront6targetE1EEEvT1_.num_vgpr, 0
	.set _ZN7rocprim17ROCPRIM_400000_NS6detail17trampoline_kernelINS0_14default_configENS1_27scan_by_key_config_selectorIiiEEZZNS1_16scan_by_key_implILNS1_25lookback_scan_determinismE0ELb0ES3_N6thrust23THRUST_200600_302600_NS16reverse_iteratorIPKiEESD_NSA_IPiEEiN6hipcub16HIPCUB_304000_NS3MaxENSH_8EqualityEiEE10hipError_tPvRmT2_T3_T4_T5_mT6_T7_P12ihipStream_tbENKUlT_T0_E_clISt17integral_constantIbLb1EESZ_IbLb0EEEEDaSV_SW_EUlSV_E_NS1_11comp_targetILNS1_3genE2ELNS1_11target_archE906ELNS1_3gpuE6ELNS1_3repE0EEENS1_30default_config_static_selectorELNS0_4arch9wavefront6targetE1EEEvT1_.num_agpr, 0
	.set _ZN7rocprim17ROCPRIM_400000_NS6detail17trampoline_kernelINS0_14default_configENS1_27scan_by_key_config_selectorIiiEEZZNS1_16scan_by_key_implILNS1_25lookback_scan_determinismE0ELb0ES3_N6thrust23THRUST_200600_302600_NS16reverse_iteratorIPKiEESD_NSA_IPiEEiN6hipcub16HIPCUB_304000_NS3MaxENSH_8EqualityEiEE10hipError_tPvRmT2_T3_T4_T5_mT6_T7_P12ihipStream_tbENKUlT_T0_E_clISt17integral_constantIbLb1EESZ_IbLb0EEEEDaSV_SW_EUlSV_E_NS1_11comp_targetILNS1_3genE2ELNS1_11target_archE906ELNS1_3gpuE6ELNS1_3repE0EEENS1_30default_config_static_selectorELNS0_4arch9wavefront6targetE1EEEvT1_.numbered_sgpr, 0
	.set _ZN7rocprim17ROCPRIM_400000_NS6detail17trampoline_kernelINS0_14default_configENS1_27scan_by_key_config_selectorIiiEEZZNS1_16scan_by_key_implILNS1_25lookback_scan_determinismE0ELb0ES3_N6thrust23THRUST_200600_302600_NS16reverse_iteratorIPKiEESD_NSA_IPiEEiN6hipcub16HIPCUB_304000_NS3MaxENSH_8EqualityEiEE10hipError_tPvRmT2_T3_T4_T5_mT6_T7_P12ihipStream_tbENKUlT_T0_E_clISt17integral_constantIbLb1EESZ_IbLb0EEEEDaSV_SW_EUlSV_E_NS1_11comp_targetILNS1_3genE2ELNS1_11target_archE906ELNS1_3gpuE6ELNS1_3repE0EEENS1_30default_config_static_selectorELNS0_4arch9wavefront6targetE1EEEvT1_.num_named_barrier, 0
	.set _ZN7rocprim17ROCPRIM_400000_NS6detail17trampoline_kernelINS0_14default_configENS1_27scan_by_key_config_selectorIiiEEZZNS1_16scan_by_key_implILNS1_25lookback_scan_determinismE0ELb0ES3_N6thrust23THRUST_200600_302600_NS16reverse_iteratorIPKiEESD_NSA_IPiEEiN6hipcub16HIPCUB_304000_NS3MaxENSH_8EqualityEiEE10hipError_tPvRmT2_T3_T4_T5_mT6_T7_P12ihipStream_tbENKUlT_T0_E_clISt17integral_constantIbLb1EESZ_IbLb0EEEEDaSV_SW_EUlSV_E_NS1_11comp_targetILNS1_3genE2ELNS1_11target_archE906ELNS1_3gpuE6ELNS1_3repE0EEENS1_30default_config_static_selectorELNS0_4arch9wavefront6targetE1EEEvT1_.private_seg_size, 0
	.set _ZN7rocprim17ROCPRIM_400000_NS6detail17trampoline_kernelINS0_14default_configENS1_27scan_by_key_config_selectorIiiEEZZNS1_16scan_by_key_implILNS1_25lookback_scan_determinismE0ELb0ES3_N6thrust23THRUST_200600_302600_NS16reverse_iteratorIPKiEESD_NSA_IPiEEiN6hipcub16HIPCUB_304000_NS3MaxENSH_8EqualityEiEE10hipError_tPvRmT2_T3_T4_T5_mT6_T7_P12ihipStream_tbENKUlT_T0_E_clISt17integral_constantIbLb1EESZ_IbLb0EEEEDaSV_SW_EUlSV_E_NS1_11comp_targetILNS1_3genE2ELNS1_11target_archE906ELNS1_3gpuE6ELNS1_3repE0EEENS1_30default_config_static_selectorELNS0_4arch9wavefront6targetE1EEEvT1_.uses_vcc, 0
	.set _ZN7rocprim17ROCPRIM_400000_NS6detail17trampoline_kernelINS0_14default_configENS1_27scan_by_key_config_selectorIiiEEZZNS1_16scan_by_key_implILNS1_25lookback_scan_determinismE0ELb0ES3_N6thrust23THRUST_200600_302600_NS16reverse_iteratorIPKiEESD_NSA_IPiEEiN6hipcub16HIPCUB_304000_NS3MaxENSH_8EqualityEiEE10hipError_tPvRmT2_T3_T4_T5_mT6_T7_P12ihipStream_tbENKUlT_T0_E_clISt17integral_constantIbLb1EESZ_IbLb0EEEEDaSV_SW_EUlSV_E_NS1_11comp_targetILNS1_3genE2ELNS1_11target_archE906ELNS1_3gpuE6ELNS1_3repE0EEENS1_30default_config_static_selectorELNS0_4arch9wavefront6targetE1EEEvT1_.uses_flat_scratch, 0
	.set _ZN7rocprim17ROCPRIM_400000_NS6detail17trampoline_kernelINS0_14default_configENS1_27scan_by_key_config_selectorIiiEEZZNS1_16scan_by_key_implILNS1_25lookback_scan_determinismE0ELb0ES3_N6thrust23THRUST_200600_302600_NS16reverse_iteratorIPKiEESD_NSA_IPiEEiN6hipcub16HIPCUB_304000_NS3MaxENSH_8EqualityEiEE10hipError_tPvRmT2_T3_T4_T5_mT6_T7_P12ihipStream_tbENKUlT_T0_E_clISt17integral_constantIbLb1EESZ_IbLb0EEEEDaSV_SW_EUlSV_E_NS1_11comp_targetILNS1_3genE2ELNS1_11target_archE906ELNS1_3gpuE6ELNS1_3repE0EEENS1_30default_config_static_selectorELNS0_4arch9wavefront6targetE1EEEvT1_.has_dyn_sized_stack, 0
	.set _ZN7rocprim17ROCPRIM_400000_NS6detail17trampoline_kernelINS0_14default_configENS1_27scan_by_key_config_selectorIiiEEZZNS1_16scan_by_key_implILNS1_25lookback_scan_determinismE0ELb0ES3_N6thrust23THRUST_200600_302600_NS16reverse_iteratorIPKiEESD_NSA_IPiEEiN6hipcub16HIPCUB_304000_NS3MaxENSH_8EqualityEiEE10hipError_tPvRmT2_T3_T4_T5_mT6_T7_P12ihipStream_tbENKUlT_T0_E_clISt17integral_constantIbLb1EESZ_IbLb0EEEEDaSV_SW_EUlSV_E_NS1_11comp_targetILNS1_3genE2ELNS1_11target_archE906ELNS1_3gpuE6ELNS1_3repE0EEENS1_30default_config_static_selectorELNS0_4arch9wavefront6targetE1EEEvT1_.has_recursion, 0
	.set _ZN7rocprim17ROCPRIM_400000_NS6detail17trampoline_kernelINS0_14default_configENS1_27scan_by_key_config_selectorIiiEEZZNS1_16scan_by_key_implILNS1_25lookback_scan_determinismE0ELb0ES3_N6thrust23THRUST_200600_302600_NS16reverse_iteratorIPKiEESD_NSA_IPiEEiN6hipcub16HIPCUB_304000_NS3MaxENSH_8EqualityEiEE10hipError_tPvRmT2_T3_T4_T5_mT6_T7_P12ihipStream_tbENKUlT_T0_E_clISt17integral_constantIbLb1EESZ_IbLb0EEEEDaSV_SW_EUlSV_E_NS1_11comp_targetILNS1_3genE2ELNS1_11target_archE906ELNS1_3gpuE6ELNS1_3repE0EEENS1_30default_config_static_selectorELNS0_4arch9wavefront6targetE1EEEvT1_.has_indirect_call, 0
	.section	.AMDGPU.csdata,"",@progbits
; Kernel info:
; codeLenInByte = 0
; TotalNumSgprs: 6
; NumVgprs: 0
; NumAgprs: 0
; TotalNumVgprs: 0
; ScratchSize: 0
; MemoryBound: 0
; FloatMode: 240
; IeeeMode: 1
; LDSByteSize: 0 bytes/workgroup (compile time only)
; SGPRBlocks: 0
; VGPRBlocks: 0
; NumSGPRsForWavesPerEU: 6
; NumVGPRsForWavesPerEU: 1
; AccumOffset: 4
; Occupancy: 8
; WaveLimiterHint : 0
; COMPUTE_PGM_RSRC2:SCRATCH_EN: 0
; COMPUTE_PGM_RSRC2:USER_SGPR: 2
; COMPUTE_PGM_RSRC2:TRAP_HANDLER: 0
; COMPUTE_PGM_RSRC2:TGID_X_EN: 1
; COMPUTE_PGM_RSRC2:TGID_Y_EN: 0
; COMPUTE_PGM_RSRC2:TGID_Z_EN: 0
; COMPUTE_PGM_RSRC2:TIDIG_COMP_CNT: 0
; COMPUTE_PGM_RSRC3_GFX90A:ACCUM_OFFSET: 0
; COMPUTE_PGM_RSRC3_GFX90A:TG_SPLIT: 0
	.section	.text._ZN7rocprim17ROCPRIM_400000_NS6detail17trampoline_kernelINS0_14default_configENS1_27scan_by_key_config_selectorIiiEEZZNS1_16scan_by_key_implILNS1_25lookback_scan_determinismE0ELb0ES3_N6thrust23THRUST_200600_302600_NS16reverse_iteratorIPKiEESD_NSA_IPiEEiN6hipcub16HIPCUB_304000_NS3MaxENSH_8EqualityEiEE10hipError_tPvRmT2_T3_T4_T5_mT6_T7_P12ihipStream_tbENKUlT_T0_E_clISt17integral_constantIbLb1EESZ_IbLb0EEEEDaSV_SW_EUlSV_E_NS1_11comp_targetILNS1_3genE10ELNS1_11target_archE1200ELNS1_3gpuE4ELNS1_3repE0EEENS1_30default_config_static_selectorELNS0_4arch9wavefront6targetE1EEEvT1_,"axG",@progbits,_ZN7rocprim17ROCPRIM_400000_NS6detail17trampoline_kernelINS0_14default_configENS1_27scan_by_key_config_selectorIiiEEZZNS1_16scan_by_key_implILNS1_25lookback_scan_determinismE0ELb0ES3_N6thrust23THRUST_200600_302600_NS16reverse_iteratorIPKiEESD_NSA_IPiEEiN6hipcub16HIPCUB_304000_NS3MaxENSH_8EqualityEiEE10hipError_tPvRmT2_T3_T4_T5_mT6_T7_P12ihipStream_tbENKUlT_T0_E_clISt17integral_constantIbLb1EESZ_IbLb0EEEEDaSV_SW_EUlSV_E_NS1_11comp_targetILNS1_3genE10ELNS1_11target_archE1200ELNS1_3gpuE4ELNS1_3repE0EEENS1_30default_config_static_selectorELNS0_4arch9wavefront6targetE1EEEvT1_,comdat
	.protected	_ZN7rocprim17ROCPRIM_400000_NS6detail17trampoline_kernelINS0_14default_configENS1_27scan_by_key_config_selectorIiiEEZZNS1_16scan_by_key_implILNS1_25lookback_scan_determinismE0ELb0ES3_N6thrust23THRUST_200600_302600_NS16reverse_iteratorIPKiEESD_NSA_IPiEEiN6hipcub16HIPCUB_304000_NS3MaxENSH_8EqualityEiEE10hipError_tPvRmT2_T3_T4_T5_mT6_T7_P12ihipStream_tbENKUlT_T0_E_clISt17integral_constantIbLb1EESZ_IbLb0EEEEDaSV_SW_EUlSV_E_NS1_11comp_targetILNS1_3genE10ELNS1_11target_archE1200ELNS1_3gpuE4ELNS1_3repE0EEENS1_30default_config_static_selectorELNS0_4arch9wavefront6targetE1EEEvT1_ ; -- Begin function _ZN7rocprim17ROCPRIM_400000_NS6detail17trampoline_kernelINS0_14default_configENS1_27scan_by_key_config_selectorIiiEEZZNS1_16scan_by_key_implILNS1_25lookback_scan_determinismE0ELb0ES3_N6thrust23THRUST_200600_302600_NS16reverse_iteratorIPKiEESD_NSA_IPiEEiN6hipcub16HIPCUB_304000_NS3MaxENSH_8EqualityEiEE10hipError_tPvRmT2_T3_T4_T5_mT6_T7_P12ihipStream_tbENKUlT_T0_E_clISt17integral_constantIbLb1EESZ_IbLb0EEEEDaSV_SW_EUlSV_E_NS1_11comp_targetILNS1_3genE10ELNS1_11target_archE1200ELNS1_3gpuE4ELNS1_3repE0EEENS1_30default_config_static_selectorELNS0_4arch9wavefront6targetE1EEEvT1_
	.globl	_ZN7rocprim17ROCPRIM_400000_NS6detail17trampoline_kernelINS0_14default_configENS1_27scan_by_key_config_selectorIiiEEZZNS1_16scan_by_key_implILNS1_25lookback_scan_determinismE0ELb0ES3_N6thrust23THRUST_200600_302600_NS16reverse_iteratorIPKiEESD_NSA_IPiEEiN6hipcub16HIPCUB_304000_NS3MaxENSH_8EqualityEiEE10hipError_tPvRmT2_T3_T4_T5_mT6_T7_P12ihipStream_tbENKUlT_T0_E_clISt17integral_constantIbLb1EESZ_IbLb0EEEEDaSV_SW_EUlSV_E_NS1_11comp_targetILNS1_3genE10ELNS1_11target_archE1200ELNS1_3gpuE4ELNS1_3repE0EEENS1_30default_config_static_selectorELNS0_4arch9wavefront6targetE1EEEvT1_
	.p2align	8
	.type	_ZN7rocprim17ROCPRIM_400000_NS6detail17trampoline_kernelINS0_14default_configENS1_27scan_by_key_config_selectorIiiEEZZNS1_16scan_by_key_implILNS1_25lookback_scan_determinismE0ELb0ES3_N6thrust23THRUST_200600_302600_NS16reverse_iteratorIPKiEESD_NSA_IPiEEiN6hipcub16HIPCUB_304000_NS3MaxENSH_8EqualityEiEE10hipError_tPvRmT2_T3_T4_T5_mT6_T7_P12ihipStream_tbENKUlT_T0_E_clISt17integral_constantIbLb1EESZ_IbLb0EEEEDaSV_SW_EUlSV_E_NS1_11comp_targetILNS1_3genE10ELNS1_11target_archE1200ELNS1_3gpuE4ELNS1_3repE0EEENS1_30default_config_static_selectorELNS0_4arch9wavefront6targetE1EEEvT1_,@function
_ZN7rocprim17ROCPRIM_400000_NS6detail17trampoline_kernelINS0_14default_configENS1_27scan_by_key_config_selectorIiiEEZZNS1_16scan_by_key_implILNS1_25lookback_scan_determinismE0ELb0ES3_N6thrust23THRUST_200600_302600_NS16reverse_iteratorIPKiEESD_NSA_IPiEEiN6hipcub16HIPCUB_304000_NS3MaxENSH_8EqualityEiEE10hipError_tPvRmT2_T3_T4_T5_mT6_T7_P12ihipStream_tbENKUlT_T0_E_clISt17integral_constantIbLb1EESZ_IbLb0EEEEDaSV_SW_EUlSV_E_NS1_11comp_targetILNS1_3genE10ELNS1_11target_archE1200ELNS1_3gpuE4ELNS1_3repE0EEENS1_30default_config_static_selectorELNS0_4arch9wavefront6targetE1EEEvT1_: ; @_ZN7rocprim17ROCPRIM_400000_NS6detail17trampoline_kernelINS0_14default_configENS1_27scan_by_key_config_selectorIiiEEZZNS1_16scan_by_key_implILNS1_25lookback_scan_determinismE0ELb0ES3_N6thrust23THRUST_200600_302600_NS16reverse_iteratorIPKiEESD_NSA_IPiEEiN6hipcub16HIPCUB_304000_NS3MaxENSH_8EqualityEiEE10hipError_tPvRmT2_T3_T4_T5_mT6_T7_P12ihipStream_tbENKUlT_T0_E_clISt17integral_constantIbLb1EESZ_IbLb0EEEEDaSV_SW_EUlSV_E_NS1_11comp_targetILNS1_3genE10ELNS1_11target_archE1200ELNS1_3gpuE4ELNS1_3repE0EEENS1_30default_config_static_selectorELNS0_4arch9wavefront6targetE1EEEvT1_
; %bb.0:
	.section	.rodata,"a",@progbits
	.p2align	6, 0x0
	.amdhsa_kernel _ZN7rocprim17ROCPRIM_400000_NS6detail17trampoline_kernelINS0_14default_configENS1_27scan_by_key_config_selectorIiiEEZZNS1_16scan_by_key_implILNS1_25lookback_scan_determinismE0ELb0ES3_N6thrust23THRUST_200600_302600_NS16reverse_iteratorIPKiEESD_NSA_IPiEEiN6hipcub16HIPCUB_304000_NS3MaxENSH_8EqualityEiEE10hipError_tPvRmT2_T3_T4_T5_mT6_T7_P12ihipStream_tbENKUlT_T0_E_clISt17integral_constantIbLb1EESZ_IbLb0EEEEDaSV_SW_EUlSV_E_NS1_11comp_targetILNS1_3genE10ELNS1_11target_archE1200ELNS1_3gpuE4ELNS1_3repE0EEENS1_30default_config_static_selectorELNS0_4arch9wavefront6targetE1EEEvT1_
		.amdhsa_group_segment_fixed_size 0
		.amdhsa_private_segment_fixed_size 0
		.amdhsa_kernarg_size 112
		.amdhsa_user_sgpr_count 2
		.amdhsa_user_sgpr_dispatch_ptr 0
		.amdhsa_user_sgpr_queue_ptr 0
		.amdhsa_user_sgpr_kernarg_segment_ptr 1
		.amdhsa_user_sgpr_dispatch_id 0
		.amdhsa_user_sgpr_kernarg_preload_length 0
		.amdhsa_user_sgpr_kernarg_preload_offset 0
		.amdhsa_user_sgpr_private_segment_size 0
		.amdhsa_uses_dynamic_stack 0
		.amdhsa_enable_private_segment 0
		.amdhsa_system_sgpr_workgroup_id_x 1
		.amdhsa_system_sgpr_workgroup_id_y 0
		.amdhsa_system_sgpr_workgroup_id_z 0
		.amdhsa_system_sgpr_workgroup_info 0
		.amdhsa_system_vgpr_workitem_id 0
		.amdhsa_next_free_vgpr 1
		.amdhsa_next_free_sgpr 0
		.amdhsa_accum_offset 4
		.amdhsa_reserve_vcc 0
		.amdhsa_float_round_mode_32 0
		.amdhsa_float_round_mode_16_64 0
		.amdhsa_float_denorm_mode_32 3
		.amdhsa_float_denorm_mode_16_64 3
		.amdhsa_dx10_clamp 1
		.amdhsa_ieee_mode 1
		.amdhsa_fp16_overflow 0
		.amdhsa_tg_split 0
		.amdhsa_exception_fp_ieee_invalid_op 0
		.amdhsa_exception_fp_denorm_src 0
		.amdhsa_exception_fp_ieee_div_zero 0
		.amdhsa_exception_fp_ieee_overflow 0
		.amdhsa_exception_fp_ieee_underflow 0
		.amdhsa_exception_fp_ieee_inexact 0
		.amdhsa_exception_int_div_zero 0
	.end_amdhsa_kernel
	.section	.text._ZN7rocprim17ROCPRIM_400000_NS6detail17trampoline_kernelINS0_14default_configENS1_27scan_by_key_config_selectorIiiEEZZNS1_16scan_by_key_implILNS1_25lookback_scan_determinismE0ELb0ES3_N6thrust23THRUST_200600_302600_NS16reverse_iteratorIPKiEESD_NSA_IPiEEiN6hipcub16HIPCUB_304000_NS3MaxENSH_8EqualityEiEE10hipError_tPvRmT2_T3_T4_T5_mT6_T7_P12ihipStream_tbENKUlT_T0_E_clISt17integral_constantIbLb1EESZ_IbLb0EEEEDaSV_SW_EUlSV_E_NS1_11comp_targetILNS1_3genE10ELNS1_11target_archE1200ELNS1_3gpuE4ELNS1_3repE0EEENS1_30default_config_static_selectorELNS0_4arch9wavefront6targetE1EEEvT1_,"axG",@progbits,_ZN7rocprim17ROCPRIM_400000_NS6detail17trampoline_kernelINS0_14default_configENS1_27scan_by_key_config_selectorIiiEEZZNS1_16scan_by_key_implILNS1_25lookback_scan_determinismE0ELb0ES3_N6thrust23THRUST_200600_302600_NS16reverse_iteratorIPKiEESD_NSA_IPiEEiN6hipcub16HIPCUB_304000_NS3MaxENSH_8EqualityEiEE10hipError_tPvRmT2_T3_T4_T5_mT6_T7_P12ihipStream_tbENKUlT_T0_E_clISt17integral_constantIbLb1EESZ_IbLb0EEEEDaSV_SW_EUlSV_E_NS1_11comp_targetILNS1_3genE10ELNS1_11target_archE1200ELNS1_3gpuE4ELNS1_3repE0EEENS1_30default_config_static_selectorELNS0_4arch9wavefront6targetE1EEEvT1_,comdat
.Lfunc_end79:
	.size	_ZN7rocprim17ROCPRIM_400000_NS6detail17trampoline_kernelINS0_14default_configENS1_27scan_by_key_config_selectorIiiEEZZNS1_16scan_by_key_implILNS1_25lookback_scan_determinismE0ELb0ES3_N6thrust23THRUST_200600_302600_NS16reverse_iteratorIPKiEESD_NSA_IPiEEiN6hipcub16HIPCUB_304000_NS3MaxENSH_8EqualityEiEE10hipError_tPvRmT2_T3_T4_T5_mT6_T7_P12ihipStream_tbENKUlT_T0_E_clISt17integral_constantIbLb1EESZ_IbLb0EEEEDaSV_SW_EUlSV_E_NS1_11comp_targetILNS1_3genE10ELNS1_11target_archE1200ELNS1_3gpuE4ELNS1_3repE0EEENS1_30default_config_static_selectorELNS0_4arch9wavefront6targetE1EEEvT1_, .Lfunc_end79-_ZN7rocprim17ROCPRIM_400000_NS6detail17trampoline_kernelINS0_14default_configENS1_27scan_by_key_config_selectorIiiEEZZNS1_16scan_by_key_implILNS1_25lookback_scan_determinismE0ELb0ES3_N6thrust23THRUST_200600_302600_NS16reverse_iteratorIPKiEESD_NSA_IPiEEiN6hipcub16HIPCUB_304000_NS3MaxENSH_8EqualityEiEE10hipError_tPvRmT2_T3_T4_T5_mT6_T7_P12ihipStream_tbENKUlT_T0_E_clISt17integral_constantIbLb1EESZ_IbLb0EEEEDaSV_SW_EUlSV_E_NS1_11comp_targetILNS1_3genE10ELNS1_11target_archE1200ELNS1_3gpuE4ELNS1_3repE0EEENS1_30default_config_static_selectorELNS0_4arch9wavefront6targetE1EEEvT1_
                                        ; -- End function
	.set _ZN7rocprim17ROCPRIM_400000_NS6detail17trampoline_kernelINS0_14default_configENS1_27scan_by_key_config_selectorIiiEEZZNS1_16scan_by_key_implILNS1_25lookback_scan_determinismE0ELb0ES3_N6thrust23THRUST_200600_302600_NS16reverse_iteratorIPKiEESD_NSA_IPiEEiN6hipcub16HIPCUB_304000_NS3MaxENSH_8EqualityEiEE10hipError_tPvRmT2_T3_T4_T5_mT6_T7_P12ihipStream_tbENKUlT_T0_E_clISt17integral_constantIbLb1EESZ_IbLb0EEEEDaSV_SW_EUlSV_E_NS1_11comp_targetILNS1_3genE10ELNS1_11target_archE1200ELNS1_3gpuE4ELNS1_3repE0EEENS1_30default_config_static_selectorELNS0_4arch9wavefront6targetE1EEEvT1_.num_vgpr, 0
	.set _ZN7rocprim17ROCPRIM_400000_NS6detail17trampoline_kernelINS0_14default_configENS1_27scan_by_key_config_selectorIiiEEZZNS1_16scan_by_key_implILNS1_25lookback_scan_determinismE0ELb0ES3_N6thrust23THRUST_200600_302600_NS16reverse_iteratorIPKiEESD_NSA_IPiEEiN6hipcub16HIPCUB_304000_NS3MaxENSH_8EqualityEiEE10hipError_tPvRmT2_T3_T4_T5_mT6_T7_P12ihipStream_tbENKUlT_T0_E_clISt17integral_constantIbLb1EESZ_IbLb0EEEEDaSV_SW_EUlSV_E_NS1_11comp_targetILNS1_3genE10ELNS1_11target_archE1200ELNS1_3gpuE4ELNS1_3repE0EEENS1_30default_config_static_selectorELNS0_4arch9wavefront6targetE1EEEvT1_.num_agpr, 0
	.set _ZN7rocprim17ROCPRIM_400000_NS6detail17trampoline_kernelINS0_14default_configENS1_27scan_by_key_config_selectorIiiEEZZNS1_16scan_by_key_implILNS1_25lookback_scan_determinismE0ELb0ES3_N6thrust23THRUST_200600_302600_NS16reverse_iteratorIPKiEESD_NSA_IPiEEiN6hipcub16HIPCUB_304000_NS3MaxENSH_8EqualityEiEE10hipError_tPvRmT2_T3_T4_T5_mT6_T7_P12ihipStream_tbENKUlT_T0_E_clISt17integral_constantIbLb1EESZ_IbLb0EEEEDaSV_SW_EUlSV_E_NS1_11comp_targetILNS1_3genE10ELNS1_11target_archE1200ELNS1_3gpuE4ELNS1_3repE0EEENS1_30default_config_static_selectorELNS0_4arch9wavefront6targetE1EEEvT1_.numbered_sgpr, 0
	.set _ZN7rocprim17ROCPRIM_400000_NS6detail17trampoline_kernelINS0_14default_configENS1_27scan_by_key_config_selectorIiiEEZZNS1_16scan_by_key_implILNS1_25lookback_scan_determinismE0ELb0ES3_N6thrust23THRUST_200600_302600_NS16reverse_iteratorIPKiEESD_NSA_IPiEEiN6hipcub16HIPCUB_304000_NS3MaxENSH_8EqualityEiEE10hipError_tPvRmT2_T3_T4_T5_mT6_T7_P12ihipStream_tbENKUlT_T0_E_clISt17integral_constantIbLb1EESZ_IbLb0EEEEDaSV_SW_EUlSV_E_NS1_11comp_targetILNS1_3genE10ELNS1_11target_archE1200ELNS1_3gpuE4ELNS1_3repE0EEENS1_30default_config_static_selectorELNS0_4arch9wavefront6targetE1EEEvT1_.num_named_barrier, 0
	.set _ZN7rocprim17ROCPRIM_400000_NS6detail17trampoline_kernelINS0_14default_configENS1_27scan_by_key_config_selectorIiiEEZZNS1_16scan_by_key_implILNS1_25lookback_scan_determinismE0ELb0ES3_N6thrust23THRUST_200600_302600_NS16reverse_iteratorIPKiEESD_NSA_IPiEEiN6hipcub16HIPCUB_304000_NS3MaxENSH_8EqualityEiEE10hipError_tPvRmT2_T3_T4_T5_mT6_T7_P12ihipStream_tbENKUlT_T0_E_clISt17integral_constantIbLb1EESZ_IbLb0EEEEDaSV_SW_EUlSV_E_NS1_11comp_targetILNS1_3genE10ELNS1_11target_archE1200ELNS1_3gpuE4ELNS1_3repE0EEENS1_30default_config_static_selectorELNS0_4arch9wavefront6targetE1EEEvT1_.private_seg_size, 0
	.set _ZN7rocprim17ROCPRIM_400000_NS6detail17trampoline_kernelINS0_14default_configENS1_27scan_by_key_config_selectorIiiEEZZNS1_16scan_by_key_implILNS1_25lookback_scan_determinismE0ELb0ES3_N6thrust23THRUST_200600_302600_NS16reverse_iteratorIPKiEESD_NSA_IPiEEiN6hipcub16HIPCUB_304000_NS3MaxENSH_8EqualityEiEE10hipError_tPvRmT2_T3_T4_T5_mT6_T7_P12ihipStream_tbENKUlT_T0_E_clISt17integral_constantIbLb1EESZ_IbLb0EEEEDaSV_SW_EUlSV_E_NS1_11comp_targetILNS1_3genE10ELNS1_11target_archE1200ELNS1_3gpuE4ELNS1_3repE0EEENS1_30default_config_static_selectorELNS0_4arch9wavefront6targetE1EEEvT1_.uses_vcc, 0
	.set _ZN7rocprim17ROCPRIM_400000_NS6detail17trampoline_kernelINS0_14default_configENS1_27scan_by_key_config_selectorIiiEEZZNS1_16scan_by_key_implILNS1_25lookback_scan_determinismE0ELb0ES3_N6thrust23THRUST_200600_302600_NS16reverse_iteratorIPKiEESD_NSA_IPiEEiN6hipcub16HIPCUB_304000_NS3MaxENSH_8EqualityEiEE10hipError_tPvRmT2_T3_T4_T5_mT6_T7_P12ihipStream_tbENKUlT_T0_E_clISt17integral_constantIbLb1EESZ_IbLb0EEEEDaSV_SW_EUlSV_E_NS1_11comp_targetILNS1_3genE10ELNS1_11target_archE1200ELNS1_3gpuE4ELNS1_3repE0EEENS1_30default_config_static_selectorELNS0_4arch9wavefront6targetE1EEEvT1_.uses_flat_scratch, 0
	.set _ZN7rocprim17ROCPRIM_400000_NS6detail17trampoline_kernelINS0_14default_configENS1_27scan_by_key_config_selectorIiiEEZZNS1_16scan_by_key_implILNS1_25lookback_scan_determinismE0ELb0ES3_N6thrust23THRUST_200600_302600_NS16reverse_iteratorIPKiEESD_NSA_IPiEEiN6hipcub16HIPCUB_304000_NS3MaxENSH_8EqualityEiEE10hipError_tPvRmT2_T3_T4_T5_mT6_T7_P12ihipStream_tbENKUlT_T0_E_clISt17integral_constantIbLb1EESZ_IbLb0EEEEDaSV_SW_EUlSV_E_NS1_11comp_targetILNS1_3genE10ELNS1_11target_archE1200ELNS1_3gpuE4ELNS1_3repE0EEENS1_30default_config_static_selectorELNS0_4arch9wavefront6targetE1EEEvT1_.has_dyn_sized_stack, 0
	.set _ZN7rocprim17ROCPRIM_400000_NS6detail17trampoline_kernelINS0_14default_configENS1_27scan_by_key_config_selectorIiiEEZZNS1_16scan_by_key_implILNS1_25lookback_scan_determinismE0ELb0ES3_N6thrust23THRUST_200600_302600_NS16reverse_iteratorIPKiEESD_NSA_IPiEEiN6hipcub16HIPCUB_304000_NS3MaxENSH_8EqualityEiEE10hipError_tPvRmT2_T3_T4_T5_mT6_T7_P12ihipStream_tbENKUlT_T0_E_clISt17integral_constantIbLb1EESZ_IbLb0EEEEDaSV_SW_EUlSV_E_NS1_11comp_targetILNS1_3genE10ELNS1_11target_archE1200ELNS1_3gpuE4ELNS1_3repE0EEENS1_30default_config_static_selectorELNS0_4arch9wavefront6targetE1EEEvT1_.has_recursion, 0
	.set _ZN7rocprim17ROCPRIM_400000_NS6detail17trampoline_kernelINS0_14default_configENS1_27scan_by_key_config_selectorIiiEEZZNS1_16scan_by_key_implILNS1_25lookback_scan_determinismE0ELb0ES3_N6thrust23THRUST_200600_302600_NS16reverse_iteratorIPKiEESD_NSA_IPiEEiN6hipcub16HIPCUB_304000_NS3MaxENSH_8EqualityEiEE10hipError_tPvRmT2_T3_T4_T5_mT6_T7_P12ihipStream_tbENKUlT_T0_E_clISt17integral_constantIbLb1EESZ_IbLb0EEEEDaSV_SW_EUlSV_E_NS1_11comp_targetILNS1_3genE10ELNS1_11target_archE1200ELNS1_3gpuE4ELNS1_3repE0EEENS1_30default_config_static_selectorELNS0_4arch9wavefront6targetE1EEEvT1_.has_indirect_call, 0
	.section	.AMDGPU.csdata,"",@progbits
; Kernel info:
; codeLenInByte = 0
; TotalNumSgprs: 6
; NumVgprs: 0
; NumAgprs: 0
; TotalNumVgprs: 0
; ScratchSize: 0
; MemoryBound: 0
; FloatMode: 240
; IeeeMode: 1
; LDSByteSize: 0 bytes/workgroup (compile time only)
; SGPRBlocks: 0
; VGPRBlocks: 0
; NumSGPRsForWavesPerEU: 6
; NumVGPRsForWavesPerEU: 1
; AccumOffset: 4
; Occupancy: 8
; WaveLimiterHint : 0
; COMPUTE_PGM_RSRC2:SCRATCH_EN: 0
; COMPUTE_PGM_RSRC2:USER_SGPR: 2
; COMPUTE_PGM_RSRC2:TRAP_HANDLER: 0
; COMPUTE_PGM_RSRC2:TGID_X_EN: 1
; COMPUTE_PGM_RSRC2:TGID_Y_EN: 0
; COMPUTE_PGM_RSRC2:TGID_Z_EN: 0
; COMPUTE_PGM_RSRC2:TIDIG_COMP_CNT: 0
; COMPUTE_PGM_RSRC3_GFX90A:ACCUM_OFFSET: 0
; COMPUTE_PGM_RSRC3_GFX90A:TG_SPLIT: 0
	.section	.text._ZN7rocprim17ROCPRIM_400000_NS6detail17trampoline_kernelINS0_14default_configENS1_27scan_by_key_config_selectorIiiEEZZNS1_16scan_by_key_implILNS1_25lookback_scan_determinismE0ELb0ES3_N6thrust23THRUST_200600_302600_NS16reverse_iteratorIPKiEESD_NSA_IPiEEiN6hipcub16HIPCUB_304000_NS3MaxENSH_8EqualityEiEE10hipError_tPvRmT2_T3_T4_T5_mT6_T7_P12ihipStream_tbENKUlT_T0_E_clISt17integral_constantIbLb1EESZ_IbLb0EEEEDaSV_SW_EUlSV_E_NS1_11comp_targetILNS1_3genE9ELNS1_11target_archE1100ELNS1_3gpuE3ELNS1_3repE0EEENS1_30default_config_static_selectorELNS0_4arch9wavefront6targetE1EEEvT1_,"axG",@progbits,_ZN7rocprim17ROCPRIM_400000_NS6detail17trampoline_kernelINS0_14default_configENS1_27scan_by_key_config_selectorIiiEEZZNS1_16scan_by_key_implILNS1_25lookback_scan_determinismE0ELb0ES3_N6thrust23THRUST_200600_302600_NS16reverse_iteratorIPKiEESD_NSA_IPiEEiN6hipcub16HIPCUB_304000_NS3MaxENSH_8EqualityEiEE10hipError_tPvRmT2_T3_T4_T5_mT6_T7_P12ihipStream_tbENKUlT_T0_E_clISt17integral_constantIbLb1EESZ_IbLb0EEEEDaSV_SW_EUlSV_E_NS1_11comp_targetILNS1_3genE9ELNS1_11target_archE1100ELNS1_3gpuE3ELNS1_3repE0EEENS1_30default_config_static_selectorELNS0_4arch9wavefront6targetE1EEEvT1_,comdat
	.protected	_ZN7rocprim17ROCPRIM_400000_NS6detail17trampoline_kernelINS0_14default_configENS1_27scan_by_key_config_selectorIiiEEZZNS1_16scan_by_key_implILNS1_25lookback_scan_determinismE0ELb0ES3_N6thrust23THRUST_200600_302600_NS16reverse_iteratorIPKiEESD_NSA_IPiEEiN6hipcub16HIPCUB_304000_NS3MaxENSH_8EqualityEiEE10hipError_tPvRmT2_T3_T4_T5_mT6_T7_P12ihipStream_tbENKUlT_T0_E_clISt17integral_constantIbLb1EESZ_IbLb0EEEEDaSV_SW_EUlSV_E_NS1_11comp_targetILNS1_3genE9ELNS1_11target_archE1100ELNS1_3gpuE3ELNS1_3repE0EEENS1_30default_config_static_selectorELNS0_4arch9wavefront6targetE1EEEvT1_ ; -- Begin function _ZN7rocprim17ROCPRIM_400000_NS6detail17trampoline_kernelINS0_14default_configENS1_27scan_by_key_config_selectorIiiEEZZNS1_16scan_by_key_implILNS1_25lookback_scan_determinismE0ELb0ES3_N6thrust23THRUST_200600_302600_NS16reverse_iteratorIPKiEESD_NSA_IPiEEiN6hipcub16HIPCUB_304000_NS3MaxENSH_8EqualityEiEE10hipError_tPvRmT2_T3_T4_T5_mT6_T7_P12ihipStream_tbENKUlT_T0_E_clISt17integral_constantIbLb1EESZ_IbLb0EEEEDaSV_SW_EUlSV_E_NS1_11comp_targetILNS1_3genE9ELNS1_11target_archE1100ELNS1_3gpuE3ELNS1_3repE0EEENS1_30default_config_static_selectorELNS0_4arch9wavefront6targetE1EEEvT1_
	.globl	_ZN7rocprim17ROCPRIM_400000_NS6detail17trampoline_kernelINS0_14default_configENS1_27scan_by_key_config_selectorIiiEEZZNS1_16scan_by_key_implILNS1_25lookback_scan_determinismE0ELb0ES3_N6thrust23THRUST_200600_302600_NS16reverse_iteratorIPKiEESD_NSA_IPiEEiN6hipcub16HIPCUB_304000_NS3MaxENSH_8EqualityEiEE10hipError_tPvRmT2_T3_T4_T5_mT6_T7_P12ihipStream_tbENKUlT_T0_E_clISt17integral_constantIbLb1EESZ_IbLb0EEEEDaSV_SW_EUlSV_E_NS1_11comp_targetILNS1_3genE9ELNS1_11target_archE1100ELNS1_3gpuE3ELNS1_3repE0EEENS1_30default_config_static_selectorELNS0_4arch9wavefront6targetE1EEEvT1_
	.p2align	8
	.type	_ZN7rocprim17ROCPRIM_400000_NS6detail17trampoline_kernelINS0_14default_configENS1_27scan_by_key_config_selectorIiiEEZZNS1_16scan_by_key_implILNS1_25lookback_scan_determinismE0ELb0ES3_N6thrust23THRUST_200600_302600_NS16reverse_iteratorIPKiEESD_NSA_IPiEEiN6hipcub16HIPCUB_304000_NS3MaxENSH_8EqualityEiEE10hipError_tPvRmT2_T3_T4_T5_mT6_T7_P12ihipStream_tbENKUlT_T0_E_clISt17integral_constantIbLb1EESZ_IbLb0EEEEDaSV_SW_EUlSV_E_NS1_11comp_targetILNS1_3genE9ELNS1_11target_archE1100ELNS1_3gpuE3ELNS1_3repE0EEENS1_30default_config_static_selectorELNS0_4arch9wavefront6targetE1EEEvT1_,@function
_ZN7rocprim17ROCPRIM_400000_NS6detail17trampoline_kernelINS0_14default_configENS1_27scan_by_key_config_selectorIiiEEZZNS1_16scan_by_key_implILNS1_25lookback_scan_determinismE0ELb0ES3_N6thrust23THRUST_200600_302600_NS16reverse_iteratorIPKiEESD_NSA_IPiEEiN6hipcub16HIPCUB_304000_NS3MaxENSH_8EqualityEiEE10hipError_tPvRmT2_T3_T4_T5_mT6_T7_P12ihipStream_tbENKUlT_T0_E_clISt17integral_constantIbLb1EESZ_IbLb0EEEEDaSV_SW_EUlSV_E_NS1_11comp_targetILNS1_3genE9ELNS1_11target_archE1100ELNS1_3gpuE3ELNS1_3repE0EEENS1_30default_config_static_selectorELNS0_4arch9wavefront6targetE1EEEvT1_: ; @_ZN7rocprim17ROCPRIM_400000_NS6detail17trampoline_kernelINS0_14default_configENS1_27scan_by_key_config_selectorIiiEEZZNS1_16scan_by_key_implILNS1_25lookback_scan_determinismE0ELb0ES3_N6thrust23THRUST_200600_302600_NS16reverse_iteratorIPKiEESD_NSA_IPiEEiN6hipcub16HIPCUB_304000_NS3MaxENSH_8EqualityEiEE10hipError_tPvRmT2_T3_T4_T5_mT6_T7_P12ihipStream_tbENKUlT_T0_E_clISt17integral_constantIbLb1EESZ_IbLb0EEEEDaSV_SW_EUlSV_E_NS1_11comp_targetILNS1_3genE9ELNS1_11target_archE1100ELNS1_3gpuE3ELNS1_3repE0EEENS1_30default_config_static_selectorELNS0_4arch9wavefront6targetE1EEEvT1_
; %bb.0:
	.section	.rodata,"a",@progbits
	.p2align	6, 0x0
	.amdhsa_kernel _ZN7rocprim17ROCPRIM_400000_NS6detail17trampoline_kernelINS0_14default_configENS1_27scan_by_key_config_selectorIiiEEZZNS1_16scan_by_key_implILNS1_25lookback_scan_determinismE0ELb0ES3_N6thrust23THRUST_200600_302600_NS16reverse_iteratorIPKiEESD_NSA_IPiEEiN6hipcub16HIPCUB_304000_NS3MaxENSH_8EqualityEiEE10hipError_tPvRmT2_T3_T4_T5_mT6_T7_P12ihipStream_tbENKUlT_T0_E_clISt17integral_constantIbLb1EESZ_IbLb0EEEEDaSV_SW_EUlSV_E_NS1_11comp_targetILNS1_3genE9ELNS1_11target_archE1100ELNS1_3gpuE3ELNS1_3repE0EEENS1_30default_config_static_selectorELNS0_4arch9wavefront6targetE1EEEvT1_
		.amdhsa_group_segment_fixed_size 0
		.amdhsa_private_segment_fixed_size 0
		.amdhsa_kernarg_size 112
		.amdhsa_user_sgpr_count 2
		.amdhsa_user_sgpr_dispatch_ptr 0
		.amdhsa_user_sgpr_queue_ptr 0
		.amdhsa_user_sgpr_kernarg_segment_ptr 1
		.amdhsa_user_sgpr_dispatch_id 0
		.amdhsa_user_sgpr_kernarg_preload_length 0
		.amdhsa_user_sgpr_kernarg_preload_offset 0
		.amdhsa_user_sgpr_private_segment_size 0
		.amdhsa_uses_dynamic_stack 0
		.amdhsa_enable_private_segment 0
		.amdhsa_system_sgpr_workgroup_id_x 1
		.amdhsa_system_sgpr_workgroup_id_y 0
		.amdhsa_system_sgpr_workgroup_id_z 0
		.amdhsa_system_sgpr_workgroup_info 0
		.amdhsa_system_vgpr_workitem_id 0
		.amdhsa_next_free_vgpr 1
		.amdhsa_next_free_sgpr 0
		.amdhsa_accum_offset 4
		.amdhsa_reserve_vcc 0
		.amdhsa_float_round_mode_32 0
		.amdhsa_float_round_mode_16_64 0
		.amdhsa_float_denorm_mode_32 3
		.amdhsa_float_denorm_mode_16_64 3
		.amdhsa_dx10_clamp 1
		.amdhsa_ieee_mode 1
		.amdhsa_fp16_overflow 0
		.amdhsa_tg_split 0
		.amdhsa_exception_fp_ieee_invalid_op 0
		.amdhsa_exception_fp_denorm_src 0
		.amdhsa_exception_fp_ieee_div_zero 0
		.amdhsa_exception_fp_ieee_overflow 0
		.amdhsa_exception_fp_ieee_underflow 0
		.amdhsa_exception_fp_ieee_inexact 0
		.amdhsa_exception_int_div_zero 0
	.end_amdhsa_kernel
	.section	.text._ZN7rocprim17ROCPRIM_400000_NS6detail17trampoline_kernelINS0_14default_configENS1_27scan_by_key_config_selectorIiiEEZZNS1_16scan_by_key_implILNS1_25lookback_scan_determinismE0ELb0ES3_N6thrust23THRUST_200600_302600_NS16reverse_iteratorIPKiEESD_NSA_IPiEEiN6hipcub16HIPCUB_304000_NS3MaxENSH_8EqualityEiEE10hipError_tPvRmT2_T3_T4_T5_mT6_T7_P12ihipStream_tbENKUlT_T0_E_clISt17integral_constantIbLb1EESZ_IbLb0EEEEDaSV_SW_EUlSV_E_NS1_11comp_targetILNS1_3genE9ELNS1_11target_archE1100ELNS1_3gpuE3ELNS1_3repE0EEENS1_30default_config_static_selectorELNS0_4arch9wavefront6targetE1EEEvT1_,"axG",@progbits,_ZN7rocprim17ROCPRIM_400000_NS6detail17trampoline_kernelINS0_14default_configENS1_27scan_by_key_config_selectorIiiEEZZNS1_16scan_by_key_implILNS1_25lookback_scan_determinismE0ELb0ES3_N6thrust23THRUST_200600_302600_NS16reverse_iteratorIPKiEESD_NSA_IPiEEiN6hipcub16HIPCUB_304000_NS3MaxENSH_8EqualityEiEE10hipError_tPvRmT2_T3_T4_T5_mT6_T7_P12ihipStream_tbENKUlT_T0_E_clISt17integral_constantIbLb1EESZ_IbLb0EEEEDaSV_SW_EUlSV_E_NS1_11comp_targetILNS1_3genE9ELNS1_11target_archE1100ELNS1_3gpuE3ELNS1_3repE0EEENS1_30default_config_static_selectorELNS0_4arch9wavefront6targetE1EEEvT1_,comdat
.Lfunc_end80:
	.size	_ZN7rocprim17ROCPRIM_400000_NS6detail17trampoline_kernelINS0_14default_configENS1_27scan_by_key_config_selectorIiiEEZZNS1_16scan_by_key_implILNS1_25lookback_scan_determinismE0ELb0ES3_N6thrust23THRUST_200600_302600_NS16reverse_iteratorIPKiEESD_NSA_IPiEEiN6hipcub16HIPCUB_304000_NS3MaxENSH_8EqualityEiEE10hipError_tPvRmT2_T3_T4_T5_mT6_T7_P12ihipStream_tbENKUlT_T0_E_clISt17integral_constantIbLb1EESZ_IbLb0EEEEDaSV_SW_EUlSV_E_NS1_11comp_targetILNS1_3genE9ELNS1_11target_archE1100ELNS1_3gpuE3ELNS1_3repE0EEENS1_30default_config_static_selectorELNS0_4arch9wavefront6targetE1EEEvT1_, .Lfunc_end80-_ZN7rocprim17ROCPRIM_400000_NS6detail17trampoline_kernelINS0_14default_configENS1_27scan_by_key_config_selectorIiiEEZZNS1_16scan_by_key_implILNS1_25lookback_scan_determinismE0ELb0ES3_N6thrust23THRUST_200600_302600_NS16reverse_iteratorIPKiEESD_NSA_IPiEEiN6hipcub16HIPCUB_304000_NS3MaxENSH_8EqualityEiEE10hipError_tPvRmT2_T3_T4_T5_mT6_T7_P12ihipStream_tbENKUlT_T0_E_clISt17integral_constantIbLb1EESZ_IbLb0EEEEDaSV_SW_EUlSV_E_NS1_11comp_targetILNS1_3genE9ELNS1_11target_archE1100ELNS1_3gpuE3ELNS1_3repE0EEENS1_30default_config_static_selectorELNS0_4arch9wavefront6targetE1EEEvT1_
                                        ; -- End function
	.set _ZN7rocprim17ROCPRIM_400000_NS6detail17trampoline_kernelINS0_14default_configENS1_27scan_by_key_config_selectorIiiEEZZNS1_16scan_by_key_implILNS1_25lookback_scan_determinismE0ELb0ES3_N6thrust23THRUST_200600_302600_NS16reverse_iteratorIPKiEESD_NSA_IPiEEiN6hipcub16HIPCUB_304000_NS3MaxENSH_8EqualityEiEE10hipError_tPvRmT2_T3_T4_T5_mT6_T7_P12ihipStream_tbENKUlT_T0_E_clISt17integral_constantIbLb1EESZ_IbLb0EEEEDaSV_SW_EUlSV_E_NS1_11comp_targetILNS1_3genE9ELNS1_11target_archE1100ELNS1_3gpuE3ELNS1_3repE0EEENS1_30default_config_static_selectorELNS0_4arch9wavefront6targetE1EEEvT1_.num_vgpr, 0
	.set _ZN7rocprim17ROCPRIM_400000_NS6detail17trampoline_kernelINS0_14default_configENS1_27scan_by_key_config_selectorIiiEEZZNS1_16scan_by_key_implILNS1_25lookback_scan_determinismE0ELb0ES3_N6thrust23THRUST_200600_302600_NS16reverse_iteratorIPKiEESD_NSA_IPiEEiN6hipcub16HIPCUB_304000_NS3MaxENSH_8EqualityEiEE10hipError_tPvRmT2_T3_T4_T5_mT6_T7_P12ihipStream_tbENKUlT_T0_E_clISt17integral_constantIbLb1EESZ_IbLb0EEEEDaSV_SW_EUlSV_E_NS1_11comp_targetILNS1_3genE9ELNS1_11target_archE1100ELNS1_3gpuE3ELNS1_3repE0EEENS1_30default_config_static_selectorELNS0_4arch9wavefront6targetE1EEEvT1_.num_agpr, 0
	.set _ZN7rocprim17ROCPRIM_400000_NS6detail17trampoline_kernelINS0_14default_configENS1_27scan_by_key_config_selectorIiiEEZZNS1_16scan_by_key_implILNS1_25lookback_scan_determinismE0ELb0ES3_N6thrust23THRUST_200600_302600_NS16reverse_iteratorIPKiEESD_NSA_IPiEEiN6hipcub16HIPCUB_304000_NS3MaxENSH_8EqualityEiEE10hipError_tPvRmT2_T3_T4_T5_mT6_T7_P12ihipStream_tbENKUlT_T0_E_clISt17integral_constantIbLb1EESZ_IbLb0EEEEDaSV_SW_EUlSV_E_NS1_11comp_targetILNS1_3genE9ELNS1_11target_archE1100ELNS1_3gpuE3ELNS1_3repE0EEENS1_30default_config_static_selectorELNS0_4arch9wavefront6targetE1EEEvT1_.numbered_sgpr, 0
	.set _ZN7rocprim17ROCPRIM_400000_NS6detail17trampoline_kernelINS0_14default_configENS1_27scan_by_key_config_selectorIiiEEZZNS1_16scan_by_key_implILNS1_25lookback_scan_determinismE0ELb0ES3_N6thrust23THRUST_200600_302600_NS16reverse_iteratorIPKiEESD_NSA_IPiEEiN6hipcub16HIPCUB_304000_NS3MaxENSH_8EqualityEiEE10hipError_tPvRmT2_T3_T4_T5_mT6_T7_P12ihipStream_tbENKUlT_T0_E_clISt17integral_constantIbLb1EESZ_IbLb0EEEEDaSV_SW_EUlSV_E_NS1_11comp_targetILNS1_3genE9ELNS1_11target_archE1100ELNS1_3gpuE3ELNS1_3repE0EEENS1_30default_config_static_selectorELNS0_4arch9wavefront6targetE1EEEvT1_.num_named_barrier, 0
	.set _ZN7rocprim17ROCPRIM_400000_NS6detail17trampoline_kernelINS0_14default_configENS1_27scan_by_key_config_selectorIiiEEZZNS1_16scan_by_key_implILNS1_25lookback_scan_determinismE0ELb0ES3_N6thrust23THRUST_200600_302600_NS16reverse_iteratorIPKiEESD_NSA_IPiEEiN6hipcub16HIPCUB_304000_NS3MaxENSH_8EqualityEiEE10hipError_tPvRmT2_T3_T4_T5_mT6_T7_P12ihipStream_tbENKUlT_T0_E_clISt17integral_constantIbLb1EESZ_IbLb0EEEEDaSV_SW_EUlSV_E_NS1_11comp_targetILNS1_3genE9ELNS1_11target_archE1100ELNS1_3gpuE3ELNS1_3repE0EEENS1_30default_config_static_selectorELNS0_4arch9wavefront6targetE1EEEvT1_.private_seg_size, 0
	.set _ZN7rocprim17ROCPRIM_400000_NS6detail17trampoline_kernelINS0_14default_configENS1_27scan_by_key_config_selectorIiiEEZZNS1_16scan_by_key_implILNS1_25lookback_scan_determinismE0ELb0ES3_N6thrust23THRUST_200600_302600_NS16reverse_iteratorIPKiEESD_NSA_IPiEEiN6hipcub16HIPCUB_304000_NS3MaxENSH_8EqualityEiEE10hipError_tPvRmT2_T3_T4_T5_mT6_T7_P12ihipStream_tbENKUlT_T0_E_clISt17integral_constantIbLb1EESZ_IbLb0EEEEDaSV_SW_EUlSV_E_NS1_11comp_targetILNS1_3genE9ELNS1_11target_archE1100ELNS1_3gpuE3ELNS1_3repE0EEENS1_30default_config_static_selectorELNS0_4arch9wavefront6targetE1EEEvT1_.uses_vcc, 0
	.set _ZN7rocprim17ROCPRIM_400000_NS6detail17trampoline_kernelINS0_14default_configENS1_27scan_by_key_config_selectorIiiEEZZNS1_16scan_by_key_implILNS1_25lookback_scan_determinismE0ELb0ES3_N6thrust23THRUST_200600_302600_NS16reverse_iteratorIPKiEESD_NSA_IPiEEiN6hipcub16HIPCUB_304000_NS3MaxENSH_8EqualityEiEE10hipError_tPvRmT2_T3_T4_T5_mT6_T7_P12ihipStream_tbENKUlT_T0_E_clISt17integral_constantIbLb1EESZ_IbLb0EEEEDaSV_SW_EUlSV_E_NS1_11comp_targetILNS1_3genE9ELNS1_11target_archE1100ELNS1_3gpuE3ELNS1_3repE0EEENS1_30default_config_static_selectorELNS0_4arch9wavefront6targetE1EEEvT1_.uses_flat_scratch, 0
	.set _ZN7rocprim17ROCPRIM_400000_NS6detail17trampoline_kernelINS0_14default_configENS1_27scan_by_key_config_selectorIiiEEZZNS1_16scan_by_key_implILNS1_25lookback_scan_determinismE0ELb0ES3_N6thrust23THRUST_200600_302600_NS16reverse_iteratorIPKiEESD_NSA_IPiEEiN6hipcub16HIPCUB_304000_NS3MaxENSH_8EqualityEiEE10hipError_tPvRmT2_T3_T4_T5_mT6_T7_P12ihipStream_tbENKUlT_T0_E_clISt17integral_constantIbLb1EESZ_IbLb0EEEEDaSV_SW_EUlSV_E_NS1_11comp_targetILNS1_3genE9ELNS1_11target_archE1100ELNS1_3gpuE3ELNS1_3repE0EEENS1_30default_config_static_selectorELNS0_4arch9wavefront6targetE1EEEvT1_.has_dyn_sized_stack, 0
	.set _ZN7rocprim17ROCPRIM_400000_NS6detail17trampoline_kernelINS0_14default_configENS1_27scan_by_key_config_selectorIiiEEZZNS1_16scan_by_key_implILNS1_25lookback_scan_determinismE0ELb0ES3_N6thrust23THRUST_200600_302600_NS16reverse_iteratorIPKiEESD_NSA_IPiEEiN6hipcub16HIPCUB_304000_NS3MaxENSH_8EqualityEiEE10hipError_tPvRmT2_T3_T4_T5_mT6_T7_P12ihipStream_tbENKUlT_T0_E_clISt17integral_constantIbLb1EESZ_IbLb0EEEEDaSV_SW_EUlSV_E_NS1_11comp_targetILNS1_3genE9ELNS1_11target_archE1100ELNS1_3gpuE3ELNS1_3repE0EEENS1_30default_config_static_selectorELNS0_4arch9wavefront6targetE1EEEvT1_.has_recursion, 0
	.set _ZN7rocprim17ROCPRIM_400000_NS6detail17trampoline_kernelINS0_14default_configENS1_27scan_by_key_config_selectorIiiEEZZNS1_16scan_by_key_implILNS1_25lookback_scan_determinismE0ELb0ES3_N6thrust23THRUST_200600_302600_NS16reverse_iteratorIPKiEESD_NSA_IPiEEiN6hipcub16HIPCUB_304000_NS3MaxENSH_8EqualityEiEE10hipError_tPvRmT2_T3_T4_T5_mT6_T7_P12ihipStream_tbENKUlT_T0_E_clISt17integral_constantIbLb1EESZ_IbLb0EEEEDaSV_SW_EUlSV_E_NS1_11comp_targetILNS1_3genE9ELNS1_11target_archE1100ELNS1_3gpuE3ELNS1_3repE0EEENS1_30default_config_static_selectorELNS0_4arch9wavefront6targetE1EEEvT1_.has_indirect_call, 0
	.section	.AMDGPU.csdata,"",@progbits
; Kernel info:
; codeLenInByte = 0
; TotalNumSgprs: 6
; NumVgprs: 0
; NumAgprs: 0
; TotalNumVgprs: 0
; ScratchSize: 0
; MemoryBound: 0
; FloatMode: 240
; IeeeMode: 1
; LDSByteSize: 0 bytes/workgroup (compile time only)
; SGPRBlocks: 0
; VGPRBlocks: 0
; NumSGPRsForWavesPerEU: 6
; NumVGPRsForWavesPerEU: 1
; AccumOffset: 4
; Occupancy: 8
; WaveLimiterHint : 0
; COMPUTE_PGM_RSRC2:SCRATCH_EN: 0
; COMPUTE_PGM_RSRC2:USER_SGPR: 2
; COMPUTE_PGM_RSRC2:TRAP_HANDLER: 0
; COMPUTE_PGM_RSRC2:TGID_X_EN: 1
; COMPUTE_PGM_RSRC2:TGID_Y_EN: 0
; COMPUTE_PGM_RSRC2:TGID_Z_EN: 0
; COMPUTE_PGM_RSRC2:TIDIG_COMP_CNT: 0
; COMPUTE_PGM_RSRC3_GFX90A:ACCUM_OFFSET: 0
; COMPUTE_PGM_RSRC3_GFX90A:TG_SPLIT: 0
	.section	.text._ZN7rocprim17ROCPRIM_400000_NS6detail17trampoline_kernelINS0_14default_configENS1_27scan_by_key_config_selectorIiiEEZZNS1_16scan_by_key_implILNS1_25lookback_scan_determinismE0ELb0ES3_N6thrust23THRUST_200600_302600_NS16reverse_iteratorIPKiEESD_NSA_IPiEEiN6hipcub16HIPCUB_304000_NS3MaxENSH_8EqualityEiEE10hipError_tPvRmT2_T3_T4_T5_mT6_T7_P12ihipStream_tbENKUlT_T0_E_clISt17integral_constantIbLb1EESZ_IbLb0EEEEDaSV_SW_EUlSV_E_NS1_11comp_targetILNS1_3genE8ELNS1_11target_archE1030ELNS1_3gpuE2ELNS1_3repE0EEENS1_30default_config_static_selectorELNS0_4arch9wavefront6targetE1EEEvT1_,"axG",@progbits,_ZN7rocprim17ROCPRIM_400000_NS6detail17trampoline_kernelINS0_14default_configENS1_27scan_by_key_config_selectorIiiEEZZNS1_16scan_by_key_implILNS1_25lookback_scan_determinismE0ELb0ES3_N6thrust23THRUST_200600_302600_NS16reverse_iteratorIPKiEESD_NSA_IPiEEiN6hipcub16HIPCUB_304000_NS3MaxENSH_8EqualityEiEE10hipError_tPvRmT2_T3_T4_T5_mT6_T7_P12ihipStream_tbENKUlT_T0_E_clISt17integral_constantIbLb1EESZ_IbLb0EEEEDaSV_SW_EUlSV_E_NS1_11comp_targetILNS1_3genE8ELNS1_11target_archE1030ELNS1_3gpuE2ELNS1_3repE0EEENS1_30default_config_static_selectorELNS0_4arch9wavefront6targetE1EEEvT1_,comdat
	.protected	_ZN7rocprim17ROCPRIM_400000_NS6detail17trampoline_kernelINS0_14default_configENS1_27scan_by_key_config_selectorIiiEEZZNS1_16scan_by_key_implILNS1_25lookback_scan_determinismE0ELb0ES3_N6thrust23THRUST_200600_302600_NS16reverse_iteratorIPKiEESD_NSA_IPiEEiN6hipcub16HIPCUB_304000_NS3MaxENSH_8EqualityEiEE10hipError_tPvRmT2_T3_T4_T5_mT6_T7_P12ihipStream_tbENKUlT_T0_E_clISt17integral_constantIbLb1EESZ_IbLb0EEEEDaSV_SW_EUlSV_E_NS1_11comp_targetILNS1_3genE8ELNS1_11target_archE1030ELNS1_3gpuE2ELNS1_3repE0EEENS1_30default_config_static_selectorELNS0_4arch9wavefront6targetE1EEEvT1_ ; -- Begin function _ZN7rocprim17ROCPRIM_400000_NS6detail17trampoline_kernelINS0_14default_configENS1_27scan_by_key_config_selectorIiiEEZZNS1_16scan_by_key_implILNS1_25lookback_scan_determinismE0ELb0ES3_N6thrust23THRUST_200600_302600_NS16reverse_iteratorIPKiEESD_NSA_IPiEEiN6hipcub16HIPCUB_304000_NS3MaxENSH_8EqualityEiEE10hipError_tPvRmT2_T3_T4_T5_mT6_T7_P12ihipStream_tbENKUlT_T0_E_clISt17integral_constantIbLb1EESZ_IbLb0EEEEDaSV_SW_EUlSV_E_NS1_11comp_targetILNS1_3genE8ELNS1_11target_archE1030ELNS1_3gpuE2ELNS1_3repE0EEENS1_30default_config_static_selectorELNS0_4arch9wavefront6targetE1EEEvT1_
	.globl	_ZN7rocprim17ROCPRIM_400000_NS6detail17trampoline_kernelINS0_14default_configENS1_27scan_by_key_config_selectorIiiEEZZNS1_16scan_by_key_implILNS1_25lookback_scan_determinismE0ELb0ES3_N6thrust23THRUST_200600_302600_NS16reverse_iteratorIPKiEESD_NSA_IPiEEiN6hipcub16HIPCUB_304000_NS3MaxENSH_8EqualityEiEE10hipError_tPvRmT2_T3_T4_T5_mT6_T7_P12ihipStream_tbENKUlT_T0_E_clISt17integral_constantIbLb1EESZ_IbLb0EEEEDaSV_SW_EUlSV_E_NS1_11comp_targetILNS1_3genE8ELNS1_11target_archE1030ELNS1_3gpuE2ELNS1_3repE0EEENS1_30default_config_static_selectorELNS0_4arch9wavefront6targetE1EEEvT1_
	.p2align	8
	.type	_ZN7rocprim17ROCPRIM_400000_NS6detail17trampoline_kernelINS0_14default_configENS1_27scan_by_key_config_selectorIiiEEZZNS1_16scan_by_key_implILNS1_25lookback_scan_determinismE0ELb0ES3_N6thrust23THRUST_200600_302600_NS16reverse_iteratorIPKiEESD_NSA_IPiEEiN6hipcub16HIPCUB_304000_NS3MaxENSH_8EqualityEiEE10hipError_tPvRmT2_T3_T4_T5_mT6_T7_P12ihipStream_tbENKUlT_T0_E_clISt17integral_constantIbLb1EESZ_IbLb0EEEEDaSV_SW_EUlSV_E_NS1_11comp_targetILNS1_3genE8ELNS1_11target_archE1030ELNS1_3gpuE2ELNS1_3repE0EEENS1_30default_config_static_selectorELNS0_4arch9wavefront6targetE1EEEvT1_,@function
_ZN7rocprim17ROCPRIM_400000_NS6detail17trampoline_kernelINS0_14default_configENS1_27scan_by_key_config_selectorIiiEEZZNS1_16scan_by_key_implILNS1_25lookback_scan_determinismE0ELb0ES3_N6thrust23THRUST_200600_302600_NS16reverse_iteratorIPKiEESD_NSA_IPiEEiN6hipcub16HIPCUB_304000_NS3MaxENSH_8EqualityEiEE10hipError_tPvRmT2_T3_T4_T5_mT6_T7_P12ihipStream_tbENKUlT_T0_E_clISt17integral_constantIbLb1EESZ_IbLb0EEEEDaSV_SW_EUlSV_E_NS1_11comp_targetILNS1_3genE8ELNS1_11target_archE1030ELNS1_3gpuE2ELNS1_3repE0EEENS1_30default_config_static_selectorELNS0_4arch9wavefront6targetE1EEEvT1_: ; @_ZN7rocprim17ROCPRIM_400000_NS6detail17trampoline_kernelINS0_14default_configENS1_27scan_by_key_config_selectorIiiEEZZNS1_16scan_by_key_implILNS1_25lookback_scan_determinismE0ELb0ES3_N6thrust23THRUST_200600_302600_NS16reverse_iteratorIPKiEESD_NSA_IPiEEiN6hipcub16HIPCUB_304000_NS3MaxENSH_8EqualityEiEE10hipError_tPvRmT2_T3_T4_T5_mT6_T7_P12ihipStream_tbENKUlT_T0_E_clISt17integral_constantIbLb1EESZ_IbLb0EEEEDaSV_SW_EUlSV_E_NS1_11comp_targetILNS1_3genE8ELNS1_11target_archE1030ELNS1_3gpuE2ELNS1_3repE0EEENS1_30default_config_static_selectorELNS0_4arch9wavefront6targetE1EEEvT1_
; %bb.0:
	.section	.rodata,"a",@progbits
	.p2align	6, 0x0
	.amdhsa_kernel _ZN7rocprim17ROCPRIM_400000_NS6detail17trampoline_kernelINS0_14default_configENS1_27scan_by_key_config_selectorIiiEEZZNS1_16scan_by_key_implILNS1_25lookback_scan_determinismE0ELb0ES3_N6thrust23THRUST_200600_302600_NS16reverse_iteratorIPKiEESD_NSA_IPiEEiN6hipcub16HIPCUB_304000_NS3MaxENSH_8EqualityEiEE10hipError_tPvRmT2_T3_T4_T5_mT6_T7_P12ihipStream_tbENKUlT_T0_E_clISt17integral_constantIbLb1EESZ_IbLb0EEEEDaSV_SW_EUlSV_E_NS1_11comp_targetILNS1_3genE8ELNS1_11target_archE1030ELNS1_3gpuE2ELNS1_3repE0EEENS1_30default_config_static_selectorELNS0_4arch9wavefront6targetE1EEEvT1_
		.amdhsa_group_segment_fixed_size 0
		.amdhsa_private_segment_fixed_size 0
		.amdhsa_kernarg_size 112
		.amdhsa_user_sgpr_count 2
		.amdhsa_user_sgpr_dispatch_ptr 0
		.amdhsa_user_sgpr_queue_ptr 0
		.amdhsa_user_sgpr_kernarg_segment_ptr 1
		.amdhsa_user_sgpr_dispatch_id 0
		.amdhsa_user_sgpr_kernarg_preload_length 0
		.amdhsa_user_sgpr_kernarg_preload_offset 0
		.amdhsa_user_sgpr_private_segment_size 0
		.amdhsa_uses_dynamic_stack 0
		.amdhsa_enable_private_segment 0
		.amdhsa_system_sgpr_workgroup_id_x 1
		.amdhsa_system_sgpr_workgroup_id_y 0
		.amdhsa_system_sgpr_workgroup_id_z 0
		.amdhsa_system_sgpr_workgroup_info 0
		.amdhsa_system_vgpr_workitem_id 0
		.amdhsa_next_free_vgpr 1
		.amdhsa_next_free_sgpr 0
		.amdhsa_accum_offset 4
		.amdhsa_reserve_vcc 0
		.amdhsa_float_round_mode_32 0
		.amdhsa_float_round_mode_16_64 0
		.amdhsa_float_denorm_mode_32 3
		.amdhsa_float_denorm_mode_16_64 3
		.amdhsa_dx10_clamp 1
		.amdhsa_ieee_mode 1
		.amdhsa_fp16_overflow 0
		.amdhsa_tg_split 0
		.amdhsa_exception_fp_ieee_invalid_op 0
		.amdhsa_exception_fp_denorm_src 0
		.amdhsa_exception_fp_ieee_div_zero 0
		.amdhsa_exception_fp_ieee_overflow 0
		.amdhsa_exception_fp_ieee_underflow 0
		.amdhsa_exception_fp_ieee_inexact 0
		.amdhsa_exception_int_div_zero 0
	.end_amdhsa_kernel
	.section	.text._ZN7rocprim17ROCPRIM_400000_NS6detail17trampoline_kernelINS0_14default_configENS1_27scan_by_key_config_selectorIiiEEZZNS1_16scan_by_key_implILNS1_25lookback_scan_determinismE0ELb0ES3_N6thrust23THRUST_200600_302600_NS16reverse_iteratorIPKiEESD_NSA_IPiEEiN6hipcub16HIPCUB_304000_NS3MaxENSH_8EqualityEiEE10hipError_tPvRmT2_T3_T4_T5_mT6_T7_P12ihipStream_tbENKUlT_T0_E_clISt17integral_constantIbLb1EESZ_IbLb0EEEEDaSV_SW_EUlSV_E_NS1_11comp_targetILNS1_3genE8ELNS1_11target_archE1030ELNS1_3gpuE2ELNS1_3repE0EEENS1_30default_config_static_selectorELNS0_4arch9wavefront6targetE1EEEvT1_,"axG",@progbits,_ZN7rocprim17ROCPRIM_400000_NS6detail17trampoline_kernelINS0_14default_configENS1_27scan_by_key_config_selectorIiiEEZZNS1_16scan_by_key_implILNS1_25lookback_scan_determinismE0ELb0ES3_N6thrust23THRUST_200600_302600_NS16reverse_iteratorIPKiEESD_NSA_IPiEEiN6hipcub16HIPCUB_304000_NS3MaxENSH_8EqualityEiEE10hipError_tPvRmT2_T3_T4_T5_mT6_T7_P12ihipStream_tbENKUlT_T0_E_clISt17integral_constantIbLb1EESZ_IbLb0EEEEDaSV_SW_EUlSV_E_NS1_11comp_targetILNS1_3genE8ELNS1_11target_archE1030ELNS1_3gpuE2ELNS1_3repE0EEENS1_30default_config_static_selectorELNS0_4arch9wavefront6targetE1EEEvT1_,comdat
.Lfunc_end81:
	.size	_ZN7rocprim17ROCPRIM_400000_NS6detail17trampoline_kernelINS0_14default_configENS1_27scan_by_key_config_selectorIiiEEZZNS1_16scan_by_key_implILNS1_25lookback_scan_determinismE0ELb0ES3_N6thrust23THRUST_200600_302600_NS16reverse_iteratorIPKiEESD_NSA_IPiEEiN6hipcub16HIPCUB_304000_NS3MaxENSH_8EqualityEiEE10hipError_tPvRmT2_T3_T4_T5_mT6_T7_P12ihipStream_tbENKUlT_T0_E_clISt17integral_constantIbLb1EESZ_IbLb0EEEEDaSV_SW_EUlSV_E_NS1_11comp_targetILNS1_3genE8ELNS1_11target_archE1030ELNS1_3gpuE2ELNS1_3repE0EEENS1_30default_config_static_selectorELNS0_4arch9wavefront6targetE1EEEvT1_, .Lfunc_end81-_ZN7rocprim17ROCPRIM_400000_NS6detail17trampoline_kernelINS0_14default_configENS1_27scan_by_key_config_selectorIiiEEZZNS1_16scan_by_key_implILNS1_25lookback_scan_determinismE0ELb0ES3_N6thrust23THRUST_200600_302600_NS16reverse_iteratorIPKiEESD_NSA_IPiEEiN6hipcub16HIPCUB_304000_NS3MaxENSH_8EqualityEiEE10hipError_tPvRmT2_T3_T4_T5_mT6_T7_P12ihipStream_tbENKUlT_T0_E_clISt17integral_constantIbLb1EESZ_IbLb0EEEEDaSV_SW_EUlSV_E_NS1_11comp_targetILNS1_3genE8ELNS1_11target_archE1030ELNS1_3gpuE2ELNS1_3repE0EEENS1_30default_config_static_selectorELNS0_4arch9wavefront6targetE1EEEvT1_
                                        ; -- End function
	.set _ZN7rocprim17ROCPRIM_400000_NS6detail17trampoline_kernelINS0_14default_configENS1_27scan_by_key_config_selectorIiiEEZZNS1_16scan_by_key_implILNS1_25lookback_scan_determinismE0ELb0ES3_N6thrust23THRUST_200600_302600_NS16reverse_iteratorIPKiEESD_NSA_IPiEEiN6hipcub16HIPCUB_304000_NS3MaxENSH_8EqualityEiEE10hipError_tPvRmT2_T3_T4_T5_mT6_T7_P12ihipStream_tbENKUlT_T0_E_clISt17integral_constantIbLb1EESZ_IbLb0EEEEDaSV_SW_EUlSV_E_NS1_11comp_targetILNS1_3genE8ELNS1_11target_archE1030ELNS1_3gpuE2ELNS1_3repE0EEENS1_30default_config_static_selectorELNS0_4arch9wavefront6targetE1EEEvT1_.num_vgpr, 0
	.set _ZN7rocprim17ROCPRIM_400000_NS6detail17trampoline_kernelINS0_14default_configENS1_27scan_by_key_config_selectorIiiEEZZNS1_16scan_by_key_implILNS1_25lookback_scan_determinismE0ELb0ES3_N6thrust23THRUST_200600_302600_NS16reverse_iteratorIPKiEESD_NSA_IPiEEiN6hipcub16HIPCUB_304000_NS3MaxENSH_8EqualityEiEE10hipError_tPvRmT2_T3_T4_T5_mT6_T7_P12ihipStream_tbENKUlT_T0_E_clISt17integral_constantIbLb1EESZ_IbLb0EEEEDaSV_SW_EUlSV_E_NS1_11comp_targetILNS1_3genE8ELNS1_11target_archE1030ELNS1_3gpuE2ELNS1_3repE0EEENS1_30default_config_static_selectorELNS0_4arch9wavefront6targetE1EEEvT1_.num_agpr, 0
	.set _ZN7rocprim17ROCPRIM_400000_NS6detail17trampoline_kernelINS0_14default_configENS1_27scan_by_key_config_selectorIiiEEZZNS1_16scan_by_key_implILNS1_25lookback_scan_determinismE0ELb0ES3_N6thrust23THRUST_200600_302600_NS16reverse_iteratorIPKiEESD_NSA_IPiEEiN6hipcub16HIPCUB_304000_NS3MaxENSH_8EqualityEiEE10hipError_tPvRmT2_T3_T4_T5_mT6_T7_P12ihipStream_tbENKUlT_T0_E_clISt17integral_constantIbLb1EESZ_IbLb0EEEEDaSV_SW_EUlSV_E_NS1_11comp_targetILNS1_3genE8ELNS1_11target_archE1030ELNS1_3gpuE2ELNS1_3repE0EEENS1_30default_config_static_selectorELNS0_4arch9wavefront6targetE1EEEvT1_.numbered_sgpr, 0
	.set _ZN7rocprim17ROCPRIM_400000_NS6detail17trampoline_kernelINS0_14default_configENS1_27scan_by_key_config_selectorIiiEEZZNS1_16scan_by_key_implILNS1_25lookback_scan_determinismE0ELb0ES3_N6thrust23THRUST_200600_302600_NS16reverse_iteratorIPKiEESD_NSA_IPiEEiN6hipcub16HIPCUB_304000_NS3MaxENSH_8EqualityEiEE10hipError_tPvRmT2_T3_T4_T5_mT6_T7_P12ihipStream_tbENKUlT_T0_E_clISt17integral_constantIbLb1EESZ_IbLb0EEEEDaSV_SW_EUlSV_E_NS1_11comp_targetILNS1_3genE8ELNS1_11target_archE1030ELNS1_3gpuE2ELNS1_3repE0EEENS1_30default_config_static_selectorELNS0_4arch9wavefront6targetE1EEEvT1_.num_named_barrier, 0
	.set _ZN7rocprim17ROCPRIM_400000_NS6detail17trampoline_kernelINS0_14default_configENS1_27scan_by_key_config_selectorIiiEEZZNS1_16scan_by_key_implILNS1_25lookback_scan_determinismE0ELb0ES3_N6thrust23THRUST_200600_302600_NS16reverse_iteratorIPKiEESD_NSA_IPiEEiN6hipcub16HIPCUB_304000_NS3MaxENSH_8EqualityEiEE10hipError_tPvRmT2_T3_T4_T5_mT6_T7_P12ihipStream_tbENKUlT_T0_E_clISt17integral_constantIbLb1EESZ_IbLb0EEEEDaSV_SW_EUlSV_E_NS1_11comp_targetILNS1_3genE8ELNS1_11target_archE1030ELNS1_3gpuE2ELNS1_3repE0EEENS1_30default_config_static_selectorELNS0_4arch9wavefront6targetE1EEEvT1_.private_seg_size, 0
	.set _ZN7rocprim17ROCPRIM_400000_NS6detail17trampoline_kernelINS0_14default_configENS1_27scan_by_key_config_selectorIiiEEZZNS1_16scan_by_key_implILNS1_25lookback_scan_determinismE0ELb0ES3_N6thrust23THRUST_200600_302600_NS16reverse_iteratorIPKiEESD_NSA_IPiEEiN6hipcub16HIPCUB_304000_NS3MaxENSH_8EqualityEiEE10hipError_tPvRmT2_T3_T4_T5_mT6_T7_P12ihipStream_tbENKUlT_T0_E_clISt17integral_constantIbLb1EESZ_IbLb0EEEEDaSV_SW_EUlSV_E_NS1_11comp_targetILNS1_3genE8ELNS1_11target_archE1030ELNS1_3gpuE2ELNS1_3repE0EEENS1_30default_config_static_selectorELNS0_4arch9wavefront6targetE1EEEvT1_.uses_vcc, 0
	.set _ZN7rocprim17ROCPRIM_400000_NS6detail17trampoline_kernelINS0_14default_configENS1_27scan_by_key_config_selectorIiiEEZZNS1_16scan_by_key_implILNS1_25lookback_scan_determinismE0ELb0ES3_N6thrust23THRUST_200600_302600_NS16reverse_iteratorIPKiEESD_NSA_IPiEEiN6hipcub16HIPCUB_304000_NS3MaxENSH_8EqualityEiEE10hipError_tPvRmT2_T3_T4_T5_mT6_T7_P12ihipStream_tbENKUlT_T0_E_clISt17integral_constantIbLb1EESZ_IbLb0EEEEDaSV_SW_EUlSV_E_NS1_11comp_targetILNS1_3genE8ELNS1_11target_archE1030ELNS1_3gpuE2ELNS1_3repE0EEENS1_30default_config_static_selectorELNS0_4arch9wavefront6targetE1EEEvT1_.uses_flat_scratch, 0
	.set _ZN7rocprim17ROCPRIM_400000_NS6detail17trampoline_kernelINS0_14default_configENS1_27scan_by_key_config_selectorIiiEEZZNS1_16scan_by_key_implILNS1_25lookback_scan_determinismE0ELb0ES3_N6thrust23THRUST_200600_302600_NS16reverse_iteratorIPKiEESD_NSA_IPiEEiN6hipcub16HIPCUB_304000_NS3MaxENSH_8EqualityEiEE10hipError_tPvRmT2_T3_T4_T5_mT6_T7_P12ihipStream_tbENKUlT_T0_E_clISt17integral_constantIbLb1EESZ_IbLb0EEEEDaSV_SW_EUlSV_E_NS1_11comp_targetILNS1_3genE8ELNS1_11target_archE1030ELNS1_3gpuE2ELNS1_3repE0EEENS1_30default_config_static_selectorELNS0_4arch9wavefront6targetE1EEEvT1_.has_dyn_sized_stack, 0
	.set _ZN7rocprim17ROCPRIM_400000_NS6detail17trampoline_kernelINS0_14default_configENS1_27scan_by_key_config_selectorIiiEEZZNS1_16scan_by_key_implILNS1_25lookback_scan_determinismE0ELb0ES3_N6thrust23THRUST_200600_302600_NS16reverse_iteratorIPKiEESD_NSA_IPiEEiN6hipcub16HIPCUB_304000_NS3MaxENSH_8EqualityEiEE10hipError_tPvRmT2_T3_T4_T5_mT6_T7_P12ihipStream_tbENKUlT_T0_E_clISt17integral_constantIbLb1EESZ_IbLb0EEEEDaSV_SW_EUlSV_E_NS1_11comp_targetILNS1_3genE8ELNS1_11target_archE1030ELNS1_3gpuE2ELNS1_3repE0EEENS1_30default_config_static_selectorELNS0_4arch9wavefront6targetE1EEEvT1_.has_recursion, 0
	.set _ZN7rocprim17ROCPRIM_400000_NS6detail17trampoline_kernelINS0_14default_configENS1_27scan_by_key_config_selectorIiiEEZZNS1_16scan_by_key_implILNS1_25lookback_scan_determinismE0ELb0ES3_N6thrust23THRUST_200600_302600_NS16reverse_iteratorIPKiEESD_NSA_IPiEEiN6hipcub16HIPCUB_304000_NS3MaxENSH_8EqualityEiEE10hipError_tPvRmT2_T3_T4_T5_mT6_T7_P12ihipStream_tbENKUlT_T0_E_clISt17integral_constantIbLb1EESZ_IbLb0EEEEDaSV_SW_EUlSV_E_NS1_11comp_targetILNS1_3genE8ELNS1_11target_archE1030ELNS1_3gpuE2ELNS1_3repE0EEENS1_30default_config_static_selectorELNS0_4arch9wavefront6targetE1EEEvT1_.has_indirect_call, 0
	.section	.AMDGPU.csdata,"",@progbits
; Kernel info:
; codeLenInByte = 0
; TotalNumSgprs: 6
; NumVgprs: 0
; NumAgprs: 0
; TotalNumVgprs: 0
; ScratchSize: 0
; MemoryBound: 0
; FloatMode: 240
; IeeeMode: 1
; LDSByteSize: 0 bytes/workgroup (compile time only)
; SGPRBlocks: 0
; VGPRBlocks: 0
; NumSGPRsForWavesPerEU: 6
; NumVGPRsForWavesPerEU: 1
; AccumOffset: 4
; Occupancy: 8
; WaveLimiterHint : 0
; COMPUTE_PGM_RSRC2:SCRATCH_EN: 0
; COMPUTE_PGM_RSRC2:USER_SGPR: 2
; COMPUTE_PGM_RSRC2:TRAP_HANDLER: 0
; COMPUTE_PGM_RSRC2:TGID_X_EN: 1
; COMPUTE_PGM_RSRC2:TGID_Y_EN: 0
; COMPUTE_PGM_RSRC2:TGID_Z_EN: 0
; COMPUTE_PGM_RSRC2:TIDIG_COMP_CNT: 0
; COMPUTE_PGM_RSRC3_GFX90A:ACCUM_OFFSET: 0
; COMPUTE_PGM_RSRC3_GFX90A:TG_SPLIT: 0
	.section	.text._ZN7rocprim17ROCPRIM_400000_NS6detail30init_device_scan_by_key_kernelINS1_19lookback_scan_stateINS0_5tupleIJibEEELb0ELb1EEEN6thrust23THRUST_200600_302600_NS16reverse_iteratorIPKiEEjNS1_16block_id_wrapperIjLb1EEEEEvT_jjPNSF_10value_typeET0_PNSt15iterator_traitsISI_E10value_typeEmT1_T2_,"axG",@progbits,_ZN7rocprim17ROCPRIM_400000_NS6detail30init_device_scan_by_key_kernelINS1_19lookback_scan_stateINS0_5tupleIJibEEELb0ELb1EEEN6thrust23THRUST_200600_302600_NS16reverse_iteratorIPKiEEjNS1_16block_id_wrapperIjLb1EEEEEvT_jjPNSF_10value_typeET0_PNSt15iterator_traitsISI_E10value_typeEmT1_T2_,comdat
	.protected	_ZN7rocprim17ROCPRIM_400000_NS6detail30init_device_scan_by_key_kernelINS1_19lookback_scan_stateINS0_5tupleIJibEEELb0ELb1EEEN6thrust23THRUST_200600_302600_NS16reverse_iteratorIPKiEEjNS1_16block_id_wrapperIjLb1EEEEEvT_jjPNSF_10value_typeET0_PNSt15iterator_traitsISI_E10value_typeEmT1_T2_ ; -- Begin function _ZN7rocprim17ROCPRIM_400000_NS6detail30init_device_scan_by_key_kernelINS1_19lookback_scan_stateINS0_5tupleIJibEEELb0ELb1EEEN6thrust23THRUST_200600_302600_NS16reverse_iteratorIPKiEEjNS1_16block_id_wrapperIjLb1EEEEEvT_jjPNSF_10value_typeET0_PNSt15iterator_traitsISI_E10value_typeEmT1_T2_
	.globl	_ZN7rocprim17ROCPRIM_400000_NS6detail30init_device_scan_by_key_kernelINS1_19lookback_scan_stateINS0_5tupleIJibEEELb0ELb1EEEN6thrust23THRUST_200600_302600_NS16reverse_iteratorIPKiEEjNS1_16block_id_wrapperIjLb1EEEEEvT_jjPNSF_10value_typeET0_PNSt15iterator_traitsISI_E10value_typeEmT1_T2_
	.p2align	8
	.type	_ZN7rocprim17ROCPRIM_400000_NS6detail30init_device_scan_by_key_kernelINS1_19lookback_scan_stateINS0_5tupleIJibEEELb0ELb1EEEN6thrust23THRUST_200600_302600_NS16reverse_iteratorIPKiEEjNS1_16block_id_wrapperIjLb1EEEEEvT_jjPNSF_10value_typeET0_PNSt15iterator_traitsISI_E10value_typeEmT1_T2_,@function
_ZN7rocprim17ROCPRIM_400000_NS6detail30init_device_scan_by_key_kernelINS1_19lookback_scan_stateINS0_5tupleIJibEEELb0ELb1EEEN6thrust23THRUST_200600_302600_NS16reverse_iteratorIPKiEEjNS1_16block_id_wrapperIjLb1EEEEEvT_jjPNSF_10value_typeET0_PNSt15iterator_traitsISI_E10value_typeEmT1_T2_: ; @_ZN7rocprim17ROCPRIM_400000_NS6detail30init_device_scan_by_key_kernelINS1_19lookback_scan_stateINS0_5tupleIJibEEELb0ELb1EEEN6thrust23THRUST_200600_302600_NS16reverse_iteratorIPKiEEjNS1_16block_id_wrapperIjLb1EEEEEvT_jjPNSF_10value_typeET0_PNSt15iterator_traitsISI_E10value_typeEmT1_T2_
; %bb.0:
	s_load_dword s3, s[0:1], 0x4c
	s_load_dwordx8 s[4:11], s[0:1], 0x0
	s_load_dword s18, s[0:1], 0x40
	s_waitcnt lgkmcnt(0)
	s_and_b32 s19, s3, 0xffff
	s_mul_i32 s2, s2, s19
	s_cmp_eq_u64 s[8:9], 0
	v_add_u32_e32 v4, s2, v0
	s_cbranch_scc1 .LBB82_8
; %bb.1:
	s_cmp_lt_u32 s7, s6
	s_cselect_b32 s2, s7, 0
	s_mov_b32 s13, 0
	v_cmp_eq_u32_e32 vcc, s2, v4
	s_and_saveexec_b64 s[2:3], vcc
	s_cbranch_execz .LBB82_7
; %bb.2:
	s_add_i32 s12, s7, 64
	s_lshl_b64 s[12:13], s[12:13], 4
	s_add_u32 s16, s4, s12
	s_addc_u32 s17, s5, s13
	v_mov_b64_e32 v[0:1], s[16:17]
	;;#ASMSTART
	global_load_dwordx4 v[0:3], v[0:1] off sc1	
s_waitcnt vmcnt(0)
	;;#ASMEND
	v_mov_b32_e32 v7, 0
	v_and_b32_e32 v6, 0xff, v2
	s_mov_b64 s[14:15], 0
	v_cmp_eq_u64_e32 vcc, 0, v[6:7]
	s_and_saveexec_b64 s[12:13], vcc
	s_cbranch_execz .LBB82_6
; %bb.3:
	v_mov_b64_e32 v[8:9], s[16:17]
.LBB82_4:                               ; =>This Inner Loop Header: Depth=1
	;;#ASMSTART
	global_load_dwordx4 v[0:3], v[8:9] off sc1	
s_waitcnt vmcnt(0)
	;;#ASMEND
	s_nop 0
	v_and_b32_e32 v6, 0xff, v2
	v_cmp_ne_u64_e32 vcc, 0, v[6:7]
	s_or_b64 s[14:15], vcc, s[14:15]
	s_andn2_b64 exec, exec, s[14:15]
	s_cbranch_execnz .LBB82_4
; %bb.5:
	s_or_b64 exec, exec, s[14:15]
.LBB82_6:
	s_or_b64 exec, exec, s[12:13]
	v_mov_b32_e32 v2, 0
	global_store_dword v2, v0, s[8:9]
	global_store_byte v2, v1, s[8:9] offset:4
.LBB82_7:
	s_or_b64 exec, exec, s[2:3]
.LBB82_8:
	v_cmp_eq_u32_e32 vcc, 0, v4
	s_and_saveexec_b64 s[2:3], vcc
	s_cbranch_execz .LBB82_10
; %bb.9:
	s_load_dwordx2 s[8:9], s[0:1], 0x38
	v_mov_b32_e32 v0, 0
	s_waitcnt lgkmcnt(0)
	global_store_dword v0, v0, s[8:9]
.LBB82_10:
	s_or_b64 exec, exec, s[2:3]
	v_cmp_gt_u32_e32 vcc, s6, v4
	s_and_saveexec_b64 s[2:3], vcc
	s_cbranch_execz .LBB82_12
; %bb.11:
	v_add_u32_e32 v0, 64, v4
	v_mov_b32_e32 v1, 0
	v_lshl_add_u64 v[6:7], v[0:1], 4, s[4:5]
	v_mov_b32_e32 v0, v1
	v_mov_b32_e32 v2, v1
	;; [unrolled: 1-line block ×3, first 2 shown]
	global_store_dwordx4 v[6:7], v[0:3], off
.LBB82_12:
	s_or_b64 exec, exec, s[2:3]
	v_cmp_gt_u32_e32 vcc, 64, v4
	v_mov_b32_e32 v5, 0
	s_and_saveexec_b64 s[2:3], vcc
	s_cbranch_execz .LBB82_14
; %bb.13:
	v_lshl_add_u64 v[6:7], v[4:5], 4, s[4:5]
	v_mov_b32_e32 v2, 0xff
	v_mov_b32_e32 v0, v5
	;; [unrolled: 1-line block ×4, first 2 shown]
	global_store_dwordx4 v[6:7], v[0:3], off
.LBB82_14:
	s_or_b64 exec, exec, s[2:3]
	s_load_dwordx2 s[2:3], s[0:1], 0x28
	s_waitcnt lgkmcnt(0)
	v_cmp_gt_u64_e32 vcc, s[2:3], v[4:5]
	s_and_saveexec_b64 s[4:5], vcc
	s_cbranch_execz .LBB82_17
; %bb.15:
	s_load_dword s6, s[0:1], 0x30
	s_load_dwordx2 s[8:9], s[0:1], 0x20
	v_mov_b32_e32 v3, 0
	s_mul_i32 s0, s18, s19
	v_mov_b32_e32 v0, s10
	s_waitcnt lgkmcnt(0)
	s_add_i32 s4, s6, -1
	v_mov_b32_e32 v2, s4
	v_mad_u64_u32 v[2:3], s[4:5], s6, v4, v[2:3]
	s_mul_hi_u32 s5, s6, s0
	s_mul_i32 s4, s6, s0
	s_lshl_b64 s[6:7], s[4:5], 2
	v_mov_b32_e32 v1, s11
	s_mov_b32 s1, 0
	v_not_b32_e32 v3, v3
	v_not_b32_e32 v2, v2
	s_sub_u32 s6, 0, s6
	v_lshl_add_u64 v[0:1], v[2:3], 2, v[0:1]
	s_mov_b64 s[4:5], 0
	s_subb_u32 s7, 0, s7
	v_lshl_add_u64 v[2:3], v[4:5], 2, s[8:9]
	s_lshl_b64 s[8:9], s[0:1], 2
.LBB82_16:                              ; =>This Inner Loop Header: Depth=1
	global_load_dword v6, v[0:1], off
	v_lshl_add_u64 v[4:5], v[4:5], 0, s[0:1]
	v_cmp_le_u64_e32 vcc, s[2:3], v[4:5]
	v_lshl_add_u64 v[0:1], v[0:1], 0, s[6:7]
	s_or_b64 s[4:5], vcc, s[4:5]
	s_waitcnt vmcnt(0)
	global_store_dword v[2:3], v6, off
	v_lshl_add_u64 v[2:3], v[2:3], 0, s[8:9]
	s_andn2_b64 exec, exec, s[4:5]
	s_cbranch_execnz .LBB82_16
.LBB82_17:
	s_endpgm
	.section	.rodata,"a",@progbits
	.p2align	6, 0x0
	.amdhsa_kernel _ZN7rocprim17ROCPRIM_400000_NS6detail30init_device_scan_by_key_kernelINS1_19lookback_scan_stateINS0_5tupleIJibEEELb0ELb1EEEN6thrust23THRUST_200600_302600_NS16reverse_iteratorIPKiEEjNS1_16block_id_wrapperIjLb1EEEEEvT_jjPNSF_10value_typeET0_PNSt15iterator_traitsISI_E10value_typeEmT1_T2_
		.amdhsa_group_segment_fixed_size 0
		.amdhsa_private_segment_fixed_size 0
		.amdhsa_kernarg_size 320
		.amdhsa_user_sgpr_count 2
		.amdhsa_user_sgpr_dispatch_ptr 0
		.amdhsa_user_sgpr_queue_ptr 0
		.amdhsa_user_sgpr_kernarg_segment_ptr 1
		.amdhsa_user_sgpr_dispatch_id 0
		.amdhsa_user_sgpr_kernarg_preload_length 0
		.amdhsa_user_sgpr_kernarg_preload_offset 0
		.amdhsa_user_sgpr_private_segment_size 0
		.amdhsa_uses_dynamic_stack 0
		.amdhsa_enable_private_segment 0
		.amdhsa_system_sgpr_workgroup_id_x 1
		.amdhsa_system_sgpr_workgroup_id_y 0
		.amdhsa_system_sgpr_workgroup_id_z 0
		.amdhsa_system_sgpr_workgroup_info 0
		.amdhsa_system_vgpr_workitem_id 0
		.amdhsa_next_free_vgpr 10
		.amdhsa_next_free_sgpr 20
		.amdhsa_accum_offset 12
		.amdhsa_reserve_vcc 1
		.amdhsa_float_round_mode_32 0
		.amdhsa_float_round_mode_16_64 0
		.amdhsa_float_denorm_mode_32 3
		.amdhsa_float_denorm_mode_16_64 3
		.amdhsa_dx10_clamp 1
		.amdhsa_ieee_mode 1
		.amdhsa_fp16_overflow 0
		.amdhsa_tg_split 0
		.amdhsa_exception_fp_ieee_invalid_op 0
		.amdhsa_exception_fp_denorm_src 0
		.amdhsa_exception_fp_ieee_div_zero 0
		.amdhsa_exception_fp_ieee_overflow 0
		.amdhsa_exception_fp_ieee_underflow 0
		.amdhsa_exception_fp_ieee_inexact 0
		.amdhsa_exception_int_div_zero 0
	.end_amdhsa_kernel
	.section	.text._ZN7rocprim17ROCPRIM_400000_NS6detail30init_device_scan_by_key_kernelINS1_19lookback_scan_stateINS0_5tupleIJibEEELb0ELb1EEEN6thrust23THRUST_200600_302600_NS16reverse_iteratorIPKiEEjNS1_16block_id_wrapperIjLb1EEEEEvT_jjPNSF_10value_typeET0_PNSt15iterator_traitsISI_E10value_typeEmT1_T2_,"axG",@progbits,_ZN7rocprim17ROCPRIM_400000_NS6detail30init_device_scan_by_key_kernelINS1_19lookback_scan_stateINS0_5tupleIJibEEELb0ELb1EEEN6thrust23THRUST_200600_302600_NS16reverse_iteratorIPKiEEjNS1_16block_id_wrapperIjLb1EEEEEvT_jjPNSF_10value_typeET0_PNSt15iterator_traitsISI_E10value_typeEmT1_T2_,comdat
.Lfunc_end82:
	.size	_ZN7rocprim17ROCPRIM_400000_NS6detail30init_device_scan_by_key_kernelINS1_19lookback_scan_stateINS0_5tupleIJibEEELb0ELb1EEEN6thrust23THRUST_200600_302600_NS16reverse_iteratorIPKiEEjNS1_16block_id_wrapperIjLb1EEEEEvT_jjPNSF_10value_typeET0_PNSt15iterator_traitsISI_E10value_typeEmT1_T2_, .Lfunc_end82-_ZN7rocprim17ROCPRIM_400000_NS6detail30init_device_scan_by_key_kernelINS1_19lookback_scan_stateINS0_5tupleIJibEEELb0ELb1EEEN6thrust23THRUST_200600_302600_NS16reverse_iteratorIPKiEEjNS1_16block_id_wrapperIjLb1EEEEEvT_jjPNSF_10value_typeET0_PNSt15iterator_traitsISI_E10value_typeEmT1_T2_
                                        ; -- End function
	.set _ZN7rocprim17ROCPRIM_400000_NS6detail30init_device_scan_by_key_kernelINS1_19lookback_scan_stateINS0_5tupleIJibEEELb0ELb1EEEN6thrust23THRUST_200600_302600_NS16reverse_iteratorIPKiEEjNS1_16block_id_wrapperIjLb1EEEEEvT_jjPNSF_10value_typeET0_PNSt15iterator_traitsISI_E10value_typeEmT1_T2_.num_vgpr, 10
	.set _ZN7rocprim17ROCPRIM_400000_NS6detail30init_device_scan_by_key_kernelINS1_19lookback_scan_stateINS0_5tupleIJibEEELb0ELb1EEEN6thrust23THRUST_200600_302600_NS16reverse_iteratorIPKiEEjNS1_16block_id_wrapperIjLb1EEEEEvT_jjPNSF_10value_typeET0_PNSt15iterator_traitsISI_E10value_typeEmT1_T2_.num_agpr, 0
	.set _ZN7rocprim17ROCPRIM_400000_NS6detail30init_device_scan_by_key_kernelINS1_19lookback_scan_stateINS0_5tupleIJibEEELb0ELb1EEEN6thrust23THRUST_200600_302600_NS16reverse_iteratorIPKiEEjNS1_16block_id_wrapperIjLb1EEEEEvT_jjPNSF_10value_typeET0_PNSt15iterator_traitsISI_E10value_typeEmT1_T2_.numbered_sgpr, 20
	.set _ZN7rocprim17ROCPRIM_400000_NS6detail30init_device_scan_by_key_kernelINS1_19lookback_scan_stateINS0_5tupleIJibEEELb0ELb1EEEN6thrust23THRUST_200600_302600_NS16reverse_iteratorIPKiEEjNS1_16block_id_wrapperIjLb1EEEEEvT_jjPNSF_10value_typeET0_PNSt15iterator_traitsISI_E10value_typeEmT1_T2_.num_named_barrier, 0
	.set _ZN7rocprim17ROCPRIM_400000_NS6detail30init_device_scan_by_key_kernelINS1_19lookback_scan_stateINS0_5tupleIJibEEELb0ELb1EEEN6thrust23THRUST_200600_302600_NS16reverse_iteratorIPKiEEjNS1_16block_id_wrapperIjLb1EEEEEvT_jjPNSF_10value_typeET0_PNSt15iterator_traitsISI_E10value_typeEmT1_T2_.private_seg_size, 0
	.set _ZN7rocprim17ROCPRIM_400000_NS6detail30init_device_scan_by_key_kernelINS1_19lookback_scan_stateINS0_5tupleIJibEEELb0ELb1EEEN6thrust23THRUST_200600_302600_NS16reverse_iteratorIPKiEEjNS1_16block_id_wrapperIjLb1EEEEEvT_jjPNSF_10value_typeET0_PNSt15iterator_traitsISI_E10value_typeEmT1_T2_.uses_vcc, 1
	.set _ZN7rocprim17ROCPRIM_400000_NS6detail30init_device_scan_by_key_kernelINS1_19lookback_scan_stateINS0_5tupleIJibEEELb0ELb1EEEN6thrust23THRUST_200600_302600_NS16reverse_iteratorIPKiEEjNS1_16block_id_wrapperIjLb1EEEEEvT_jjPNSF_10value_typeET0_PNSt15iterator_traitsISI_E10value_typeEmT1_T2_.uses_flat_scratch, 0
	.set _ZN7rocprim17ROCPRIM_400000_NS6detail30init_device_scan_by_key_kernelINS1_19lookback_scan_stateINS0_5tupleIJibEEELb0ELb1EEEN6thrust23THRUST_200600_302600_NS16reverse_iteratorIPKiEEjNS1_16block_id_wrapperIjLb1EEEEEvT_jjPNSF_10value_typeET0_PNSt15iterator_traitsISI_E10value_typeEmT1_T2_.has_dyn_sized_stack, 0
	.set _ZN7rocprim17ROCPRIM_400000_NS6detail30init_device_scan_by_key_kernelINS1_19lookback_scan_stateINS0_5tupleIJibEEELb0ELb1EEEN6thrust23THRUST_200600_302600_NS16reverse_iteratorIPKiEEjNS1_16block_id_wrapperIjLb1EEEEEvT_jjPNSF_10value_typeET0_PNSt15iterator_traitsISI_E10value_typeEmT1_T2_.has_recursion, 0
	.set _ZN7rocprim17ROCPRIM_400000_NS6detail30init_device_scan_by_key_kernelINS1_19lookback_scan_stateINS0_5tupleIJibEEELb0ELb1EEEN6thrust23THRUST_200600_302600_NS16reverse_iteratorIPKiEEjNS1_16block_id_wrapperIjLb1EEEEEvT_jjPNSF_10value_typeET0_PNSt15iterator_traitsISI_E10value_typeEmT1_T2_.has_indirect_call, 0
	.section	.AMDGPU.csdata,"",@progbits
; Kernel info:
; codeLenInByte = 596
; TotalNumSgprs: 26
; NumVgprs: 10
; NumAgprs: 0
; TotalNumVgprs: 10
; ScratchSize: 0
; MemoryBound: 0
; FloatMode: 240
; IeeeMode: 1
; LDSByteSize: 0 bytes/workgroup (compile time only)
; SGPRBlocks: 3
; VGPRBlocks: 1
; NumSGPRsForWavesPerEU: 26
; NumVGPRsForWavesPerEU: 10
; AccumOffset: 12
; Occupancy: 8
; WaveLimiterHint : 0
; COMPUTE_PGM_RSRC2:SCRATCH_EN: 0
; COMPUTE_PGM_RSRC2:USER_SGPR: 2
; COMPUTE_PGM_RSRC2:TRAP_HANDLER: 0
; COMPUTE_PGM_RSRC2:TGID_X_EN: 1
; COMPUTE_PGM_RSRC2:TGID_Y_EN: 0
; COMPUTE_PGM_RSRC2:TGID_Z_EN: 0
; COMPUTE_PGM_RSRC2:TIDIG_COMP_CNT: 0
; COMPUTE_PGM_RSRC3_GFX90A:ACCUM_OFFSET: 2
; COMPUTE_PGM_RSRC3_GFX90A:TG_SPLIT: 0
	.section	.text._ZN7rocprim17ROCPRIM_400000_NS6detail17trampoline_kernelINS0_14default_configENS1_27scan_by_key_config_selectorIiiEEZZNS1_16scan_by_key_implILNS1_25lookback_scan_determinismE0ELb0ES3_N6thrust23THRUST_200600_302600_NS16reverse_iteratorIPKiEESD_NSA_IPiEEiN6hipcub16HIPCUB_304000_NS3MaxENSH_8EqualityEiEE10hipError_tPvRmT2_T3_T4_T5_mT6_T7_P12ihipStream_tbENKUlT_T0_E_clISt17integral_constantIbLb0EESZ_IbLb1EEEEDaSV_SW_EUlSV_E_NS1_11comp_targetILNS1_3genE0ELNS1_11target_archE4294967295ELNS1_3gpuE0ELNS1_3repE0EEENS1_30default_config_static_selectorELNS0_4arch9wavefront6targetE1EEEvT1_,"axG",@progbits,_ZN7rocprim17ROCPRIM_400000_NS6detail17trampoline_kernelINS0_14default_configENS1_27scan_by_key_config_selectorIiiEEZZNS1_16scan_by_key_implILNS1_25lookback_scan_determinismE0ELb0ES3_N6thrust23THRUST_200600_302600_NS16reverse_iteratorIPKiEESD_NSA_IPiEEiN6hipcub16HIPCUB_304000_NS3MaxENSH_8EqualityEiEE10hipError_tPvRmT2_T3_T4_T5_mT6_T7_P12ihipStream_tbENKUlT_T0_E_clISt17integral_constantIbLb0EESZ_IbLb1EEEEDaSV_SW_EUlSV_E_NS1_11comp_targetILNS1_3genE0ELNS1_11target_archE4294967295ELNS1_3gpuE0ELNS1_3repE0EEENS1_30default_config_static_selectorELNS0_4arch9wavefront6targetE1EEEvT1_,comdat
	.protected	_ZN7rocprim17ROCPRIM_400000_NS6detail17trampoline_kernelINS0_14default_configENS1_27scan_by_key_config_selectorIiiEEZZNS1_16scan_by_key_implILNS1_25lookback_scan_determinismE0ELb0ES3_N6thrust23THRUST_200600_302600_NS16reverse_iteratorIPKiEESD_NSA_IPiEEiN6hipcub16HIPCUB_304000_NS3MaxENSH_8EqualityEiEE10hipError_tPvRmT2_T3_T4_T5_mT6_T7_P12ihipStream_tbENKUlT_T0_E_clISt17integral_constantIbLb0EESZ_IbLb1EEEEDaSV_SW_EUlSV_E_NS1_11comp_targetILNS1_3genE0ELNS1_11target_archE4294967295ELNS1_3gpuE0ELNS1_3repE0EEENS1_30default_config_static_selectorELNS0_4arch9wavefront6targetE1EEEvT1_ ; -- Begin function _ZN7rocprim17ROCPRIM_400000_NS6detail17trampoline_kernelINS0_14default_configENS1_27scan_by_key_config_selectorIiiEEZZNS1_16scan_by_key_implILNS1_25lookback_scan_determinismE0ELb0ES3_N6thrust23THRUST_200600_302600_NS16reverse_iteratorIPKiEESD_NSA_IPiEEiN6hipcub16HIPCUB_304000_NS3MaxENSH_8EqualityEiEE10hipError_tPvRmT2_T3_T4_T5_mT6_T7_P12ihipStream_tbENKUlT_T0_E_clISt17integral_constantIbLb0EESZ_IbLb1EEEEDaSV_SW_EUlSV_E_NS1_11comp_targetILNS1_3genE0ELNS1_11target_archE4294967295ELNS1_3gpuE0ELNS1_3repE0EEENS1_30default_config_static_selectorELNS0_4arch9wavefront6targetE1EEEvT1_
	.globl	_ZN7rocprim17ROCPRIM_400000_NS6detail17trampoline_kernelINS0_14default_configENS1_27scan_by_key_config_selectorIiiEEZZNS1_16scan_by_key_implILNS1_25lookback_scan_determinismE0ELb0ES3_N6thrust23THRUST_200600_302600_NS16reverse_iteratorIPKiEESD_NSA_IPiEEiN6hipcub16HIPCUB_304000_NS3MaxENSH_8EqualityEiEE10hipError_tPvRmT2_T3_T4_T5_mT6_T7_P12ihipStream_tbENKUlT_T0_E_clISt17integral_constantIbLb0EESZ_IbLb1EEEEDaSV_SW_EUlSV_E_NS1_11comp_targetILNS1_3genE0ELNS1_11target_archE4294967295ELNS1_3gpuE0ELNS1_3repE0EEENS1_30default_config_static_selectorELNS0_4arch9wavefront6targetE1EEEvT1_
	.p2align	8
	.type	_ZN7rocprim17ROCPRIM_400000_NS6detail17trampoline_kernelINS0_14default_configENS1_27scan_by_key_config_selectorIiiEEZZNS1_16scan_by_key_implILNS1_25lookback_scan_determinismE0ELb0ES3_N6thrust23THRUST_200600_302600_NS16reverse_iteratorIPKiEESD_NSA_IPiEEiN6hipcub16HIPCUB_304000_NS3MaxENSH_8EqualityEiEE10hipError_tPvRmT2_T3_T4_T5_mT6_T7_P12ihipStream_tbENKUlT_T0_E_clISt17integral_constantIbLb0EESZ_IbLb1EEEEDaSV_SW_EUlSV_E_NS1_11comp_targetILNS1_3genE0ELNS1_11target_archE4294967295ELNS1_3gpuE0ELNS1_3repE0EEENS1_30default_config_static_selectorELNS0_4arch9wavefront6targetE1EEEvT1_,@function
_ZN7rocprim17ROCPRIM_400000_NS6detail17trampoline_kernelINS0_14default_configENS1_27scan_by_key_config_selectorIiiEEZZNS1_16scan_by_key_implILNS1_25lookback_scan_determinismE0ELb0ES3_N6thrust23THRUST_200600_302600_NS16reverse_iteratorIPKiEESD_NSA_IPiEEiN6hipcub16HIPCUB_304000_NS3MaxENSH_8EqualityEiEE10hipError_tPvRmT2_T3_T4_T5_mT6_T7_P12ihipStream_tbENKUlT_T0_E_clISt17integral_constantIbLb0EESZ_IbLb1EEEEDaSV_SW_EUlSV_E_NS1_11comp_targetILNS1_3genE0ELNS1_11target_archE4294967295ELNS1_3gpuE0ELNS1_3repE0EEENS1_30default_config_static_selectorELNS0_4arch9wavefront6targetE1EEEvT1_: ; @_ZN7rocprim17ROCPRIM_400000_NS6detail17trampoline_kernelINS0_14default_configENS1_27scan_by_key_config_selectorIiiEEZZNS1_16scan_by_key_implILNS1_25lookback_scan_determinismE0ELb0ES3_N6thrust23THRUST_200600_302600_NS16reverse_iteratorIPKiEESD_NSA_IPiEEiN6hipcub16HIPCUB_304000_NS3MaxENSH_8EqualityEiEE10hipError_tPvRmT2_T3_T4_T5_mT6_T7_P12ihipStream_tbENKUlT_T0_E_clISt17integral_constantIbLb0EESZ_IbLb1EEEEDaSV_SW_EUlSV_E_NS1_11comp_targetILNS1_3genE0ELNS1_11target_archE4294967295ELNS1_3gpuE0ELNS1_3repE0EEENS1_30default_config_static_selectorELNS0_4arch9wavefront6targetE1EEEvT1_
; %bb.0:
	s_load_dwordx4 s[52:55], s[0:1], 0x28
	s_load_dwordx2 s[58:59], s[0:1], 0x38
	v_cmp_ne_u32_e64 s[4:5], 0, v0
	v_cmp_eq_u32_e64 s[30:31], 0, v0
	s_and_saveexec_b64 s[2:3], s[30:31]
	s_cbranch_execz .LBB83_4
; %bb.1:
	s_mov_b64 s[8:9], exec
	v_mbcnt_lo_u32_b32 v1, s8, 0
	v_mbcnt_hi_u32_b32 v1, s9, v1
	v_cmp_eq_u32_e32 vcc, 0, v1
                                        ; implicit-def: $vgpr2
	s_and_saveexec_b64 s[6:7], vcc
	s_cbranch_execz .LBB83_3
; %bb.2:
	s_load_dwordx2 s[10:11], s[0:1], 0x68
	s_bcnt1_i32_b64 s8, s[8:9]
	v_mov_b32_e32 v2, 0
	v_mov_b32_e32 v3, s8
	s_waitcnt lgkmcnt(0)
	global_atomic_add v2, v2, v3, s[10:11] sc0
.LBB83_3:
	s_or_b64 exec, exec, s[6:7]
	s_waitcnt vmcnt(0)
	v_readfirstlane_b32 s6, v2
	v_mov_b32_e32 v2, 0
	s_nop 0
	v_add_u32_e32 v1, s6, v1
	ds_write_b32 v2, v1
.LBB83_4:
	s_or_b64 exec, exec, s[2:3]
	s_load_dwordx8 s[36:43], s[0:1], 0x0
	s_load_dword s2, s[0:1], 0x40
	s_load_dwordx8 s[44:51], s[0:1], 0x48
	v_mov_b32_e32 v1, 0
	s_waitcnt lgkmcnt(0)
	s_sub_u32 s56, 0, s38
	s_subb_u32 s57, 0, s39
	s_lshl_b64 s[0:1], s[38:39], 2
	s_sub_u32 s3, s36, s0
	s_barrier
	ds_read_b32 v1, v1
	s_subb_u32 s6, s37, s1
	s_sub_u32 s7, s40, s0
	s_subb_u32 s8, s41, s1
	s_mul_i32 s0, s59, s2
	s_mul_hi_u32 s1, s58, s2
	s_add_i32 s9, s1, s0
	s_cmp_eq_u64 s[48:49], 0
	s_waitcnt lgkmcnt(0)
	v_readfirstlane_b32 s48, v1
	s_mul_i32 s0, s48, 0xc00
	s_cselect_b64 s[34:35], -1, 0
	s_mov_b32 s1, 0
	s_sub_u32 s36, 0, s0
	s_subb_u32 s37, 0, 0
	s_lshl_b64 s[0:1], s[0:1], 2
	s_sub_u32 s55, s3, s0
	s_subb_u32 s49, s6, s1
	s_sub_u32 s28, s7, s0
	s_mul_i32 s2, s58, s2
	s_subb_u32 s29, s8, s1
	s_add_u32 s38, s2, s48
	s_addc_u32 s39, s9, 0
	s_add_u32 s0, s44, -1
	s_addc_u32 s1, s45, -1
	v_mov_b64_e32 v[2:3], s[0:1]
	v_cmp_ge_u64_e64 s[2:3], s[38:39], v[2:3]
	s_mov_b64 s[10:11], 0
	s_mov_b64 s[6:7], -1
	s_and_b64 vcc, exec, s[2:3]
	s_mul_i32 s33, s0, 0xfffff400
	s_barrier
	s_barrier
	s_cbranch_vccz .LBB83_68
; %bb.5:
	v_mov_b32_e32 v1, s49
	v_add_co_u32_e64 v2, vcc, -4, s55
	s_add_i32 s60, s33, s54
	s_nop 0
	v_addc_co_u32_e32 v3, vcc, -1, v1, vcc
	flat_load_dword v1, v[2:3]
	s_add_u32 s44, s55, -4
	s_addc_u32 s45, s49, -1
	v_cmp_gt_u32_e32 vcc, s60, v0
	s_waitcnt vmcnt(0) lgkmcnt(0)
	v_mov_b32_e32 v2, v1
	s_and_saveexec_b64 s[6:7], vcc
	s_cbranch_execz .LBB83_7
; %bb.6:
	v_lshlrev_b32_e32 v2, 2, v0
	v_mov_b32_e32 v3, s49
	v_sub_co_u32_e64 v2, s[0:1], s55, v2
	s_nop 1
	v_subbrev_co_u32_e64 v3, s[0:1], 0, v3, s[0:1]
	v_add_co_u32_e64 v2, s[0:1], -4, v2
	s_nop 1
	v_addc_co_u32_e64 v3, s[0:1], -1, v3, s[0:1]
	flat_load_dword v2, v[2:3]
.LBB83_7:
	s_or_b64 exec, exec, s[6:7]
	v_or_b32_e32 v3, 0x100, v0
	v_cmp_gt_u32_e64 s[6:7], s60, v3
	v_lshlrev_b32_e32 v14, 2, v3
	v_mov_b32_e32 v3, v1
	s_and_saveexec_b64 s[8:9], s[6:7]
	s_cbranch_execz .LBB83_9
; %bb.8:
	v_mov_b32_e32 v3, s49
	v_sub_co_u32_e64 v4, s[0:1], s55, v14
	s_nop 1
	v_subbrev_co_u32_e64 v3, s[0:1], 0, v3, s[0:1]
	v_add_co_u32_e64 v4, s[0:1], -4, v4
	s_nop 1
	v_addc_co_u32_e64 v5, s[0:1], -1, v3, s[0:1]
	flat_load_dword v3, v[4:5]
.LBB83_9:
	s_or_b64 exec, exec, s[8:9]
	v_or_b32_e32 v4, 0x200, v0
	v_cmp_gt_u32_e64 s[8:9], s60, v4
	v_lshlrev_b32_e32 v15, 2, v4
	v_mov_b32_e32 v4, v1
	s_and_saveexec_b64 s[10:11], s[8:9]
	s_cbranch_execz .LBB83_11
; %bb.10:
	v_mov_b32_e32 v4, s49
	v_sub_co_u32_e64 v5, s[0:1], s55, v15
	s_nop 1
	v_subbrev_co_u32_e64 v6, s[0:1], 0, v4, s[0:1]
	v_add_co_u32_e64 v4, s[0:1], -4, v5
	s_nop 1
	v_addc_co_u32_e64 v5, s[0:1], -1, v6, s[0:1]
	flat_load_dword v4, v[4:5]
.LBB83_11:
	;; [unrolled: 17-line block ×10, first 2 shown]
	s_or_b64 exec, exec, s[26:27]
	v_or_b32_e32 v13, 0xb00, v0
	v_cmp_gt_u32_e64 s[26:27], s60, v13
	v_lshlrev_b32_e32 v24, 2, v13
	s_and_saveexec_b64 s[40:41], s[26:27]
	s_cbranch_execz .LBB83_29
; %bb.28:
	v_mov_b32_e32 v1, s49
	v_sub_co_u32_e64 v13, s[0:1], s55, v24
	s_nop 1
	v_subbrev_co_u32_e64 v1, s[0:1], 0, v1, s[0:1]
	v_add_co_u32_e64 v26, s[0:1], -4, v13
	s_nop 1
	v_addc_co_u32_e64 v27, s[0:1], -1, v1, s[0:1]
	flat_load_dword v1, v[26:27]
.LBB83_29:
	s_or_b64 exec, exec, s[40:41]
	s_lshl_b64 s[0:1], s[38:39], 2
	s_add_u32 s0, s50, s0
	s_addc_u32 s1, s51, s1
	s_add_u32 s40, s0, -4
	s_addc_u32 s41, s1, -1
	s_and_b64 s[0:1], s[34:35], exec
	s_cselect_b32 s0, s55, s40
	s_cselect_b32 s1, s49, s41
	s_cmp_eq_u64 s[38:39], 0
	v_lshlrev_b32_e32 v25, 2, v0
	s_cselect_b32 s1, s45, s1
	s_cselect_b32 s0, s44, s0
	s_waitcnt vmcnt(0) lgkmcnt(0)
	ds_write2st64_b32 v25, v2, v3 offset1:4
	ds_write2st64_b32 v25, v4, v5 offset0:8 offset1:12
	ds_write2st64_b32 v25, v6, v7 offset0:16 offset1:20
	;; [unrolled: 1-line block ×5, first 2 shown]
	v_mov_b32_e32 v2, s0
	v_mov_b32_e32 v3, s1
	s_waitcnt lgkmcnt(0)
	s_barrier
	flat_load_dword v39, v[2:3]
	v_mad_u32_u24 v1, v0, 44, v25
	ds_read_b128 v[2:5], v1 offset:32
	ds_read_b128 v[10:13], v1
	ds_read_b128 v[6:9], v1 offset:16
	s_movk_i32 s0, 0xffd4
	v_mad_i32_i24 v26, v0, s0, v1
	s_waitcnt lgkmcnt(0)
	ds_write_b32 v26, v5 offset:12288
	s_waitcnt lgkmcnt(0)
	s_barrier
	s_and_saveexec_b64 s[0:1], s[4:5]
	s_cbranch_execz .LBB83_31
; %bb.30:
	v_mul_i32_i24_e32 v26, 0xffffffd4, v0
	v_add_u32_e32 v26, v1, v26
	s_waitcnt vmcnt(0)
	ds_read_b32 v39, v26 offset:12284
.LBB83_31:
	s_or_b64 exec, exec, s[0:1]
	s_waitcnt lgkmcnt(0)
	s_barrier
                                        ; implicit-def: $vgpr26
	s_and_saveexec_b64 s[0:1], vcc
	s_cbranch_execz .LBB83_104
; %bb.32:
	v_mov_b32_e32 v26, s29
	v_sub_co_u32_e32 v27, vcc, s28, v25
	s_nop 1
	v_subbrev_co_u32_e32 v28, vcc, 0, v26, vcc
	v_add_co_u32_e32 v26, vcc, -4, v27
	s_nop 1
	v_addc_co_u32_e32 v27, vcc, -1, v28, vcc
	flat_load_dword v26, v[26:27]
	s_or_b64 exec, exec, s[0:1]
                                        ; implicit-def: $vgpr27
	s_and_saveexec_b64 s[0:1], s[6:7]
	s_cbranch_execnz .LBB83_105
.LBB83_33:
	s_or_b64 exec, exec, s[0:1]
                                        ; implicit-def: $vgpr14
	s_and_saveexec_b64 s[0:1], s[8:9]
	s_cbranch_execz .LBB83_106
.LBB83_34:
	v_mov_b32_e32 v14, s29
	v_sub_co_u32_e32 v15, vcc, s28, v15
	s_nop 1
	v_subbrev_co_u32_e32 v28, vcc, 0, v14, vcc
	v_add_co_u32_e32 v14, vcc, -4, v15
	s_nop 1
	v_addc_co_u32_e32 v15, vcc, -1, v28, vcc
	flat_load_dword v14, v[14:15]
	s_or_b64 exec, exec, s[0:1]
                                        ; implicit-def: $vgpr15
	s_and_saveexec_b64 s[0:1], s[10:11]
	s_cbranch_execnz .LBB83_107
.LBB83_35:
	s_or_b64 exec, exec, s[0:1]
                                        ; implicit-def: $vgpr16
	s_and_saveexec_b64 s[0:1], s[12:13]
	s_cbranch_execz .LBB83_108
.LBB83_36:
	v_mov_b32_e32 v16, s29
	v_sub_co_u32_e32 v17, vcc, s28, v17
	s_nop 1
	v_subbrev_co_u32_e32 v28, vcc, 0, v16, vcc
	v_add_co_u32_e32 v16, vcc, -4, v17
	s_nop 1
	v_addc_co_u32_e32 v17, vcc, -1, v28, vcc
	flat_load_dword v16, v[16:17]
	s_or_b64 exec, exec, s[0:1]
                                        ; implicit-def: $vgpr17
	s_and_saveexec_b64 s[0:1], s[14:15]
	s_cbranch_execnz .LBB83_109
.LBB83_37:
	s_or_b64 exec, exec, s[0:1]
                                        ; implicit-def: $vgpr18
	s_and_saveexec_b64 s[0:1], s[16:17]
	s_cbranch_execz .LBB83_110
.LBB83_38:
	v_mov_b32_e32 v18, s29
	v_sub_co_u32_e32 v19, vcc, s28, v19
	s_nop 1
	v_subbrev_co_u32_e32 v28, vcc, 0, v18, vcc
	v_add_co_u32_e32 v18, vcc, -4, v19
	s_nop 1
	v_addc_co_u32_e32 v19, vcc, -1, v28, vcc
	flat_load_dword v18, v[18:19]
	s_or_b64 exec, exec, s[0:1]
                                        ; implicit-def: $vgpr19
	s_and_saveexec_b64 s[0:1], s[18:19]
	s_cbranch_execnz .LBB83_111
.LBB83_39:
	s_or_b64 exec, exec, s[0:1]
                                        ; implicit-def: $vgpr20
	s_and_saveexec_b64 s[0:1], s[20:21]
	s_cbranch_execz .LBB83_112
.LBB83_40:
	v_mov_b32_e32 v20, s29
	v_sub_co_u32_e32 v21, vcc, s28, v21
	s_nop 1
	v_subbrev_co_u32_e32 v28, vcc, 0, v20, vcc
	v_add_co_u32_e32 v20, vcc, -4, v21
	s_nop 1
	v_addc_co_u32_e32 v21, vcc, -1, v28, vcc
	flat_load_dword v20, v[20:21]
	s_or_b64 exec, exec, s[0:1]
                                        ; implicit-def: $vgpr21
	s_and_saveexec_b64 s[0:1], s[22:23]
	s_cbranch_execnz .LBB83_113
.LBB83_41:
	s_or_b64 exec, exec, s[0:1]
                                        ; implicit-def: $vgpr22
	s_and_saveexec_b64 s[0:1], s[24:25]
	s_cbranch_execz .LBB83_43
.LBB83_42:
	v_mov_b32_e32 v22, s29
	v_sub_co_u32_e32 v23, vcc, s28, v23
	s_nop 1
	v_subbrev_co_u32_e32 v28, vcc, 0, v22, vcc
	v_add_co_u32_e32 v22, vcc, -4, v23
	s_nop 1
	v_addc_co_u32_e32 v23, vcc, -1, v28, vcc
	flat_load_dword v22, v[22:23]
.LBB83_43:
	s_or_b64 exec, exec, s[0:1]
	v_mul_u32_u24_e32 v38, 12, v0
                                        ; implicit-def: $vgpr23
	s_and_saveexec_b64 s[0:1], s[26:27]
	s_cbranch_execz .LBB83_45
; %bb.44:
	v_mov_b32_e32 v23, s29
	v_sub_co_u32_e32 v24, vcc, s28, v24
	s_nop 1
	v_subbrev_co_u32_e32 v23, vcc, 0, v23, vcc
	v_add_co_u32_e32 v28, vcc, -4, v24
	s_nop 1
	v_addc_co_u32_e32 v29, vcc, -1, v23, vcc
	flat_load_dword v23, v[28:29]
.LBB83_45:
	s_or_b64 exec, exec, s[0:1]
	s_waitcnt vmcnt(0) lgkmcnt(0)
	ds_write2st64_b32 v25, v26, v27 offset1:4
	ds_write2st64_b32 v25, v14, v15 offset0:8 offset1:12
	ds_write2st64_b32 v25, v16, v17 offset0:16 offset1:20
	;; [unrolled: 1-line block ×5, first 2 shown]
	v_cmp_gt_u32_e32 vcc, s60, v38
	s_mov_b64 s[6:7], 0
	v_mov_b64_e32 v[16:17], 0
	s_mov_b64 s[10:11], 0
	v_mov_b64_e32 v[14:15], 0
	v_mov_b64_e32 v[40:41], 0
	;; [unrolled: 1-line block ×19, first 2 shown]
	s_waitcnt lgkmcnt(0)
	s_barrier
                                        ; implicit-def: $sgpr0_sgpr1
                                        ; implicit-def: $vgpr59
	s_and_saveexec_b64 s[8:9], vcc
	s_cbranch_execz .LBB83_67
; %bb.46:
	ds_read_b32 v16, v1
	v_cmp_ne_u32_e32 vcc, v39, v10
	v_or_b32_e32 v14, 1, v38
	s_mov_b64 s[12:13], 0
	v_cndmask_b32_e64 v17, 0, 1, vcc
	v_cmp_gt_u32_e32 vcc, s60, v14
	v_mov_b64_e32 v[14:15], 0
	v_mov_b64_e32 v[40:41], 0
	;; [unrolled: 1-line block ×18, first 2 shown]
                                        ; implicit-def: $sgpr0_sgpr1
                                        ; implicit-def: $vgpr59
	s_and_saveexec_b64 s[10:11], vcc
	s_cbranch_execz .LBB83_66
; %bb.47:
	ds_read2_b32 v[14:15], v1 offset0:1 offset1:2
	v_cmp_ne_u32_e32 vcc, v10, v11
	v_or_b32_e32 v18, 2, v38
	s_mov_b64 s[14:15], 0
	v_cndmask_b32_e64 v10, 0, 1, vcc
	v_cmp_gt_u32_e32 vcc, s60, v18
	v_mov_b64_e32 v[40:41], 0
	v_mov_b64_e32 v[42:43], 0
	;; [unrolled: 1-line block ×16, first 2 shown]
                                        ; implicit-def: $sgpr0_sgpr1
                                        ; implicit-def: $vgpr59
	s_and_saveexec_b64 s[12:13], vcc
	s_cbranch_execz .LBB83_65
; %bb.48:
	v_cmp_ne_u32_e32 vcc, v11, v12
	v_or_b32_e32 v11, 3, v38
	s_mov_b64 s[16:17], 0
	v_cndmask_b32_e64 v41, 0, 1, vcc
	v_cmp_gt_u32_e32 vcc, s60, v11
	v_mov_b64_e32 v[42:43], 0
	v_mov_b64_e32 v[44:45], 0
	;; [unrolled: 1-line block ×14, first 2 shown]
                                        ; implicit-def: $sgpr0_sgpr1
                                        ; implicit-def: $vgpr59
	s_and_saveexec_b64 s[14:15], vcc
	s_cbranch_execz .LBB83_64
; %bb.49:
	ds_read2_b32 v[42:43], v1 offset0:3 offset1:4
	v_cmp_ne_u32_e32 vcc, v12, v13
	v_add_u32_e32 v12, 4, v38
	s_mov_b64 s[18:19], 0
	v_cndmask_b32_e64 v11, 0, 1, vcc
	v_cmp_gt_u32_e32 vcc, s60, v12
	v_mov_b64_e32 v[44:45], 0
	v_mov_b64_e32 v[46:47], 0
	;; [unrolled: 1-line block ×12, first 2 shown]
                                        ; implicit-def: $sgpr0_sgpr1
                                        ; implicit-def: $vgpr59
	s_and_saveexec_b64 s[16:17], vcc
	s_cbranch_execz .LBB83_63
; %bb.50:
	v_cmp_ne_u32_e32 vcc, v13, v6
	v_add_u32_e32 v12, 5, v38
	s_mov_b64 s[20:21], 0
	v_cndmask_b32_e64 v45, 0, 1, vcc
	v_cmp_gt_u32_e32 vcc, s60, v12
	v_mov_b64_e32 v[46:47], 0
	v_mov_b64_e32 v[48:49], 0
	;; [unrolled: 1-line block ×10, first 2 shown]
                                        ; implicit-def: $sgpr0_sgpr1
                                        ; implicit-def: $vgpr59
	s_and_saveexec_b64 s[18:19], vcc
	s_cbranch_execz .LBB83_62
; %bb.51:
	ds_read2_b32 v[46:47], v1 offset0:5 offset1:6
	v_cmp_ne_u32_e32 vcc, v6, v7
	v_add_u32_e32 v12, 6, v38
	s_mov_b64 s[22:23], 0
	v_cndmask_b32_e64 v6, 0, 1, vcc
	v_cmp_gt_u32_e32 vcc, s60, v12
	v_mov_b64_e32 v[48:49], 0
	v_mov_b64_e32 v[50:51], 0
	;; [unrolled: 1-line block ×8, first 2 shown]
                                        ; implicit-def: $sgpr0_sgpr1
                                        ; implicit-def: $vgpr59
	s_and_saveexec_b64 s[20:21], vcc
	s_cbranch_execz .LBB83_61
; %bb.52:
	v_cmp_ne_u32_e32 vcc, v7, v8
	v_add_u32_e32 v7, 7, v38
	s_mov_b64 s[24:25], 0
	v_cndmask_b32_e64 v49, 0, 1, vcc
	v_cmp_gt_u32_e32 vcc, s60, v7
	v_mov_b64_e32 v[50:51], 0
	v_mov_b64_e32 v[52:53], 0
	;; [unrolled: 1-line block ×6, first 2 shown]
                                        ; implicit-def: $sgpr0_sgpr1
                                        ; implicit-def: $vgpr59
	s_and_saveexec_b64 s[22:23], vcc
	s_cbranch_execz .LBB83_60
; %bb.53:
	ds_read2_b32 v[50:51], v1 offset0:7 offset1:8
	v_cmp_ne_u32_e32 vcc, v8, v9
	v_add_u32_e32 v8, 8, v38
	s_mov_b64 s[26:27], 0
	v_cndmask_b32_e64 v7, 0, 1, vcc
	v_cmp_gt_u32_e32 vcc, s60, v8
	v_mov_b64_e32 v[52:53], 0
	v_mov_b64_e32 v[54:55], 0
	;; [unrolled: 1-line block ×4, first 2 shown]
                                        ; implicit-def: $sgpr0_sgpr1
                                        ; implicit-def: $vgpr59
	s_and_saveexec_b64 s[24:25], vcc
	s_cbranch_execz .LBB83_59
; %bb.54:
	v_cmp_ne_u32_e32 vcc, v9, v2
	v_add_u32_e32 v8, 9, v38
	s_mov_b64 s[40:41], 0
	v_cndmask_b32_e64 v53, 0, 1, vcc
	v_cmp_gt_u32_e32 vcc, s60, v8
	v_mov_b64_e32 v[54:55], 0
	v_mov_b64_e32 v[18:19], 0
                                        ; implicit-def: $sgpr0_sgpr1
                                        ; implicit-def: $vgpr59
	s_and_saveexec_b64 s[26:27], vcc
	s_cbranch_execz .LBB83_58
; %bb.55:
	ds_read2_b32 v[54:55], v1 offset0:9 offset1:10
	v_cmp_ne_u32_e32 vcc, v2, v3
	v_add_u32_e32 v8, 10, v38
	v_mov_b64_e32 v[18:19], 0
	v_cndmask_b32_e64 v2, 0, 1, vcc
	v_cmp_gt_u32_e32 vcc, s60, v8
                                        ; implicit-def: $sgpr0_sgpr1
                                        ; implicit-def: $vgpr59
	s_and_saveexec_b64 s[44:45], vcc
	s_xor_b64 s[44:45], exec, s[44:45]
	s_cbranch_execz .LBB83_57
; %bb.56:
	ds_read_b32 v59, v1 offset:44
	v_cmp_ne_u32_e32 vcc, v3, v4
	v_add_u32_e32 v1, 11, v38
	v_cmp_ne_u32_e64 s[0:1], v4, v5
	v_cndmask_b32_e64 v19, 0, 1, vcc
	v_cmp_gt_u32_e32 vcc, s60, v1
	s_waitcnt lgkmcnt(1)
	v_mov_b32_e32 v18, v55
	s_and_b64 s[40:41], vcc, exec
.LBB83_57:
	s_or_b64 exec, exec, s[44:45]
	s_waitcnt lgkmcnt(0)
	v_mov_b32_e32 v55, v2
	s_and_b64 s[40:41], s[40:41], exec
.LBB83_58:
	s_or_b64 exec, exec, s[26:27]
	s_waitcnt lgkmcnt(0)
	v_mov_b32_e32 v52, v51
	s_and_b64 s[26:27], s[40:41], exec
	v_mov_b64_e32 v[20:21], v[54:55]
.LBB83_59:
	s_or_b64 exec, exec, s[24:25]
	s_waitcnt lgkmcnt(0)
	v_mov_b32_e32 v51, v7
	s_and_b64 s[24:25], s[26:27], exec
	v_mov_b64_e32 v[22:23], v[52:53]
.LBB83_60:
	s_or_b64 exec, exec, s[22:23]
	s_waitcnt lgkmcnt(0)
	v_mov_b32_e32 v48, v47
	s_and_b64 s[22:23], s[24:25], exec
	v_mov_b64_e32 v[24:25], v[50:51]
.LBB83_61:
	s_or_b64 exec, exec, s[20:21]
	s_waitcnt lgkmcnt(0)
	v_mov_b32_e32 v47, v6
	s_and_b64 s[20:21], s[22:23], exec
	v_mov_b64_e32 v[26:27], v[48:49]
.LBB83_62:
	s_or_b64 exec, exec, s[18:19]
	s_waitcnt lgkmcnt(0)
	v_mov_b32_e32 v44, v43
	s_and_b64 s[18:19], s[20:21], exec
	v_mov_b64_e32 v[28:29], v[46:47]
.LBB83_63:
	s_or_b64 exec, exec, s[16:17]
	s_waitcnt lgkmcnt(0)
	v_mov_b32_e32 v43, v11
	s_and_b64 s[16:17], s[18:19], exec
	v_mov_b64_e32 v[30:31], v[44:45]
.LBB83_64:
	s_or_b64 exec, exec, s[14:15]
	s_waitcnt lgkmcnt(0)
	v_mov_b32_e32 v40, v15
	s_and_b64 s[14:15], s[16:17], exec
	v_mov_b64_e32 v[32:33], v[42:43]
.LBB83_65:
	s_or_b64 exec, exec, s[12:13]
	s_waitcnt lgkmcnt(0)
	v_mov_b32_e32 v15, v10
	s_and_b64 s[12:13], s[14:15], exec
	v_mov_b64_e32 v[34:35], v[40:41]
.LBB83_66:
	s_or_b64 exec, exec, s[10:11]
	s_and_b64 s[10:11], s[12:13], exec
	v_mov_b64_e32 v[36:37], v[14:15]
.LBB83_67:
	s_or_b64 exec, exec, s[8:9]
	s_and_b64 vcc, exec, s[6:7]
	v_lshlrev_b32_e32 v1, 2, v0
	s_cbranch_vccnz .LBB83_69
	s_branch .LBB83_72
.LBB83_68:
                                        ; implicit-def: $sgpr0_sgpr1
                                        ; implicit-def: $vgpr59
                                        ; implicit-def: $vgpr16_vgpr17
                                        ; implicit-def: $vgpr14_vgpr15
                                        ; implicit-def: $vgpr40_vgpr41
                                        ; implicit-def: $vgpr42_vgpr43
                                        ; implicit-def: $vgpr44_vgpr45
                                        ; implicit-def: $vgpr46_vgpr47
                                        ; implicit-def: $vgpr48_vgpr49
                                        ; implicit-def: $vgpr50_vgpr51
                                        ; implicit-def: $vgpr52_vgpr53
                                        ; implicit-def: $vgpr54_vgpr55
                                        ; implicit-def: $vgpr36_vgpr37
                                        ; implicit-def: $vgpr34_vgpr35
                                        ; implicit-def: $vgpr32_vgpr33
                                        ; implicit-def: $vgpr30_vgpr31
                                        ; implicit-def: $vgpr28_vgpr29
                                        ; implicit-def: $vgpr26_vgpr27
                                        ; implicit-def: $vgpr24_vgpr25
                                        ; implicit-def: $vgpr22_vgpr23
                                        ; implicit-def: $vgpr20_vgpr21
                                        ; implicit-def: $vgpr18_vgpr19
	s_and_b64 vcc, exec, s[6:7]
	v_lshlrev_b32_e32 v1, 2, v0
	s_cbranch_vccz .LBB83_72
.LBB83_69:
	v_mov_b32_e32 v2, s49
	v_sub_co_u32_e32 v18, vcc, s55, v1
	s_add_u32 s6, s55, -4
	s_nop 0
	v_subbrev_co_u32_e32 v19, vcc, 0, v2, vcc
	v_add_co_u32_e32 v2, vcc, -4, v18
	s_addc_u32 s7, s49, -1
	s_nop 0
	v_addc_co_u32_e32 v3, vcc, -1, v19, vcc
	v_add_co_u32_e32 v4, vcc, 0xfffffbfc, v18
	s_lshl_b64 s[0:1], s[38:39], 2
	s_nop 0
	v_addc_co_u32_e32 v5, vcc, -1, v19, vcc
	v_add_co_u32_e32 v6, vcc, 0xfffff7fc, v18
	s_add_u32 s0, s50, s0
	s_nop 0
	v_addc_co_u32_e32 v7, vcc, -1, v19, vcc
	v_add_co_u32_e32 v8, vcc, 0xfffff3fc, v18
	s_addc_u32 s1, s51, s1
	s_nop 0
	v_addc_co_u32_e32 v9, vcc, -1, v19, vcc
	v_add_co_u32_e32 v10, vcc, 0xffffeffc, v18
	s_add_u32 s8, s0, -4
	s_nop 0
	v_addc_co_u32_e32 v11, vcc, -1, v19, vcc
	v_add_co_u32_e32 v12, vcc, 0xffffebfc, v18
	s_addc_u32 s9, s1, -1
	s_nop 0
	v_addc_co_u32_e32 v13, vcc, -1, v19, vcc
	v_add_co_u32_e32 v14, vcc, 0xffffe7fc, v18
	s_and_b64 s[0:1], s[34:35], exec
	s_nop 0
	v_addc_co_u32_e32 v15, vcc, -1, v19, vcc
	s_waitcnt lgkmcnt(0)
	v_add_co_u32_e32 v16, vcc, 0xffffe3fc, v18
	s_cselect_b32 s0, s55, s8
	s_nop 0
	v_addc_co_u32_e32 v17, vcc, -1, v19, vcc
	flat_load_dword v20, v[2:3]
	flat_load_dword v21, v[4:5]
	;; [unrolled: 1-line block ×8, first 2 shown]
	v_add_co_u32_e32 v2, vcc, 0xffffdffc, v18
	s_cselect_b32 s1, s49, s9
	s_nop 0
	v_addc_co_u32_e32 v3, vcc, -1, v19, vcc
	v_add_co_u32_e32 v4, vcc, 0xffffdbfc, v18
	s_cmp_eq_u64 s[38:39], 0
	s_nop 0
	v_addc_co_u32_e32 v5, vcc, -1, v19, vcc
	v_add_co_u32_e32 v6, vcc, 0xffffd7fc, v18
	s_cselect_b32 s1, s7, s1
	s_nop 0
	v_addc_co_u32_e32 v7, vcc, -1, v19, vcc
	v_add_co_u32_e32 v8, vcc, 0xffffd3fc, v18
	s_cselect_b32 s0, s6, s0
	s_nop 0
	v_addc_co_u32_e32 v9, vcc, -1, v19, vcc
	flat_load_dword v10, v[2:3]
	flat_load_dword v11, v[4:5]
	;; [unrolled: 1-line block ×4, first 2 shown]
	v_mov_b32_e32 v2, s0
	v_mov_b32_e32 v3, s1
	v_sub_co_u32_e32 v14, vcc, 0, v0
	v_mad_u32_u24 v16, v0, 44, v1
	s_nop 0
	v_subb_co_u32_e64 v15, s[0:1], 0, 0, vcc
	s_movk_i32 s0, 0xffd4
	s_movk_i32 s8, 0xf3fc
	s_movk_i32 s7, 0xe3fc
	s_movk_i32 s6, 0xd3fc
	v_mad_i32_i24 v18, v0, s0, v16
	s_waitcnt vmcnt(0) lgkmcnt(0)
	ds_write2st64_b32 v1, v20, v21 offset1:4
	ds_write2st64_b32 v1, v22, v23 offset0:8 offset1:12
	ds_write2st64_b32 v1, v24, v25 offset0:16 offset1:20
	;; [unrolled: 1-line block ×5, first 2 shown]
	s_waitcnt lgkmcnt(0)
	s_barrier
	flat_load_dword v17, v[2:3]
	ds_read_b128 v[2:5], v16 offset:32
	ds_read_b128 v[10:13], v16
	ds_read_b128 v[6:9], v16 offset:16
	s_waitcnt lgkmcnt(0)
	ds_write_b32 v18, v5 offset:12288
	s_waitcnt lgkmcnt(0)
	s_barrier
	s_and_saveexec_b64 s[0:1], s[4:5]
	s_cbranch_execz .LBB83_71
; %bb.70:
	s_waitcnt vmcnt(0)
	v_mul_i32_i24_e32 v17, 0xffffffd4, v0
	v_add_u32_e32 v17, v16, v17
	ds_read_b32 v17, v17 offset:12284
.LBB83_71:
	s_or_b64 exec, exec, s[0:1]
	v_lshl_add_u64 v[14:15], v[14:15], 2, s[28:29]
	v_add_co_u32_e32 v18, vcc, s8, v14
	s_waitcnt lgkmcnt(0)
	s_nop 0
	v_addc_co_u32_e32 v19, vcc, -1, v15, vcc
	v_add_co_u32_e32 v20, vcc, s7, v14
	s_barrier
	s_nop 0
	v_addc_co_u32_e32 v21, vcc, -1, v15, vcc
	v_add_co_u32_e32 v14, vcc, s6, v14
	s_nop 1
	v_addc_co_u32_e32 v15, vcc, -1, v15, vcc
	flat_load_dword v22, v[18:19] offset:3072
	flat_load_dword v23, v[20:21] offset:3072
	;; [unrolled: 1-line block ×4, first 2 shown]
	flat_load_dword v26, v[20:21]
	flat_load_dword v27, v[18:19] offset:2048
	flat_load_dword v28, v[18:19] offset:1024
	flat_load_dword v29, v[18:19]
	s_nop 0
	flat_load_dword v18, v[14:15] offset:3072
	flat_load_dword v19, v[14:15] offset:2048
	;; [unrolled: 1-line block ×3, first 2 shown]
	flat_load_dword v21, v[14:15]
	s_waitcnt vmcnt(0)
	v_cmp_ne_u32_e32 vcc, v17, v10
	v_cmp_ne_u32_e64 s[0:1], v4, v5
	s_mov_b64 s[10:11], -1
	v_cndmask_b32_e64 v17, 0, 1, vcc
	v_cmp_ne_u32_e32 vcc, v10, v11
	s_waitcnt lgkmcnt(0)
	ds_write2st64_b32 v1, v22, v27 offset1:4
	ds_write2st64_b32 v1, v28, v29 offset0:8 offset1:12
	ds_write2st64_b32 v1, v23, v24 offset0:16 offset1:20
	;; [unrolled: 1-line block ×5, first 2 shown]
	v_cndmask_b32_e64 v15, 0, 1, vcc
	v_cmp_ne_u32_e32 vcc, v11, v12
	s_waitcnt lgkmcnt(0)
	s_barrier
	v_cndmask_b32_e64 v41, 0, 1, vcc
	v_cmp_ne_u32_e32 vcc, v12, v13
	s_nop 1
	v_cndmask_b32_e64 v43, 0, 1, vcc
	v_cmp_ne_u32_e32 vcc, v13, v6
	s_nop 1
	;; [unrolled: 3-line block ×5, first 2 shown]
	v_cndmask_b32_e64 v51, 0, 1, vcc
	v_cmp_ne_u32_e32 vcc, v9, v2
	ds_read_b128 v[6:9], v16
	s_waitcnt lgkmcnt(0)
	v_mov_b32_e32 v14, v7
	v_cndmask_b32_e64 v53, 0, 1, vcc
	v_cmp_ne_u32_e32 vcc, v2, v3
	v_mov_b32_e32 v40, v8
	v_mov_b32_e32 v42, v9
	v_cndmask_b32_e64 v55, 0, 1, vcc
	v_cmp_ne_u32_e32 vcc, v3, v4
	ds_read_b128 v[2:5], v16 offset:16
	ds_read_b128 v[56:59], v16 offset:32
	v_cndmask_b32_e64 v19, 0, 1, vcc
	v_mov_b32_e32 v16, v6
	v_mov_b64_e32 v[36:37], v[14:15]
	s_waitcnt lgkmcnt(1)
	v_mov_b32_e32 v44, v2
	v_mov_b32_e32 v46, v3
	;; [unrolled: 1-line block ×4, first 2 shown]
	s_waitcnt lgkmcnt(0)
	v_mov_b32_e32 v52, v56
	v_mov_b32_e32 v54, v57
	;; [unrolled: 1-line block ×3, first 2 shown]
	v_mov_b64_e32 v[34:35], v[40:41]
	v_mov_b64_e32 v[32:33], v[42:43]
	;; [unrolled: 1-line block ×8, first 2 shown]
.LBB83_72:
	v_mov_b64_e32 v[38:39], 0
	s_and_saveexec_b64 s[6:7], s[10:11]
	s_cbranch_execz .LBB83_74
; %bb.73:
	v_cndmask_b32_e64 v39, 0, 1, s[0:1]
	v_mov_b32_e32 v38, v59
	v_mov_b64_e32 v[20:21], v[54:55]
	v_mov_b64_e32 v[22:23], v[52:53]
	;; [unrolled: 1-line block ×9, first 2 shown]
.LBB83_74:
	s_or_b64 exec, exec, s[6:7]
	s_mov_b32 s0, 0
	s_cmp_lg_u32 s48, 0
	v_or_b32_e32 v42, v25, v23
	v_or_b32_e32 v41, v21, v19
	v_lshrrev_b32_e32 v40, 2, v0
	v_cmp_gt_u32_e32 vcc, 64, v0
	s_waitcnt lgkmcnt(0)
	s_barrier
	s_cbranch_scc0 .LBB83_114
; %bb.75:
	s_mov_b32 s1, 1
	v_max_i32_e32 v2, v36, v16
	v_cmp_gt_u64_e64 s[6:7], s[0:1], v[36:37]
	v_cmp_gt_u64_e64 s[8:9], s[0:1], v[34:35]
	v_cmp_gt_u64_e64 s[10:11], s[0:1], v[32:33]
	v_cndmask_b32_e64 v2, v36, v2, s[6:7]
	v_max_i32_e32 v2, v34, v2
	v_cndmask_b32_e64 v2, v34, v2, s[8:9]
	v_max_i32_e32 v2, v32, v2
	v_cndmask_b32_e64 v2, v32, v2, s[10:11]
	v_max_i32_e32 v2, v30, v2
	v_cmp_gt_u64_e64 s[12:13], s[0:1], v[30:31]
	v_cmp_gt_u64_e64 s[14:15], s[0:1], v[28:29]
	v_cmp_gt_u64_e64 s[16:17], s[0:1], v[26:27]
	v_cndmask_b32_e64 v2, v30, v2, s[12:13]
	v_max_i32_e32 v2, v28, v2
	v_cndmask_b32_e64 v2, v28, v2, s[14:15]
	v_max_i32_e32 v2, v26, v2
	v_cndmask_b32_e64 v2, v26, v2, s[16:17]
	;; [unrolled: 9-line block ×3, first 2 shown]
	v_or3_b32 v3, v42, v27, v29
	v_max_i32_e32 v2, v18, v2
	v_cmp_gt_u64_e64 s[24:25], s[0:1], v[18:19]
	v_or3_b32 v3, v3, v31, v33
	v_or3_b32 v3, v3, v35, v37
	v_cndmask_b32_e64 v2, v18, v2, s[24:25]
	v_max_i32_e32 v2, v38, v2
	v_cmp_gt_u64_e64 s[26:27], s[0:1], v[38:39]
	s_nop 1
	v_cndmask_b32_e64 v14, v38, v2, s[26:27]
	v_or3_b32 v2, v39, v41, v3
	v_and_b32_e32 v3, 0xff, v2
	v_mov_b32_e32 v2, 0
	v_cmp_eq_u64_e64 s[0:1], 0, v[2:3]
	v_and_b32_e32 v2, 56, v40
	v_lshl_add_u32 v2, v0, 3, v2
	v_cndmask_b32_e64 v15, 1, v17, s[0:1]
	ds_write_b32 v2, v14
	ds_write_b8 v2, v15 offset:4
	s_waitcnt lgkmcnt(0)
	s_barrier
	s_and_saveexec_b64 s[28:29], vcc
	s_cbranch_execz .LBB83_87
; %bb.76:
	v_and_b32_e32 v2, 0xf8, v0
	v_lshlrev_b32_e32 v3, 5, v0
	v_add_u32_e32 v4, v2, v3
	ds_read2_b32 v[6:7], v4 offset0:2 offset1:4
	ds_read_b64 v[2:3], v4
	ds_read_u8 v8, v4 offset:12
	ds_read_u8 v9, v4 offset:20
	ds_read_b32 v10, v4 offset:24
	ds_read_u8 v11, v4 offset:28
	s_waitcnt lgkmcnt(4)
	v_max_i32_e32 v12, v6, v2
	s_waitcnt lgkmcnt(3)
	v_cmp_eq_u16_e64 s[0:1], 0, v8
	v_and_b32_e32 v5, 1, v3
	s_nop 0
	v_cndmask_b32_e64 v6, v6, v12, s[0:1]
	v_max_i32_e32 v6, v7, v6
	s_waitcnt lgkmcnt(2)
	v_cmp_eq_u16_e64 s[0:1], 0, v9
	s_nop 1
	v_cndmask_b32_e64 v6, v7, v6, s[0:1]
	v_or_b32_e32 v7, v9, v8
	v_cmp_eq_u16_e64 s[0:1], 0, v7
	s_waitcnt lgkmcnt(1)
	v_max_i32_e32 v6, v10, v6
	v_cndmask_b32_e64 v8, 1, v5, s[0:1]
	s_waitcnt lgkmcnt(0)
	v_cmp_eq_u16_e64 s[0:1], 0, v11
	s_nop 1
	v_cndmask_b32_e64 v7, v10, v6, s[0:1]
	v_and_b32_e32 v6, 1, v11
	v_cmp_eq_u32_e64 s[0:1], 1, v6
	v_and_b32_e32 v6, 0xffffff00, v3
	v_mov_b32_dpp v12, v7 row_shr:1 row_mask:0xf bank_mask:0xf
	v_cndmask_b32_e64 v9, v8, 1, s[0:1]
	v_mbcnt_lo_u32_b32 v8, -1, 0
	v_mbcnt_hi_u32_b32 v8, -1, v8
	v_and_b32_e32 v11, 15, v8
	v_or_b32_sdwa v10, v6, v9 dst_sel:DWORD dst_unused:UNUSED_PAD src0_sel:DWORD src1_sel:WORD_0
	v_cmp_ne_u32_e64 s[0:1], 0, v11
	s_nop 0
	v_mov_b32_dpp v13, v10 row_shr:1 row_mask:0xf bank_mask:0xf
	s_and_saveexec_b64 s[34:35], s[0:1]
; %bb.77:
	v_and_b32_e32 v10, 1, v9
	v_and_b32_e32 v13, 1, v13
	v_cmp_eq_u32_e64 s[0:1], 1, v10
	v_max_i32_e32 v10, v7, v12
	s_nop 0
	v_cndmask_b32_e64 v13, v13, 1, s[0:1]
	v_cmp_eq_u16_e64 s[0:1], 0, v9
	v_mov_b32_e32 v9, v13
	s_nop 0
	v_cndmask_b32_e64 v7, v7, v10, s[0:1]
	v_or_b32_sdwa v10, v6, v13 dst_sel:DWORD dst_unused:UNUSED_PAD src0_sel:DWORD src1_sel:WORD_0
; %bb.78:
	s_or_b64 exec, exec, s[34:35]
	v_mov_b32_dpp v12, v7 row_shr:2 row_mask:0xf bank_mask:0xf
	v_mov_b32_dpp v13, v10 row_shr:2 row_mask:0xf bank_mask:0xf
	v_cmp_lt_u32_e64 s[0:1], 1, v11
	s_and_saveexec_b64 s[34:35], s[0:1]
; %bb.79:
	v_and_b32_e32 v10, 1, v9
	v_and_b32_e32 v13, 1, v13
	v_cmp_eq_u32_e64 s[0:1], 1, v10
	v_max_i32_e32 v10, v7, v12
	s_nop 0
	v_cndmask_b32_e64 v13, v13, 1, s[0:1]
	v_cmp_eq_u16_e64 s[0:1], 0, v9
	v_mov_b32_e32 v9, v13
	s_nop 0
	v_cndmask_b32_e64 v7, v7, v10, s[0:1]
	v_or_b32_sdwa v10, v6, v13 dst_sel:DWORD dst_unused:UNUSED_PAD src0_sel:DWORD src1_sel:WORD_0
; %bb.80:
	s_or_b64 exec, exec, s[34:35]
	v_mov_b32_dpp v12, v7 row_shr:4 row_mask:0xf bank_mask:0xf
	v_mov_b32_dpp v13, v10 row_shr:4 row_mask:0xf bank_mask:0xf
	v_cmp_lt_u32_e64 s[0:1], 3, v11
	;; [unrolled: 18-line block ×3, first 2 shown]
	s_and_saveexec_b64 s[34:35], s[0:1]
; %bb.83:
	v_and_b32_e32 v10, 1, v9
	v_and_b32_e32 v11, 1, v13
	v_cmp_eq_u32_e64 s[0:1], 1, v10
	v_max_i32_e32 v10, v7, v12
	s_nop 0
	v_cndmask_b32_e64 v11, v11, 1, s[0:1]
	v_cmp_eq_u16_e64 s[0:1], 0, v9
	v_mov_b32_e32 v9, v11
	s_nop 0
	v_cndmask_b32_e64 v7, v7, v10, s[0:1]
	v_or_b32_sdwa v10, v6, v11 dst_sel:DWORD dst_unused:UNUSED_PAD src0_sel:DWORD src1_sel:WORD_0
; %bb.84:
	s_or_b64 exec, exec, s[34:35]
	v_and_b32_e32 v13, 16, v8
	v_mov_b32_dpp v11, v7 row_bcast:15 row_mask:0xf bank_mask:0xf
	v_mov_b32_dpp v12, v10 row_bcast:15 row_mask:0xf bank_mask:0xf
	v_cmp_ne_u32_e64 s[0:1], 0, v13
	s_and_saveexec_b64 s[34:35], s[0:1]
; %bb.85:
	v_and_b32_e32 v10, 1, v9
	v_and_b32_e32 v12, 1, v12
	v_cmp_eq_u32_e64 s[0:1], 1, v10
	v_max_i32_e32 v10, v7, v11
	s_nop 0
	v_cndmask_b32_e64 v12, v12, 1, s[0:1]
	v_cmp_eq_u16_e64 s[0:1], 0, v9
	v_mov_b32_e32 v9, v12
	s_nop 0
	v_cndmask_b32_e64 v7, v7, v10, s[0:1]
	v_or_b32_sdwa v10, v6, v12 dst_sel:DWORD dst_unused:UNUSED_PAD src0_sel:DWORD src1_sel:WORD_0
; %bb.86:
	s_or_b64 exec, exec, s[34:35]
	s_nop 0
	v_mov_b32_dpp v10, v10 row_bcast:31 row_mask:0xf bank_mask:0xf
	v_and_b32_e32 v12, 1, v9
	v_and_b32_e32 v10, 1, v10
	v_cmp_eq_u32_e64 s[0:1], 1, v12
	v_mov_b32_e32 v12, 0
	v_mov_b32_dpp v11, v7 row_bcast:31 row_mask:0xf bank_mask:0xf
	v_cndmask_b32_e64 v10, v10, 1, s[0:1]
	v_cmp_eq_u16_sdwa s[34:35], v9, v12 src0_sel:BYTE_0 src1_sel:DWORD
	v_cmp_lt_u32_e64 s[0:1], 31, v8
	v_max_i32_e32 v11, v7, v11
	s_nop 0
	v_cndmask_b32_e64 v9, v9, v10, s[0:1]
	s_and_b64 s[0:1], s[0:1], s[34:35]
	v_cndmask_b32_e64 v7, v7, v11, s[0:1]
	v_add_u32_e32 v10, -1, v8
	v_and_b32_e32 v11, 64, v8
	v_cmp_lt_i32_e64 s[0:1], v10, v11
	; wave barrier
	s_nop 1
	v_cndmask_b32_e64 v8, v10, v8, s[0:1]
	v_lshlrev_b32_e32 v8, 2, v8
	s_movk_i32 s0, 0xff
	ds_bpermute_b32 v7, v8, v7
	v_and_or_b32 v6, v9, s0, v6
	ds_bpermute_b32 v6, v8, v6
	v_cmp_eq_u16_sdwa s[0:1], v3, v12 src0_sel:BYTE_0 src1_sel:DWORD
	s_waitcnt lgkmcnt(1)
	v_max_i32_e32 v7, v2, v7
	v_cndmask_b32_e64 v2, v2, v7, s[0:1]
	s_waitcnt lgkmcnt(0)
	v_and_b32_e32 v3, 1, v6
	v_cmp_eq_u32_e64 s[0:1], 1, v5
	v_cndmask_b32_e64 v5, v2, v14, s[30:31]
	s_nop 0
	v_cndmask_b32_e64 v3, v3, 1, s[0:1]
	v_cndmask_b32_e64 v6, v3, v15, s[30:31]
	ds_write_b32 v4, v5
	ds_write_b8 v4, v6 offset:4
	; wave barrier
	ds_read2_b32 v[2:3], v4 offset0:2 offset1:4
	ds_read_u8 v7, v4 offset:12
	ds_read_u8 v8, v4 offset:20
	ds_read_b32 v9, v4 offset:24
	ds_read_u8 v10, v4 offset:28
	s_waitcnt lgkmcnt(4)
	v_max_i32_e32 v5, v2, v5
	s_waitcnt lgkmcnt(3)
	v_cmp_eq_u16_e64 s[0:1], 0, v7
	s_nop 1
	v_cndmask_b32_e64 v2, v2, v5, s[0:1]
	v_and_b32_e32 v5, 1, v7
	v_cmp_eq_u32_e64 s[0:1], 1, v5
	s_nop 1
	v_cndmask_b32_e64 v5, v6, 1, s[0:1]
	v_max_i32_e32 v6, v3, v2
	s_waitcnt lgkmcnt(2)
	v_cmp_eq_u16_e64 s[0:1], 0, v8
	ds_write_b8 v4, v5 offset:12
	s_nop 0
	v_cndmask_b32_e64 v3, v3, v6, s[0:1]
	v_and_b32_e32 v6, 1, v8
	v_cmp_eq_u32_e64 s[0:1], 1, v6
	s_nop 1
	v_cndmask_b32_e64 v5, v5, 1, s[0:1]
	ds_write2_b32 v4, v2, v3 offset0:2 offset1:4
	ds_write_b8 v4, v5 offset:20
	s_waitcnt lgkmcnt(4)
	v_max_i32_e32 v2, v9, v3
	s_waitcnt lgkmcnt(3)
	v_cmp_eq_u16_e64 s[0:1], 0, v10
	v_and_b32_e32 v3, 1, v10
	s_nop 0
	v_cndmask_b32_e64 v2, v9, v2, s[0:1]
	v_cmp_eq_u32_e64 s[0:1], 1, v3
	s_nop 1
	v_cndmask_b32_e64 v3, v5, 1, s[0:1]
	ds_write_b32 v4, v2 offset:24
	ds_write_b8 v4, v3 offset:28
.LBB83_87:
	s_or_b64 exec, exec, s[28:29]
	s_waitcnt lgkmcnt(0)
	s_barrier
	s_and_saveexec_b64 s[0:1], s[4:5]
	s_cbranch_execz .LBB83_89
; %bb.88:
	v_add_u32_e32 v2, -1, v0
	v_lshrrev_b32_e32 v3, 2, v2
	v_and_b32_e32 v3, 0x3ffffff8, v3
	v_lshl_add_u32 v2, v2, 3, v3
	ds_read_b32 v14, v2
	ds_read_u8 v15, v2 offset:4
.LBB83_89:
	s_or_b64 exec, exec, s[0:1]
	s_and_saveexec_b64 s[38:39], vcc
	s_cbranch_execz .LBB83_119
; %bb.90:
	v_mov_b32_e32 v5, 0
	ds_read_b64 v[2:3], v5 offset:2096
	v_mbcnt_lo_u32_b32 v4, -1, 0
	v_mbcnt_hi_u32_b32 v53, -1, v4
	s_mov_b32 s35, 0
	v_cmp_eq_u32_e64 s[28:29], 0, v53
	s_and_saveexec_b64 s[0:1], s[28:29]
	s_cbranch_execz .LBB83_92
; %bb.91:
	s_add_i32 s34, s48, 64
	s_lshl_b64 s[34:35], s[34:35], 4
	s_add_u32 s34, s52, s34
	s_addc_u32 s35, s53, s35
	v_mov_b32_e32 v4, 1
	v_mov_b64_e32 v[6:7], s[34:35]
	s_waitcnt lgkmcnt(0)
	;;#ASMSTART
	global_store_dwordx4 v[6:7], v[2:5] off sc1	
s_waitcnt vmcnt(0)
	;;#ASMEND
.LBB83_92:
	s_or_b64 exec, exec, s[0:1]
	v_xad_u32 v10, v53, -1, s48
	v_add_u32_e32 v4, 64, v10
	v_lshl_add_u64 v[12:13], v[4:5], 4, s[52:53]
	;;#ASMSTART
	global_load_dwordx4 v[6:9], v[12:13] off sc1	
s_waitcnt vmcnt(0)
	;;#ASMEND
	s_nop 0
	v_and_b32_e32 v7, 0xff, v7
	v_cmp_eq_u16_sdwa s[34:35], v8, v5 src0_sel:BYTE_0 src1_sel:DWORD
	s_and_saveexec_b64 s[0:1], s[34:35]
	s_cbranch_execz .LBB83_96
; %bb.93:
	s_mov_b64 s[34:35], 0
	v_mov_b32_e32 v4, 0
.LBB83_94:                              ; =>This Inner Loop Header: Depth=1
	;;#ASMSTART
	global_load_dwordx4 v[6:9], v[12:13] off sc1	
s_waitcnt vmcnt(0)
	;;#ASMEND
	s_nop 0
	v_cmp_ne_u16_sdwa s[40:41], v8, v4 src0_sel:BYTE_0 src1_sel:DWORD
	s_or_b64 s[34:35], s[40:41], s[34:35]
	s_andn2_b64 exec, exec, s[34:35]
	s_cbranch_execnz .LBB83_94
; %bb.95:
	s_or_b64 exec, exec, s[34:35]
	v_and_b32_e32 v7, 0xff, v7
.LBB83_96:
	s_or_b64 exec, exec, s[0:1]
	v_mov_b32_e32 v43, 2
	v_cmp_eq_u16_sdwa s[0:1], v8, v43 src0_sel:BYTE_0 src1_sel:DWORD
	v_lshlrev_b64 v[4:5], v53, -1
	v_and_b32_e32 v44, 63, v53
	v_and_b32_e32 v9, s1, v5
	v_or_b32_e32 v9, 0x80000000, v9
	v_and_b32_e32 v11, s0, v4
	v_ffbl_b32_e32 v9, v9
	v_add_u32_e32 v9, 32, v9
	v_ffbl_b32_e32 v11, v11
	v_cmp_ne_u32_e32 vcc, 63, v44
	v_min_u32_e32 v9, v11, v9
	v_and_b32_e32 v13, 1, v7
	v_addc_co_u32_e32 v11, vcc, 0, v53, vcc
	v_lshlrev_b32_e32 v45, 2, v11
	ds_bpermute_b32 v11, v45, v7
	ds_bpermute_b32 v12, v45, v6
	v_cmp_eq_u32_e32 vcc, 1, v13
	s_mov_b32 s40, 0
	v_cmp_lt_u32_e64 s[0:1], v44, v9
	s_waitcnt lgkmcnt(1)
	v_and_b32_e32 v11, 1, v11
	v_cndmask_b32_e64 v11, v11, 1, vcc
	v_cmp_gt_u32_e64 s[34:35], 62, v44
	s_mov_b32 s41, 1
	v_and_b32_e32 v13, 0xffff, v11
	v_cndmask_b32_e64 v48, v7, v11, s[0:1]
	v_cndmask_b32_e64 v11, 0, 2, s[34:35]
	v_cmp_gt_u64_e32 vcc, s[40:41], v[6:7]
	v_cndmask_b32_e64 v7, v7, v13, s[0:1]
	v_add_lshl_u32 v46, v11, v53, 2
	s_waitcnt lgkmcnt(0)
	v_max_i32_e32 v12, v6, v12
	ds_bpermute_b32 v11, v46, v7
	s_and_b64 vcc, s[0:1], vcc
	v_cndmask_b32_e32 v6, v6, v12, vcc
	ds_bpermute_b32 v12, v46, v6
	v_and_b32_e32 v13, 1, v48
	s_waitcnt lgkmcnt(1)
	v_and_b32_e32 v11, 1, v11
	v_cmp_eq_u32_e32 vcc, 1, v13
	v_add_u32_e32 v47, 2, v44
	s_waitcnt lgkmcnt(0)
	v_max_i32_e32 v12, v6, v12
	v_cndmask_b32_e64 v13, v11, 1, vcc
	v_mov_b32_e32 v11, 0
	v_cmp_eq_u16_sdwa vcc, v48, v11 src0_sel:BYTE_0 src1_sel:DWORD
	v_cmp_gt_u32_e64 s[0:1], 60, v44
	v_and_b32_e32 v49, 0xffff, v13
	v_cndmask_b32_e32 v12, v6, v12, vcc
	v_cmp_gt_u32_e32 vcc, v47, v9
	v_add_u32_e32 v57, 32, v44
	s_nop 0
	v_cndmask_b32_e32 v13, v13, v48, vcc
	v_cndmask_b32_e64 v48, 0, 4, s[0:1]
	v_cndmask_b32_e32 v7, v49, v7, vcc
	v_add_lshl_u32 v48, v48, v53, 2
	ds_bpermute_b32 v50, v48, v7
	v_cndmask_b32_e32 v6, v12, v6, vcc
	ds_bpermute_b32 v12, v48, v6
	v_and_b32_e32 v51, 1, v13
	v_cmp_eq_u32_e32 vcc, 1, v51
	s_waitcnt lgkmcnt(1)
	v_and_b32_e32 v50, 1, v50
	v_add_u32_e32 v49, 4, v44
	v_cndmask_b32_e64 v50, v50, 1, vcc
	s_waitcnt lgkmcnt(0)
	v_max_i32_e32 v12, v6, v12
	v_cmp_eq_u16_sdwa vcc, v13, v11 src0_sel:BYTE_0 src1_sel:DWORD
	v_cmp_gt_u32_e64 s[0:1], 56, v44
	v_and_b32_e32 v51, 0xffff, v50
	v_cndmask_b32_e32 v12, v6, v12, vcc
	v_cmp_gt_u32_e32 vcc, v49, v9
	s_nop 1
	v_cndmask_b32_e32 v13, v50, v13, vcc
	v_cndmask_b32_e64 v50, 0, 8, s[0:1]
	v_cndmask_b32_e32 v7, v51, v7, vcc
	v_add_lshl_u32 v50, v50, v53, 2
	ds_bpermute_b32 v52, v50, v7
	v_cndmask_b32_e32 v6, v12, v6, vcc
	ds_bpermute_b32 v12, v50, v6
	v_and_b32_e32 v54, 1, v13
	v_cmp_eq_u32_e32 vcc, 1, v54
	s_waitcnt lgkmcnt(1)
	v_and_b32_e32 v52, 1, v52
	v_add_u32_e32 v51, 8, v44
	v_cndmask_b32_e64 v52, v52, 1, vcc
	s_waitcnt lgkmcnt(0)
	v_max_i32_e32 v12, v6, v12
	v_cmp_eq_u16_sdwa vcc, v13, v11 src0_sel:BYTE_0 src1_sel:DWORD
	v_cmp_gt_u32_e64 s[0:1], 48, v44
	v_and_b32_e32 v54, 0xffff, v52
	v_cndmask_b32_e32 v12, v6, v12, vcc
	v_cmp_gt_u32_e32 vcc, v51, v9
	s_nop 1
	v_cndmask_b32_e32 v13, v52, v13, vcc
	v_cndmask_b32_e64 v52, 0, 16, s[0:1]
	v_cndmask_b32_e32 v7, v54, v7, vcc
	v_add_lshl_u32 v52, v52, v53, 2
	ds_bpermute_b32 v55, v52, v7
	v_cndmask_b32_e32 v6, v12, v6, vcc
	ds_bpermute_b32 v12, v52, v6
	v_and_b32_e32 v56, 1, v13
	v_cmp_eq_u32_e32 vcc, 1, v56
	s_waitcnt lgkmcnt(1)
	v_and_b32_e32 v55, 1, v55
	v_add_u32_e32 v54, 16, v44
	v_cndmask_b32_e64 v55, v55, 1, vcc
	s_waitcnt lgkmcnt(0)
	v_max_i32_e32 v12, v6, v12
	v_cmp_eq_u16_sdwa vcc, v13, v11 src0_sel:BYTE_0 src1_sel:DWORD
	v_and_b32_e32 v56, 0xffff, v55
	s_nop 0
	v_cndmask_b32_e32 v12, v6, v12, vcc
	v_cmp_gt_u32_e32 vcc, v54, v9
	s_nop 1
	v_cndmask_b32_e32 v13, v55, v13, vcc
	v_mov_b32_e32 v55, 0x80
	v_cndmask_b32_e32 v7, v56, v7, vcc
	v_lshl_or_b32 v56, v53, 2, v55
	ds_bpermute_b32 v7, v56, v7
	v_cndmask_b32_e32 v6, v12, v6, vcc
	ds_bpermute_b32 v12, v56, v6
	v_and_b32_e32 v53, 1, v13
	v_cmp_eq_u32_e32 vcc, 1, v53
	s_waitcnt lgkmcnt(1)
	v_and_b32_e32 v7, 1, v7
	s_waitcnt lgkmcnt(0)
	v_max_i32_e32 v12, v6, v12
	v_cndmask_b32_e64 v7, v7, 1, vcc
	v_cmp_eq_u16_sdwa vcc, v13, v11 src0_sel:BYTE_0 src1_sel:DWORD
	s_nop 1
	v_cndmask_b32_e32 v12, v6, v12, vcc
	v_cmp_gt_u32_e32 vcc, v57, v9
	s_nop 1
	v_cndmask_b32_e32 v7, v7, v13, vcc
	v_cndmask_b32_e32 v6, v12, v6, vcc
	s_branch .LBB83_100
.LBB83_97:                              ;   in Loop: Header=BB83_100 Depth=1
	s_or_b64 exec, exec, s[34:35]
	v_and_b32_e32 v7, 0xff, v7
.LBB83_98:                              ;   in Loop: Header=BB83_100 Depth=1
	s_or_b64 exec, exec, s[0:1]
	ds_bpermute_b32 v13, v45, v7
	v_cmp_eq_u16_sdwa s[0:1], v8, v43 src0_sel:BYTE_0 src1_sel:DWORD
	v_and_b32_e32 v58, 1, v7
	v_cmp_eq_u32_e32 vcc, 1, v58
	v_and_b32_e32 v9, s1, v5
	v_or_b32_e32 v9, 0x80000000, v9
	v_and_b32_e32 v12, s0, v4
	v_ffbl_b32_e32 v9, v9
	v_add_u32_e32 v9, 32, v9
	v_ffbl_b32_e32 v12, v12
	s_waitcnt lgkmcnt(0)
	v_and_b32_e32 v13, 1, v13
	v_min_u32_e32 v9, v12, v9
	ds_bpermute_b32 v12, v45, v6
	v_cndmask_b32_e64 v13, v13, 1, vcc
	v_and_b32_e32 v58, 0xffff, v13
	v_cmp_lt_u32_e64 s[0:1], v44, v9
	v_cmp_gt_u64_e32 vcc, s[40:41], v[6:7]
	s_waitcnt lgkmcnt(0)
	v_max_i32_e32 v12, v6, v12
	v_cndmask_b32_e64 v13, v7, v13, s[0:1]
	v_cndmask_b32_e64 v7, v7, v58, s[0:1]
	ds_bpermute_b32 v58, v46, v7
	s_and_b64 vcc, s[0:1], vcc
	v_cndmask_b32_e32 v6, v6, v12, vcc
	ds_bpermute_b32 v12, v46, v6
	v_and_b32_e32 v59, 1, v13
	s_waitcnt lgkmcnt(1)
	v_and_b32_e32 v58, 1, v58
	v_cmp_eq_u32_e32 vcc, 1, v59
	v_cmp_eq_u16_sdwa s[0:1], v13, v11 src0_sel:BYTE_0 src1_sel:DWORD
	s_waitcnt lgkmcnt(0)
	v_max_i32_e32 v12, v6, v12
	v_cndmask_b32_e64 v58, v58, 1, vcc
	v_and_b32_e32 v59, 0xffff, v58
	v_cmp_gt_u32_e32 vcc, v47, v9
	v_cndmask_b32_e64 v12, v6, v12, s[0:1]
	v_subrev_u32_e32 v10, 64, v10
	v_cndmask_b32_e32 v7, v59, v7, vcc
	ds_bpermute_b32 v59, v48, v7
	v_cndmask_b32_e32 v6, v12, v6, vcc
	v_cndmask_b32_e32 v58, v58, v13, vcc
	ds_bpermute_b32 v12, v48, v6
	v_and_b32_e32 v13, 1, v58
	s_waitcnt lgkmcnt(1)
	v_and_b32_e32 v59, 1, v59
	v_cmp_eq_u32_e32 vcc, 1, v13
	v_cmp_eq_u16_sdwa s[0:1], v58, v11 src0_sel:BYTE_0 src1_sel:DWORD
	s_waitcnt lgkmcnt(0)
	v_max_i32_e32 v12, v6, v12
	v_cndmask_b32_e64 v13, v59, 1, vcc
	v_and_b32_e32 v59, 0xffff, v13
	v_cmp_gt_u32_e32 vcc, v49, v9
	v_cndmask_b32_e64 v12, v6, v12, s[0:1]
	s_nop 0
	v_cndmask_b32_e32 v7, v59, v7, vcc
	ds_bpermute_b32 v59, v50, v7
	v_cndmask_b32_e32 v6, v12, v6, vcc
	ds_bpermute_b32 v12, v50, v6
	v_cndmask_b32_e32 v13, v13, v58, vcc
	v_and_b32_e32 v58, 1, v13
	s_waitcnt lgkmcnt(1)
	v_and_b32_e32 v59, 1, v59
	v_cmp_eq_u32_e32 vcc, 1, v58
	s_waitcnt lgkmcnt(0)
	v_max_i32_e32 v12, v6, v12
	v_cmp_eq_u16_sdwa s[0:1], v13, v11 src0_sel:BYTE_0 src1_sel:DWORD
	v_cndmask_b32_e64 v58, v59, 1, vcc
	v_and_b32_e32 v59, 0xffff, v58
	v_cmp_gt_u32_e32 vcc, v51, v9
	v_cndmask_b32_e64 v12, v6, v12, s[0:1]
	s_mov_b64 s[0:1], 0
	v_cndmask_b32_e32 v7, v59, v7, vcc
	ds_bpermute_b32 v59, v52, v7
	v_cndmask_b32_e32 v6, v12, v6, vcc
	ds_bpermute_b32 v12, v52, v6
	v_cndmask_b32_e32 v58, v58, v13, vcc
	v_and_b32_e32 v13, 1, v58
	s_waitcnt lgkmcnt(1)
	v_and_b32_e32 v59, 1, v59
	v_cmp_eq_u32_e32 vcc, 1, v13
	s_waitcnt lgkmcnt(0)
	v_max_i32_e32 v12, v6, v12
	v_cndmask_b32_e64 v13, v59, 1, vcc
	v_cmp_eq_u16_sdwa vcc, v58, v11 src0_sel:BYTE_0 src1_sel:DWORD
	v_and_b32_e32 v59, 0xffff, v13
	s_nop 0
	v_cndmask_b32_e32 v12, v6, v12, vcc
	v_cmp_gt_u32_e32 vcc, v54, v9
	s_nop 1
	v_cndmask_b32_e32 v6, v12, v6, vcc
	v_cndmask_b32_e32 v7, v59, v7, vcc
	ds_bpermute_b32 v7, v56, v7
	ds_bpermute_b32 v12, v56, v6
	v_cndmask_b32_e32 v13, v13, v58, vcc
	v_and_b32_e32 v58, 1, v13
	v_cmp_eq_u32_e32 vcc, 1, v58
	s_waitcnt lgkmcnt(0)
	v_max_i32_e32 v12, v6, v12
	v_cndmask_b32_e64 v7, v7, 1, vcc
	v_cmp_eq_u16_sdwa vcc, v13, v11 src0_sel:BYTE_0 src1_sel:DWORD
	s_nop 1
	v_cndmask_b32_e32 v12, v6, v12, vcc
	v_cmp_gt_u32_e32 vcc, v57, v9
	v_and_b32_e32 v9, 1, v53
	s_nop 0
	v_cndmask_b32_e32 v6, v12, v6, vcc
	v_cndmask_b32_e32 v7, v7, v13, vcc
	v_max_i32_e32 v6, v55, v6
	v_cmp_eq_u16_sdwa vcc, v53, v11 src0_sel:BYTE_0 src1_sel:DWORD
	v_and_b32_e32 v7, 1, v7
	s_nop 0
	v_cndmask_b32_e32 v6, v55, v6, vcc
	v_cmp_eq_u32_e32 vcc, 1, v9
	s_nop 1
	v_cndmask_b32_e64 v7, v7, 1, vcc
.LBB83_99:                              ;   in Loop: Header=BB83_100 Depth=1
	s_and_b64 vcc, exec, s[0:1]
	s_cbranch_vccnz .LBB83_115
.LBB83_100:                             ; =>This Loop Header: Depth=1
                                        ;     Child Loop BB83_103 Depth 2
	v_cmp_ne_u16_sdwa s[0:1], v8, v43 src0_sel:BYTE_0 src1_sel:DWORD
	v_mov_b32_e32 v53, v7
	v_mov_b32_e32 v55, v6
	s_cmp_lg_u64 s[0:1], exec
	s_mov_b64 s[0:1], -1
                                        ; implicit-def: $vgpr7
                                        ; implicit-def: $vgpr6
                                        ; implicit-def: $vgpr8
	s_cbranch_scc1 .LBB83_99
; %bb.101:                              ;   in Loop: Header=BB83_100 Depth=1
	v_lshl_add_u64 v[12:13], v[10:11], 4, s[52:53]
	;;#ASMSTART
	global_load_dwordx4 v[6:9], v[12:13] off sc1	
s_waitcnt vmcnt(0)
	;;#ASMEND
	s_nop 0
	v_and_b32_e32 v7, 0xff, v7
	v_cmp_eq_u16_sdwa s[34:35], v8, v11 src0_sel:BYTE_0 src1_sel:DWORD
	s_and_saveexec_b64 s[0:1], s[34:35]
	s_cbranch_execz .LBB83_98
; %bb.102:                              ;   in Loop: Header=BB83_100 Depth=1
	s_mov_b64 s[34:35], 0
.LBB83_103:                             ;   Parent Loop BB83_100 Depth=1
                                        ; =>  This Inner Loop Header: Depth=2
	;;#ASMSTART
	global_load_dwordx4 v[6:9], v[12:13] off sc1	
s_waitcnt vmcnt(0)
	;;#ASMEND
	s_nop 0
	v_cmp_ne_u16_sdwa s[44:45], v8, v11 src0_sel:BYTE_0 src1_sel:DWORD
	s_or_b64 s[34:35], s[44:45], s[34:35]
	s_andn2_b64 exec, exec, s[34:35]
	s_cbranch_execnz .LBB83_103
	s_branch .LBB83_97
.LBB83_104:
	s_or_b64 exec, exec, s[0:1]
                                        ; implicit-def: $vgpr27
	s_and_saveexec_b64 s[0:1], s[6:7]
	s_cbranch_execz .LBB83_33
.LBB83_105:
	v_mov_b32_e32 v27, s29
	v_sub_co_u32_e32 v14, vcc, s28, v14
	s_nop 1
	v_subbrev_co_u32_e32 v27, vcc, 0, v27, vcc
	v_add_co_u32_e32 v28, vcc, -4, v14
	s_nop 1
	v_addc_co_u32_e32 v29, vcc, -1, v27, vcc
	flat_load_dword v27, v[28:29]
	s_or_b64 exec, exec, s[0:1]
                                        ; implicit-def: $vgpr14
	s_and_saveexec_b64 s[0:1], s[8:9]
	s_cbranch_execnz .LBB83_34
.LBB83_106:
	s_or_b64 exec, exec, s[0:1]
                                        ; implicit-def: $vgpr15
	s_and_saveexec_b64 s[0:1], s[10:11]
	s_cbranch_execz .LBB83_35
.LBB83_107:
	v_mov_b32_e32 v15, s29
	v_sub_co_u32_e32 v16, vcc, s28, v16
	s_nop 1
	v_subbrev_co_u32_e32 v15, vcc, 0, v15, vcc
	v_add_co_u32_e32 v28, vcc, -4, v16
	s_nop 1
	v_addc_co_u32_e32 v29, vcc, -1, v15, vcc
	flat_load_dword v15, v[28:29]
	s_or_b64 exec, exec, s[0:1]
                                        ; implicit-def: $vgpr16
	s_and_saveexec_b64 s[0:1], s[12:13]
	s_cbranch_execnz .LBB83_36
.LBB83_108:
	s_or_b64 exec, exec, s[0:1]
                                        ; implicit-def: $vgpr17
	s_and_saveexec_b64 s[0:1], s[14:15]
	s_cbranch_execz .LBB83_37
.LBB83_109:
	v_mov_b32_e32 v17, s29
	v_sub_co_u32_e32 v18, vcc, s28, v18
	s_nop 1
	v_subbrev_co_u32_e32 v17, vcc, 0, v17, vcc
	v_add_co_u32_e32 v28, vcc, -4, v18
	s_nop 1
	v_addc_co_u32_e32 v29, vcc, -1, v17, vcc
	flat_load_dword v17, v[28:29]
	s_or_b64 exec, exec, s[0:1]
                                        ; implicit-def: $vgpr18
	s_and_saveexec_b64 s[0:1], s[16:17]
	s_cbranch_execnz .LBB83_38
.LBB83_110:
	s_or_b64 exec, exec, s[0:1]
                                        ; implicit-def: $vgpr19
	s_and_saveexec_b64 s[0:1], s[18:19]
	s_cbranch_execz .LBB83_39
.LBB83_111:
	v_mov_b32_e32 v19, s29
	v_sub_co_u32_e32 v20, vcc, s28, v20
	s_nop 1
	v_subbrev_co_u32_e32 v19, vcc, 0, v19, vcc
	v_add_co_u32_e32 v28, vcc, -4, v20
	s_nop 1
	v_addc_co_u32_e32 v29, vcc, -1, v19, vcc
	flat_load_dword v19, v[28:29]
	s_or_b64 exec, exec, s[0:1]
                                        ; implicit-def: $vgpr20
	s_and_saveexec_b64 s[0:1], s[20:21]
	s_cbranch_execnz .LBB83_40
.LBB83_112:
	s_or_b64 exec, exec, s[0:1]
                                        ; implicit-def: $vgpr21
	s_and_saveexec_b64 s[0:1], s[22:23]
	s_cbranch_execz .LBB83_41
.LBB83_113:
	v_mov_b32_e32 v21, s29
	v_sub_co_u32_e32 v22, vcc, s28, v22
	s_nop 1
	v_subbrev_co_u32_e32 v21, vcc, 0, v21, vcc
	v_add_co_u32_e32 v28, vcc, -4, v22
	s_nop 1
	v_addc_co_u32_e32 v29, vcc, -1, v21, vcc
	flat_load_dword v21, v[28:29]
	s_or_b64 exec, exec, s[0:1]
                                        ; implicit-def: $vgpr22
	s_and_saveexec_b64 s[0:1], s[24:25]
	s_cbranch_execz .LBB83_43
	s_branch .LBB83_42
.LBB83_114:
                                        ; implicit-def: $vgpr13
                                        ; implicit-def: $vgpr9
                                        ; implicit-def: $vgpr5
                                        ; implicit-def: $vgpr14_vgpr15
	s_cbranch_execnz .LBB83_120
	s_branch .LBB83_139
.LBB83_115:
	s_and_saveexec_b64 s[0:1], s[28:29]
	s_cbranch_execz .LBB83_117
; %bb.116:
	s_mov_b32 s29, 0
	s_add_i32 s28, s48, 64
	v_mov_b32_e32 v5, 0
	s_lshl_b64 s[28:29], s[28:29], 4
	v_max_i32_e32 v4, v2, v55
	v_cmp_eq_u32_sdwa vcc, v3, v5 src0_sel:BYTE_0 src1_sel:DWORD
	v_and_b32_e32 v3, 1, v3
	s_add_u32 s28, s52, s28
	v_cndmask_b32_e32 v2, v2, v4, vcc
	s_addc_u32 s29, s53, s29
	v_and_b32_e32 v4, 1, v53
	v_cmp_eq_u32_e32 vcc, 1, v3
	v_mov_b64_e32 v[6:7], s[28:29]
	s_nop 0
	v_cndmask_b32_e64 v3, v4, 1, vcc
	v_mov_b32_e32 v4, 2
	;;#ASMSTART
	global_store_dwordx4 v[6:7], v[2:5] off sc1	
s_waitcnt vmcnt(0)
	;;#ASMEND
.LBB83_117:
	s_or_b64 exec, exec, s[0:1]
	s_and_b64 exec, exec, s[30:31]
	s_cbranch_execz .LBB83_119
; %bb.118:
	v_mov_b32_e32 v2, 0
	ds_write_b32 v2, v55
	ds_write_b8 v2, v53 offset:4
.LBB83_119:
	s_or_b64 exec, exec, s[38:39]
	v_mov_b32_e32 v2, 0
	s_waitcnt lgkmcnt(0)
	s_barrier
	ds_read_b32 v3, v2
	s_mov_b32 s0, 0
	v_and_b32_e32 v4, 1, v17
	s_mov_b32 s1, 1
	v_cmp_eq_u32_e32 vcc, 1, v4
	v_max_i32_e32 v5, v16, v14
	s_nop 0
	v_cndmask_b32_e64 v4, v15, 1, vcc
	v_cmp_gt_u64_e32 vcc, s[0:1], v[16:17]
	v_cndmask_b32_e64 v4, v4, v17, s[30:31]
	s_nop 0
	v_cndmask_b32_e32 v5, v16, v5, vcc
	v_cndmask_b32_e64 v5, v5, v16, s[30:31]
	s_waitcnt lgkmcnt(0)
	v_max_i32_e32 v3, v5, v3
	v_cmp_eq_u16_sdwa vcc, v4, v2 src0_sel:BYTE_0 src1_sel:DWORD
	s_nop 1
	v_cndmask_b32_e32 v2, v5, v3, vcc
	v_max_i32_e32 v3, v36, v2
	v_cndmask_b32_e64 v3, v36, v3, s[6:7]
	v_max_i32_e32 v4, v34, v3
	v_cndmask_b32_e64 v4, v34, v4, s[8:9]
	;; [unrolled: 2-line block ×11, first 2 shown]
	v_mov_b64_e32 v[14:15], v[2:3]
	s_branch .LBB83_139
.LBB83_120:
	s_cmp_lg_u64 s[58:59], 0
	s_cselect_b64 s[0:1], -1, 0
	s_cmp_lg_u64 s[46:47], 0
	s_cselect_b64 s[6:7], -1, 0
	s_and_b64 s[0:1], s[0:1], s[6:7]
	s_and_b64 s[6:7], s[30:31], s[0:1]
	s_and_saveexec_b64 s[0:1], s[6:7]
	s_cbranch_execz .LBB83_122
; %bb.121:
	v_mov_b32_e32 v2, 0
	global_load_dword v4, v2, s[46:47]
	global_load_ubyte v5, v2, s[46:47] offset:4
	s_mov_b32 s6, 0
	s_mov_b32 s7, 1
	v_and_b32_e32 v3, 1, v17
	v_cmp_gt_u64_e32 vcc, s[6:7], v[16:17]
	s_waitcnt vmcnt(1)
	v_max_i32_e32 v4, v16, v4
	s_waitcnt vmcnt(0)
	v_and_b32_e32 v5, 1, v5
	v_cndmask_b32_e32 v16, v16, v4, vcc
	v_cmp_eq_u64_e32 vcc, 0, v[2:3]
	s_nop 1
	v_cndmask_b32_e32 v17, 1, v5, vcc
.LBB83_122:
	s_or_b64 exec, exec, s[0:1]
	s_mov_b32 s0, 0
	s_mov_b32 s1, 1
	v_max_i32_e32 v2, v36, v16
	v_cmp_gt_u64_e32 vcc, s[0:1], v[36:37]
	v_cmp_gt_u64_e64 s[6:7], s[0:1], v[34:35]
	v_cmp_gt_u64_e64 s[8:9], s[0:1], v[32:33]
	v_cndmask_b32_e32 v3, v36, v2, vcc
	v_max_i32_e32 v2, v34, v3
	v_cndmask_b32_e64 v4, v34, v2, s[6:7]
	v_max_i32_e32 v2, v32, v4
	v_cndmask_b32_e64 v5, v32, v2, s[8:9]
	v_max_i32_e32 v2, v30, v5
	v_cmp_gt_u64_e64 s[10:11], s[0:1], v[30:31]
	v_cmp_gt_u64_e64 s[12:13], s[0:1], v[28:29]
	;; [unrolled: 1-line block ×3, first 2 shown]
	v_cndmask_b32_e64 v6, v30, v2, s[10:11]
	v_max_i32_e32 v2, v28, v6
	v_cndmask_b32_e64 v7, v28, v2, s[12:13]
	v_max_i32_e32 v2, v26, v7
	;; [unrolled: 2-line block ×3, first 2 shown]
	v_cmp_gt_u64_e64 s[16:17], s[0:1], v[24:25]
	v_or3_b32 v10, v42, v27, v29
	v_or3_b32 v10, v10, v31, v33
	v_cndmask_b32_e64 v9, v24, v2, s[16:17]
	v_max_i32_e32 v2, v22, v9
	v_cmp_gt_u64_e64 s[18:19], s[0:1], v[22:23]
	v_or3_b32 v14, v10, v35, v37
	v_cmp_gt_u64_e64 s[20:21], s[0:1], v[20:21]
	v_cndmask_b32_e64 v10, v22, v2, s[18:19]
	v_max_i32_e32 v2, v20, v10
	v_cndmask_b32_e64 v11, v20, v2, s[20:21]
	v_max_i32_e32 v2, v18, v11
	v_cmp_gt_u64_e64 s[22:23], s[0:1], v[18:19]
	v_cmp_gt_u64_e64 s[24:25], s[0:1], v[38:39]
	s_nop 0
	v_cndmask_b32_e64 v12, v18, v2, s[22:23]
	v_max_i32_e32 v2, v38, v12
	v_cndmask_b32_e64 v13, v38, v2, s[24:25]
	v_or3_b32 v2, v39, v41, v14
	v_and_b32_e32 v15, 0xff, v2
	v_mov_b32_e32 v14, 0
	v_cmp_eq_u64_e64 s[0:1], 0, v[14:15]
	v_and_b32_e32 v2, 56, v40
	v_lshl_add_u32 v2, v0, 3, v2
	v_cndmask_b32_e64 v19, 1, v17, s[0:1]
	v_cmp_gt_u32_e64 s[0:1], 64, v0
	ds_write_b32 v2, v13
	ds_write_b8 v2, v19 offset:4
	s_waitcnt lgkmcnt(0)
	s_barrier
	s_and_saveexec_b64 s[26:27], s[0:1]
	s_cbranch_execz .LBB83_134
; %bb.123:
	v_and_b32_e32 v2, 0xf8, v0
	v_lshlrev_b32_e32 v14, 5, v0
	v_add_u32_e32 v2, v2, v14
	ds_read2_b32 v[40:41], v2 offset0:2 offset1:4
	ds_read_b64 v[14:15], v2
	ds_read_u8 v23, v2 offset:12
	ds_read_u8 v25, v2 offset:20
	ds_read_b32 v27, v2 offset:24
	ds_read_u8 v29, v2 offset:28
	s_waitcnt lgkmcnt(4)
	v_max_i32_e32 v31, v40, v14
	s_waitcnt lgkmcnt(3)
	v_cmp_eq_u16_e64 s[0:1], 0, v23
	s_waitcnt lgkmcnt(2)
	v_or_b32_e32 v23, v25, v23
	v_and_b32_e32 v21, 1, v15
	v_cndmask_b32_e64 v31, v40, v31, s[0:1]
	v_max_i32_e32 v31, v41, v31
	v_cmp_eq_u16_e64 s[0:1], 0, v25
	s_nop 1
	v_cndmask_b32_e64 v31, v41, v31, s[0:1]
	v_cmp_eq_u16_e64 s[0:1], 0, v23
	s_waitcnt lgkmcnt(1)
	v_max_i32_e32 v25, v27, v31
	v_cndmask_b32_e64 v23, 1, v21, s[0:1]
	s_waitcnt lgkmcnt(0)
	v_cmp_eq_u16_e64 s[0:1], 0, v29
	s_nop 1
	v_cndmask_b32_e64 v25, v27, v25, s[0:1]
	v_and_b32_e32 v27, 1, v29
	v_cmp_eq_u32_e64 s[0:1], 1, v27
	v_mbcnt_lo_u32_b32 v27, -1, 0
	v_mbcnt_hi_u32_b32 v27, -1, v27
	v_cndmask_b32_e64 v29, v23, 1, s[0:1]
	v_and_b32_e32 v23, 0xffffff00, v15
	v_and_b32_e32 v33, 15, v27
	v_or_b32_sdwa v31, v23, v29 dst_sel:DWORD dst_unused:UNUSED_PAD src0_sel:DWORD src1_sel:WORD_0
	v_mov_b32_dpp v35, v25 row_shr:1 row_mask:0xf bank_mask:0xf
	v_cmp_ne_u32_e64 s[0:1], 0, v33
	v_mov_b32_dpp v37, v31 row_shr:1 row_mask:0xf bank_mask:0xf
	s_and_saveexec_b64 s[28:29], s[0:1]
; %bb.124:
	v_and_b32_e32 v31, 1, v29
	v_and_b32_e32 v37, 1, v37
	v_cmp_eq_u32_e64 s[0:1], 1, v31
	v_max_i32_e32 v31, v25, v35
	s_nop 0
	v_cndmask_b32_e64 v37, v37, 1, s[0:1]
	v_cmp_eq_u16_e64 s[0:1], 0, v29
	v_mov_b32_e32 v29, v37
	s_nop 0
	v_cndmask_b32_e64 v25, v25, v31, s[0:1]
	v_or_b32_sdwa v31, v23, v37 dst_sel:DWORD dst_unused:UNUSED_PAD src0_sel:DWORD src1_sel:WORD_0
; %bb.125:
	s_or_b64 exec, exec, s[28:29]
	v_mov_b32_dpp v35, v25 row_shr:2 row_mask:0xf bank_mask:0xf
	v_mov_b32_dpp v37, v31 row_shr:2 row_mask:0xf bank_mask:0xf
	v_cmp_lt_u32_e64 s[0:1], 1, v33
	s_and_saveexec_b64 s[28:29], s[0:1]
; %bb.126:
	v_and_b32_e32 v31, 1, v29
	v_and_b32_e32 v37, 1, v37
	v_cmp_eq_u32_e64 s[0:1], 1, v31
	v_max_i32_e32 v31, v25, v35
	s_nop 0
	v_cndmask_b32_e64 v37, v37, 1, s[0:1]
	v_cmp_eq_u16_e64 s[0:1], 0, v29
	v_mov_b32_e32 v29, v37
	s_nop 0
	v_cndmask_b32_e64 v25, v25, v31, s[0:1]
	v_or_b32_sdwa v31, v23, v37 dst_sel:DWORD dst_unused:UNUSED_PAD src0_sel:DWORD src1_sel:WORD_0
; %bb.127:
	s_or_b64 exec, exec, s[28:29]
	v_mov_b32_dpp v35, v25 row_shr:4 row_mask:0xf bank_mask:0xf
	v_mov_b32_dpp v37, v31 row_shr:4 row_mask:0xf bank_mask:0xf
	v_cmp_lt_u32_e64 s[0:1], 3, v33
	;; [unrolled: 18-line block ×3, first 2 shown]
	s_and_saveexec_b64 s[28:29], s[0:1]
; %bb.130:
	v_and_b32_e32 v31, 1, v29
	v_and_b32_e32 v33, 1, v37
	v_cmp_eq_u32_e64 s[0:1], 1, v31
	v_max_i32_e32 v31, v25, v35
	s_nop 0
	v_cndmask_b32_e64 v33, v33, 1, s[0:1]
	v_cmp_eq_u16_e64 s[0:1], 0, v29
	v_mov_b32_e32 v29, v33
	s_nop 0
	v_cndmask_b32_e64 v25, v25, v31, s[0:1]
	v_or_b32_sdwa v31, v23, v33 dst_sel:DWORD dst_unused:UNUSED_PAD src0_sel:DWORD src1_sel:WORD_0
; %bb.131:
	s_or_b64 exec, exec, s[28:29]
	v_and_b32_e32 v37, 16, v27
	v_mov_b32_dpp v33, v25 row_bcast:15 row_mask:0xf bank_mask:0xf
	v_mov_b32_dpp v35, v31 row_bcast:15 row_mask:0xf bank_mask:0xf
	v_cmp_ne_u32_e64 s[0:1], 0, v37
	s_and_saveexec_b64 s[28:29], s[0:1]
; %bb.132:
	v_and_b32_e32 v31, 1, v29
	v_and_b32_e32 v35, 1, v35
	v_cmp_eq_u32_e64 s[0:1], 1, v31
	v_max_i32_e32 v31, v25, v33
	s_nop 0
	v_cndmask_b32_e64 v35, v35, 1, s[0:1]
	v_cmp_eq_u16_e64 s[0:1], 0, v29
	v_mov_b32_e32 v29, v35
	s_nop 0
	v_cndmask_b32_e64 v25, v25, v31, s[0:1]
	v_or_b32_sdwa v31, v23, v35 dst_sel:DWORD dst_unused:UNUSED_PAD src0_sel:DWORD src1_sel:WORD_0
; %bb.133:
	s_or_b64 exec, exec, s[28:29]
	s_nop 0
	v_mov_b32_dpp v31, v31 row_bcast:31 row_mask:0xf bank_mask:0xf
	v_and_b32_e32 v35, 1, v29
	v_and_b32_e32 v31, 1, v31
	v_cmp_eq_u32_e64 s[0:1], 1, v35
	v_mov_b32_e32 v35, 0
	v_mov_b32_dpp v33, v25 row_bcast:31 row_mask:0xf bank_mask:0xf
	v_cndmask_b32_e64 v31, v31, 1, s[0:1]
	v_cmp_eq_u16_sdwa s[28:29], v29, v35 src0_sel:BYTE_0 src1_sel:DWORD
	v_cmp_lt_u32_e64 s[0:1], 31, v27
	v_max_i32_e32 v33, v25, v33
	s_nop 0
	v_cndmask_b32_e64 v29, v29, v31, s[0:1]
	s_and_b64 s[0:1], s[0:1], s[28:29]
	v_cndmask_b32_e64 v25, v25, v33, s[0:1]
	v_add_u32_e32 v31, -1, v27
	v_and_b32_e32 v33, 64, v27
	v_cmp_lt_i32_e64 s[0:1], v31, v33
	; wave barrier
	s_nop 1
	v_cndmask_b32_e64 v27, v31, v27, s[0:1]
	v_lshlrev_b32_e32 v27, 2, v27
	s_movk_i32 s0, 0xff
	ds_bpermute_b32 v25, v27, v25
	v_and_or_b32 v23, v29, s0, v23
	ds_bpermute_b32 v23, v27, v23
	v_cmp_eq_u16_sdwa s[0:1], v15, v35 src0_sel:BYTE_0 src1_sel:DWORD
	s_waitcnt lgkmcnt(1)
	v_max_i32_e32 v25, v14, v25
	v_cndmask_b32_e64 v14, v14, v25, s[0:1]
	s_waitcnt lgkmcnt(0)
	v_and_b32_e32 v15, 1, v23
	v_cmp_eq_u32_e64 s[0:1], 1, v21
	v_cndmask_b32_e64 v21, v14, v13, s[30:31]
	s_nop 0
	v_cndmask_b32_e64 v15, v15, 1, s[0:1]
	v_cndmask_b32_e64 v19, v15, v19, s[30:31]
	ds_write_b32 v2, v21
	ds_write_b8 v2, v19 offset:4
	; wave barrier
	ds_read2_b32 v[14:15], v2 offset0:2 offset1:4
	ds_read_u8 v23, v2 offset:12
	ds_read_u8 v25, v2 offset:20
	ds_read_b32 v27, v2 offset:24
	ds_read_u8 v29, v2 offset:28
	s_waitcnt lgkmcnt(4)
	v_max_i32_e32 v21, v14, v21
	s_waitcnt lgkmcnt(3)
	v_cmp_eq_u16_e64 s[0:1], 0, v23
	s_nop 1
	v_cndmask_b32_e64 v14, v14, v21, s[0:1]
	v_and_b32_e32 v21, 1, v23
	v_cmp_eq_u32_e64 s[0:1], 1, v21
	v_max_i32_e32 v21, v15, v14
	s_nop 0
	v_cndmask_b32_e64 v19, v19, 1, s[0:1]
	s_waitcnt lgkmcnt(2)
	v_cmp_eq_u16_e64 s[0:1], 0, v25
	ds_write_b8 v2, v19 offset:12
	s_nop 0
	v_cndmask_b32_e64 v15, v15, v21, s[0:1]
	v_and_b32_e32 v21, 1, v25
	v_cmp_eq_u32_e64 s[0:1], 1, v21
	s_nop 1
	v_cndmask_b32_e64 v19, v19, 1, s[0:1]
	ds_write2_b32 v2, v14, v15 offset0:2 offset1:4
	ds_write_b8 v2, v19 offset:20
	s_waitcnt lgkmcnt(4)
	v_max_i32_e32 v14, v27, v15
	s_waitcnt lgkmcnt(3)
	v_cmp_eq_u16_e64 s[0:1], 0, v29
	v_and_b32_e32 v15, 1, v29
	s_nop 0
	v_cndmask_b32_e64 v14, v27, v14, s[0:1]
	v_cmp_eq_u32_e64 s[0:1], 1, v15
	s_nop 1
	v_cndmask_b32_e64 v15, v19, 1, s[0:1]
	ds_write_b32 v2, v14 offset:24
	ds_write_b8 v2, v15 offset:28
.LBB83_134:
	s_or_b64 exec, exec, s[26:27]
	v_mov_b32_e32 v2, v16
	v_mov_b64_e32 v[14:15], v[2:3]
	s_waitcnt lgkmcnt(0)
	s_barrier
	s_and_saveexec_b64 s[26:27], s[4:5]
	s_cbranch_execz .LBB83_136
; %bb.135:
	v_add_u32_e32 v2, -1, v0
	v_lshrrev_b32_e32 v3, 2, v2
	v_and_b32_e32 v3, 0x3ffffff8, v3
	v_lshl_add_u32 v2, v2, 3, v3
	ds_read_b32 v4, v2
	v_and_b32_e32 v3, 0xff, v17
	v_mov_b32_e32 v2, 0
	v_cmp_eq_u64_e64 s[0:1], 0, v[2:3]
	;;#ASMSTART
	;;#ASMEND
	s_waitcnt lgkmcnt(0)
	v_max_i32_e32 v4, v16, v4
	v_cndmask_b32_e64 v14, v16, v4, s[0:1]
	v_max_i32_e32 v2, v36, v14
	v_cndmask_b32_e32 v15, v36, v2, vcc
	v_max_i32_e32 v2, v34, v15
	v_cndmask_b32_e64 v4, v34, v2, s[6:7]
	v_max_i32_e32 v2, v32, v4
	v_cndmask_b32_e64 v5, v32, v2, s[8:9]
	;; [unrolled: 2-line block ×10, first 2 shown]
	v_mov_b32_e32 v16, v14
	v_mov_b32_e32 v3, v15
.LBB83_136:
	s_or_b64 exec, exec, s[26:27]
	s_and_saveexec_b64 s[0:1], s[30:31]
	s_cbranch_execz .LBB83_138
; %bb.137:
	v_mov_b32_e32 v21, 0
	ds_read_b32 v18, v21 offset:2096
	ds_read_u8 v19, v21 offset:2100
	s_add_u32 s4, s52, 0x400
	s_addc_u32 s5, s53, 0
	v_mov_b32_e32 v20, 2
	v_mov_b64_e32 v[22:23], s[4:5]
	s_waitcnt lgkmcnt(0)
	;;#ASMSTART
	global_store_dwordx4 v[22:23], v[18:21] off sc1	
s_waitcnt vmcnt(0)
	;;#ASMEND
.LBB83_138:
	s_or_b64 exec, exec, s[0:1]
	v_mov_b32_e32 v2, v16
.LBB83_139:
	s_lshl_b64 s[0:1], s[56:57], 2
	s_add_u32 s4, s42, s0
	s_addc_u32 s5, s43, s1
	s_lshl_b64 s[0:1], s[36:37], 2
	s_add_u32 s0, s4, s0
	s_addc_u32 s1, s5, s1
	s_and_b64 vcc, exec, s[2:3]
	s_cbranch_vccz .LBB83_179
; %bb.140:
	s_add_i32 s33, s33, s54
	v_mul_u32_u24_e32 v16, 12, v0
	v_cmp_gt_u32_e32 vcc, s33, v16
	s_and_saveexec_b64 s[2:3], vcc
	s_cbranch_execz .LBB83_156
; %bb.141:
	v_or_b32_e32 v17, 1, v16
	v_cmp_gt_u32_e32 vcc, s33, v17
	s_and_saveexec_b64 s[4:5], vcc
	s_cbranch_execz .LBB83_155
; %bb.142:
	v_or_b32_e32 v17, 2, v16
	;; [unrolled: 5-line block ×3, first 2 shown]
	v_cmp_gt_u32_e32 vcc, s33, v17
	s_and_saveexec_b64 s[8:9], vcc
	s_cbranch_execz .LBB83_153
; %bb.144:
	v_add_u32_e32 v17, 4, v16
	v_cmp_gt_u32_e32 vcc, s33, v17
	s_and_saveexec_b64 s[10:11], vcc
	s_cbranch_execz .LBB83_152
; %bb.145:
	v_add_u32_e32 v17, 5, v16
	;; [unrolled: 5-line block ×4, first 2 shown]
	v_cmp_gt_u32_e32 vcc, s33, v17
	s_and_saveexec_b64 s[16:17], vcc
; %bb.148:
	v_add_u32_e32 v17, 8, v16
	v_cmp_gt_u32_e32 vcc, s33, v17
	s_and_saveexec_b64 s[18:19], vcc
	s_or_b64 exec, exec, s[18:19]
; %bb.149:
	s_or_b64 exec, exec, s[16:17]
.LBB83_150:
	s_or_b64 exec, exec, s[14:15]
.LBB83_151:
	s_or_b64 exec, exec, s[12:13]
.LBB83_152:
	s_or_b64 exec, exec, s[10:11]
.LBB83_153:
	s_or_b64 exec, exec, s[8:9]
.LBB83_154:
	s_or_b64 exec, exec, s[6:7]
.LBB83_155:
	s_or_b64 exec, exec, s[4:5]
.LBB83_156:
	s_or_b64 exec, exec, s[2:3]
	v_lshlrev_b32_e32 v26, 2, v16
	s_movk_i32 s2, 0xffd4
	v_mad_i32_i24 v24, v0, s2, v26
	s_barrier
	ds_write_b128 v26, v[2:5]
	ds_write_b128 v26, v[6:9] offset:16
	ds_write_b128 v26, v[10:13] offset:32
	s_waitcnt lgkmcnt(0)
	s_barrier
	ds_read2st64_b32 v[22:23], v24 offset0:4 offset1:8
	ds_read2st64_b32 v[20:21], v24 offset0:12 offset1:16
	;; [unrolled: 1-line block ×5, first 2 shown]
	ds_read_b32 v27, v24 offset:11264
	v_mov_b32_e32 v24, s1
	v_sub_co_u32_e32 v25, vcc, s0, v1
	s_nop 1
	v_subbrev_co_u32_e32 v24, vcc, 0, v24, vcc
	v_cmp_gt_u32_e32 vcc, s33, v0
	s_and_saveexec_b64 s[2:3], vcc
	s_cbranch_execz .LBB83_158
; %bb.157:
	v_mul_i32_i24_e32 v28, 0xffffffd4, v0
	v_add_u32_e32 v26, v26, v28
	ds_read_b32 v26, v26
	v_add_co_u32_e32 v28, vcc, -4, v25
	s_nop 1
	v_addc_co_u32_e32 v29, vcc, -1, v24, vcc
	s_waitcnt lgkmcnt(0)
	flat_store_dword v[28:29], v26
.LBB83_158:
	s_or_b64 exec, exec, s[2:3]
	v_or_b32_e32 v26, 0x100, v0
	v_cmp_gt_u32_e32 vcc, s33, v26
	s_and_saveexec_b64 s[2:3], vcc
	s_cbranch_execz .LBB83_160
; %bb.159:
	v_add_co_u32_e32 v28, vcc, 0xfffffbfc, v25
	s_nop 1
	v_addc_co_u32_e32 v29, vcc, -1, v24, vcc
	s_waitcnt lgkmcnt(0)
	flat_store_dword v[28:29], v22
.LBB83_160:
	s_or_b64 exec, exec, s[2:3]
	s_waitcnt lgkmcnt(0)
	v_or_b32_e32 v22, 0x200, v0
	v_cmp_gt_u32_e32 vcc, s33, v22
	s_and_saveexec_b64 s[2:3], vcc
	s_cbranch_execz .LBB83_162
; %bb.161:
	v_add_co_u32_e32 v28, vcc, 0xfffff7fc, v25
	s_nop 1
	v_addc_co_u32_e32 v29, vcc, -1, v24, vcc
	flat_store_dword v[28:29], v23
.LBB83_162:
	s_or_b64 exec, exec, s[2:3]
	v_or_b32_e32 v22, 0x300, v0
	v_cmp_gt_u32_e32 vcc, s33, v22
	s_and_saveexec_b64 s[2:3], vcc
	s_cbranch_execz .LBB83_164
; %bb.163:
	v_add_co_u32_e32 v22, vcc, 0xfffff3fc, v25
	s_nop 1
	v_addc_co_u32_e32 v23, vcc, -1, v24, vcc
	flat_store_dword v[22:23], v20
.LBB83_164:
	s_or_b64 exec, exec, s[2:3]
	v_or_b32_e32 v20, 0x400, v0
	v_cmp_gt_u32_e32 vcc, s33, v20
	s_and_saveexec_b64 s[2:3], vcc
	s_cbranch_execz .LBB83_166
; %bb.165:
	v_add_co_u32_e32 v22, vcc, 0xffffeffc, v25
	s_nop 1
	v_addc_co_u32_e32 v23, vcc, -1, v24, vcc
	flat_store_dword v[22:23], v21
.LBB83_166:
	s_or_b64 exec, exec, s[2:3]
	v_or_b32_e32 v20, 0x500, v0
	v_cmp_gt_u32_e32 vcc, s33, v20
	s_and_saveexec_b64 s[2:3], vcc
	s_cbranch_execz .LBB83_168
; %bb.167:
	v_add_co_u32_e32 v20, vcc, 0xffffebfc, v25
	s_nop 1
	v_addc_co_u32_e32 v21, vcc, -1, v24, vcc
	flat_store_dword v[20:21], v18
.LBB83_168:
	s_or_b64 exec, exec, s[2:3]
	v_or_b32_e32 v18, 0x600, v0
	v_cmp_gt_u32_e32 vcc, s33, v18
	s_and_saveexec_b64 s[2:3], vcc
	s_cbranch_execz .LBB83_170
; %bb.169:
	v_add_co_u32_e32 v20, vcc, 0xffffe7fc, v25
	s_nop 1
	v_addc_co_u32_e32 v21, vcc, -1, v24, vcc
	flat_store_dword v[20:21], v19
.LBB83_170:
	s_or_b64 exec, exec, s[2:3]
	v_or_b32_e32 v18, 0x700, v0
	v_cmp_gt_u32_e32 vcc, s33, v18
	s_and_saveexec_b64 s[2:3], vcc
	s_cbranch_execz .LBB83_172
; %bb.171:
	v_add_co_u32_e32 v18, vcc, 0xffffe3fc, v25
	s_nop 1
	v_addc_co_u32_e32 v19, vcc, -1, v24, vcc
	flat_store_dword v[18:19], v16
.LBB83_172:
	s_or_b64 exec, exec, s[2:3]
	v_or_b32_e32 v16, 0x800, v0
	v_cmp_gt_u32_e32 vcc, s33, v16
	s_and_saveexec_b64 s[2:3], vcc
	s_cbranch_execz .LBB83_174
; %bb.173:
	v_add_co_u32_e32 v18, vcc, 0xffffdffc, v25
	s_nop 1
	v_addc_co_u32_e32 v19, vcc, -1, v24, vcc
	flat_store_dword v[18:19], v17
.LBB83_174:
	s_or_b64 exec, exec, s[2:3]
	v_or_b32_e32 v16, 0x900, v0
	v_cmp_gt_u32_e32 vcc, s33, v16
	s_and_saveexec_b64 s[2:3], vcc
	s_cbranch_execz .LBB83_176
; %bb.175:
	v_add_co_u32_e32 v16, vcc, 0xffffdbfc, v25
	s_nop 1
	v_addc_co_u32_e32 v17, vcc, -1, v24, vcc
	flat_store_dword v[16:17], v2
.LBB83_176:
	s_or_b64 exec, exec, s[2:3]
	v_sub_co_u32_e32 v16, vcc, 0, v0
	v_or_b32_e32 v2, 0xa00, v0
	s_nop 0
	v_subb_co_u32_e64 v17, s[2:3], 0, 0, vcc
	v_cmp_gt_u32_e32 vcc, s33, v2
	s_and_saveexec_b64 s[2:3], vcc
	s_cbranch_execz .LBB83_178
; %bb.177:
	v_add_co_u32_e32 v18, vcc, 0xffffd7fc, v25
	s_nop 1
	v_addc_co_u32_e32 v19, vcc, -1, v24, vcc
	flat_store_dword v[18:19], v3
.LBB83_178:
	s_or_b64 exec, exec, s[2:3]
	v_or_b32_e32 v2, 0xb00, v0
	v_cmp_gt_u32_e64 s[2:3], s33, v2
	s_branch .LBB83_181
.LBB83_179:
	s_mov_b64 s[2:3], 0
                                        ; implicit-def: $vgpr27
                                        ; implicit-def: $vgpr16_vgpr17
	s_cbranch_execz .LBB83_181
; %bb.180:
	v_mul_u32_u24_e32 v2, 48, v0
	v_mov_b32_e32 v16, v4
	v_mov_b32_e32 v17, v5
	s_waitcnt lgkmcnt(0)
	s_barrier
	ds_write_b128 v2, v[14:17]
	ds_write_b128 v2, v[6:9] offset:16
	ds_write_b128 v2, v[10:13] offset:32
	v_mul_i32_i24_e32 v2, 0xffffffd4, v0
	v_mad_u32_u24 v12, v0, 48, v2
	v_sub_co_u32_e32 v16, vcc, 0, v0
	s_waitcnt lgkmcnt(0)
	s_barrier
	ds_read2st64_b32 v[2:3], v12 offset1:4
	ds_read2st64_b32 v[4:5], v12 offset0:8 offset1:12
	ds_read2st64_b32 v[6:7], v12 offset0:16 offset1:20
	;; [unrolled: 1-line block ×5, first 2 shown]
	v_subb_co_u32_e64 v17, s[4:5], 0, 0, vcc
	v_mov_b32_e32 v0, s1
	v_sub_co_u32_e32 v12, vcc, s0, v1
	s_movk_i32 s4, 0xf3fc
	s_nop 0
	v_subbrev_co_u32_e32 v13, vcc, 0, v0, vcc
	v_add_co_u32_e32 v0, vcc, s4, v12
	s_movk_i32 s4, 0xe3fc
	s_nop 0
	v_addc_co_u32_e32 v1, vcc, -1, v13, vcc
	s_waitcnt lgkmcnt(0)
	flat_store_dword v[0:1], v2 offset:3072
	flat_store_dword v[0:1], v3 offset:2048
	;; [unrolled: 1-line block ×3, first 2 shown]
	flat_store_dword v[0:1], v5
	v_add_co_u32_e32 v0, vcc, s4, v12
	s_movk_i32 s4, 0xdffc
	s_nop 0
	v_addc_co_u32_e32 v1, vcc, -1, v13, vcc
	flat_store_dword v[0:1], v6 offset:3072
	flat_store_dword v[0:1], v7 offset:2048
	;; [unrolled: 1-line block ×3, first 2 shown]
	flat_store_dword v[0:1], v9
	v_add_co_u32_e32 v0, vcc, s4, v12
	s_or_b64 s[2:3], s[2:3], exec
	s_nop 0
	v_addc_co_u32_e32 v1, vcc, -1, v13, vcc
	flat_store_dword v[0:1], v10
	v_add_co_u32_e32 v0, vcc, 0xffffdbfc, v12
	s_nop 1
	v_addc_co_u32_e32 v1, vcc, -1, v13, vcc
	flat_store_dword v[0:1], v11
	v_add_co_u32_e32 v0, vcc, 0xffffd7fc, v12
	s_nop 1
	v_addc_co_u32_e32 v1, vcc, -1, v13, vcc
	flat_store_dword v[0:1], v26
.LBB83_181:
	s_and_saveexec_b64 s[4:5], s[2:3]
	s_cbranch_execz .LBB83_183
; %bb.182:
	v_lshl_add_u64 v[0:1], v[16:17], 2, s[0:1]
	v_add_co_u32_e32 v0, vcc, 0xffffd3fc, v0
	s_nop 1
	v_addc_co_u32_e32 v1, vcc, -1, v1, vcc
	flat_store_dword v[0:1], v27
	s_endpgm
.LBB83_183:
	s_endpgm
	.section	.rodata,"a",@progbits
	.p2align	6, 0x0
	.amdhsa_kernel _ZN7rocprim17ROCPRIM_400000_NS6detail17trampoline_kernelINS0_14default_configENS1_27scan_by_key_config_selectorIiiEEZZNS1_16scan_by_key_implILNS1_25lookback_scan_determinismE0ELb0ES3_N6thrust23THRUST_200600_302600_NS16reverse_iteratorIPKiEESD_NSA_IPiEEiN6hipcub16HIPCUB_304000_NS3MaxENSH_8EqualityEiEE10hipError_tPvRmT2_T3_T4_T5_mT6_T7_P12ihipStream_tbENKUlT_T0_E_clISt17integral_constantIbLb0EESZ_IbLb1EEEEDaSV_SW_EUlSV_E_NS1_11comp_targetILNS1_3genE0ELNS1_11target_archE4294967295ELNS1_3gpuE0ELNS1_3repE0EEENS1_30default_config_static_selectorELNS0_4arch9wavefront6targetE1EEEvT1_
		.amdhsa_group_segment_fixed_size 14336
		.amdhsa_private_segment_fixed_size 0
		.amdhsa_kernarg_size 112
		.amdhsa_user_sgpr_count 2
		.amdhsa_user_sgpr_dispatch_ptr 0
		.amdhsa_user_sgpr_queue_ptr 0
		.amdhsa_user_sgpr_kernarg_segment_ptr 1
		.amdhsa_user_sgpr_dispatch_id 0
		.amdhsa_user_sgpr_kernarg_preload_length 0
		.amdhsa_user_sgpr_kernarg_preload_offset 0
		.amdhsa_user_sgpr_private_segment_size 0
		.amdhsa_uses_dynamic_stack 0
		.amdhsa_enable_private_segment 0
		.amdhsa_system_sgpr_workgroup_id_x 1
		.amdhsa_system_sgpr_workgroup_id_y 0
		.amdhsa_system_sgpr_workgroup_id_z 0
		.amdhsa_system_sgpr_workgroup_info 0
		.amdhsa_system_vgpr_workitem_id 0
		.amdhsa_next_free_vgpr 60
		.amdhsa_next_free_sgpr 61
		.amdhsa_accum_offset 60
		.amdhsa_reserve_vcc 1
		.amdhsa_float_round_mode_32 0
		.amdhsa_float_round_mode_16_64 0
		.amdhsa_float_denorm_mode_32 3
		.amdhsa_float_denorm_mode_16_64 3
		.amdhsa_dx10_clamp 1
		.amdhsa_ieee_mode 1
		.amdhsa_fp16_overflow 0
		.amdhsa_tg_split 0
		.amdhsa_exception_fp_ieee_invalid_op 0
		.amdhsa_exception_fp_denorm_src 0
		.amdhsa_exception_fp_ieee_div_zero 0
		.amdhsa_exception_fp_ieee_overflow 0
		.amdhsa_exception_fp_ieee_underflow 0
		.amdhsa_exception_fp_ieee_inexact 0
		.amdhsa_exception_int_div_zero 0
	.end_amdhsa_kernel
	.section	.text._ZN7rocprim17ROCPRIM_400000_NS6detail17trampoline_kernelINS0_14default_configENS1_27scan_by_key_config_selectorIiiEEZZNS1_16scan_by_key_implILNS1_25lookback_scan_determinismE0ELb0ES3_N6thrust23THRUST_200600_302600_NS16reverse_iteratorIPKiEESD_NSA_IPiEEiN6hipcub16HIPCUB_304000_NS3MaxENSH_8EqualityEiEE10hipError_tPvRmT2_T3_T4_T5_mT6_T7_P12ihipStream_tbENKUlT_T0_E_clISt17integral_constantIbLb0EESZ_IbLb1EEEEDaSV_SW_EUlSV_E_NS1_11comp_targetILNS1_3genE0ELNS1_11target_archE4294967295ELNS1_3gpuE0ELNS1_3repE0EEENS1_30default_config_static_selectorELNS0_4arch9wavefront6targetE1EEEvT1_,"axG",@progbits,_ZN7rocprim17ROCPRIM_400000_NS6detail17trampoline_kernelINS0_14default_configENS1_27scan_by_key_config_selectorIiiEEZZNS1_16scan_by_key_implILNS1_25lookback_scan_determinismE0ELb0ES3_N6thrust23THRUST_200600_302600_NS16reverse_iteratorIPKiEESD_NSA_IPiEEiN6hipcub16HIPCUB_304000_NS3MaxENSH_8EqualityEiEE10hipError_tPvRmT2_T3_T4_T5_mT6_T7_P12ihipStream_tbENKUlT_T0_E_clISt17integral_constantIbLb0EESZ_IbLb1EEEEDaSV_SW_EUlSV_E_NS1_11comp_targetILNS1_3genE0ELNS1_11target_archE4294967295ELNS1_3gpuE0ELNS1_3repE0EEENS1_30default_config_static_selectorELNS0_4arch9wavefront6targetE1EEEvT1_,comdat
.Lfunc_end83:
	.size	_ZN7rocprim17ROCPRIM_400000_NS6detail17trampoline_kernelINS0_14default_configENS1_27scan_by_key_config_selectorIiiEEZZNS1_16scan_by_key_implILNS1_25lookback_scan_determinismE0ELb0ES3_N6thrust23THRUST_200600_302600_NS16reverse_iteratorIPKiEESD_NSA_IPiEEiN6hipcub16HIPCUB_304000_NS3MaxENSH_8EqualityEiEE10hipError_tPvRmT2_T3_T4_T5_mT6_T7_P12ihipStream_tbENKUlT_T0_E_clISt17integral_constantIbLb0EESZ_IbLb1EEEEDaSV_SW_EUlSV_E_NS1_11comp_targetILNS1_3genE0ELNS1_11target_archE4294967295ELNS1_3gpuE0ELNS1_3repE0EEENS1_30default_config_static_selectorELNS0_4arch9wavefront6targetE1EEEvT1_, .Lfunc_end83-_ZN7rocprim17ROCPRIM_400000_NS6detail17trampoline_kernelINS0_14default_configENS1_27scan_by_key_config_selectorIiiEEZZNS1_16scan_by_key_implILNS1_25lookback_scan_determinismE0ELb0ES3_N6thrust23THRUST_200600_302600_NS16reverse_iteratorIPKiEESD_NSA_IPiEEiN6hipcub16HIPCUB_304000_NS3MaxENSH_8EqualityEiEE10hipError_tPvRmT2_T3_T4_T5_mT6_T7_P12ihipStream_tbENKUlT_T0_E_clISt17integral_constantIbLb0EESZ_IbLb1EEEEDaSV_SW_EUlSV_E_NS1_11comp_targetILNS1_3genE0ELNS1_11target_archE4294967295ELNS1_3gpuE0ELNS1_3repE0EEENS1_30default_config_static_selectorELNS0_4arch9wavefront6targetE1EEEvT1_
                                        ; -- End function
	.set _ZN7rocprim17ROCPRIM_400000_NS6detail17trampoline_kernelINS0_14default_configENS1_27scan_by_key_config_selectorIiiEEZZNS1_16scan_by_key_implILNS1_25lookback_scan_determinismE0ELb0ES3_N6thrust23THRUST_200600_302600_NS16reverse_iteratorIPKiEESD_NSA_IPiEEiN6hipcub16HIPCUB_304000_NS3MaxENSH_8EqualityEiEE10hipError_tPvRmT2_T3_T4_T5_mT6_T7_P12ihipStream_tbENKUlT_T0_E_clISt17integral_constantIbLb0EESZ_IbLb1EEEEDaSV_SW_EUlSV_E_NS1_11comp_targetILNS1_3genE0ELNS1_11target_archE4294967295ELNS1_3gpuE0ELNS1_3repE0EEENS1_30default_config_static_selectorELNS0_4arch9wavefront6targetE1EEEvT1_.num_vgpr, 60
	.set _ZN7rocprim17ROCPRIM_400000_NS6detail17trampoline_kernelINS0_14default_configENS1_27scan_by_key_config_selectorIiiEEZZNS1_16scan_by_key_implILNS1_25lookback_scan_determinismE0ELb0ES3_N6thrust23THRUST_200600_302600_NS16reverse_iteratorIPKiEESD_NSA_IPiEEiN6hipcub16HIPCUB_304000_NS3MaxENSH_8EqualityEiEE10hipError_tPvRmT2_T3_T4_T5_mT6_T7_P12ihipStream_tbENKUlT_T0_E_clISt17integral_constantIbLb0EESZ_IbLb1EEEEDaSV_SW_EUlSV_E_NS1_11comp_targetILNS1_3genE0ELNS1_11target_archE4294967295ELNS1_3gpuE0ELNS1_3repE0EEENS1_30default_config_static_selectorELNS0_4arch9wavefront6targetE1EEEvT1_.num_agpr, 0
	.set _ZN7rocprim17ROCPRIM_400000_NS6detail17trampoline_kernelINS0_14default_configENS1_27scan_by_key_config_selectorIiiEEZZNS1_16scan_by_key_implILNS1_25lookback_scan_determinismE0ELb0ES3_N6thrust23THRUST_200600_302600_NS16reverse_iteratorIPKiEESD_NSA_IPiEEiN6hipcub16HIPCUB_304000_NS3MaxENSH_8EqualityEiEE10hipError_tPvRmT2_T3_T4_T5_mT6_T7_P12ihipStream_tbENKUlT_T0_E_clISt17integral_constantIbLb0EESZ_IbLb1EEEEDaSV_SW_EUlSV_E_NS1_11comp_targetILNS1_3genE0ELNS1_11target_archE4294967295ELNS1_3gpuE0ELNS1_3repE0EEENS1_30default_config_static_selectorELNS0_4arch9wavefront6targetE1EEEvT1_.numbered_sgpr, 61
	.set _ZN7rocprim17ROCPRIM_400000_NS6detail17trampoline_kernelINS0_14default_configENS1_27scan_by_key_config_selectorIiiEEZZNS1_16scan_by_key_implILNS1_25lookback_scan_determinismE0ELb0ES3_N6thrust23THRUST_200600_302600_NS16reverse_iteratorIPKiEESD_NSA_IPiEEiN6hipcub16HIPCUB_304000_NS3MaxENSH_8EqualityEiEE10hipError_tPvRmT2_T3_T4_T5_mT6_T7_P12ihipStream_tbENKUlT_T0_E_clISt17integral_constantIbLb0EESZ_IbLb1EEEEDaSV_SW_EUlSV_E_NS1_11comp_targetILNS1_3genE0ELNS1_11target_archE4294967295ELNS1_3gpuE0ELNS1_3repE0EEENS1_30default_config_static_selectorELNS0_4arch9wavefront6targetE1EEEvT1_.num_named_barrier, 0
	.set _ZN7rocprim17ROCPRIM_400000_NS6detail17trampoline_kernelINS0_14default_configENS1_27scan_by_key_config_selectorIiiEEZZNS1_16scan_by_key_implILNS1_25lookback_scan_determinismE0ELb0ES3_N6thrust23THRUST_200600_302600_NS16reverse_iteratorIPKiEESD_NSA_IPiEEiN6hipcub16HIPCUB_304000_NS3MaxENSH_8EqualityEiEE10hipError_tPvRmT2_T3_T4_T5_mT6_T7_P12ihipStream_tbENKUlT_T0_E_clISt17integral_constantIbLb0EESZ_IbLb1EEEEDaSV_SW_EUlSV_E_NS1_11comp_targetILNS1_3genE0ELNS1_11target_archE4294967295ELNS1_3gpuE0ELNS1_3repE0EEENS1_30default_config_static_selectorELNS0_4arch9wavefront6targetE1EEEvT1_.private_seg_size, 0
	.set _ZN7rocprim17ROCPRIM_400000_NS6detail17trampoline_kernelINS0_14default_configENS1_27scan_by_key_config_selectorIiiEEZZNS1_16scan_by_key_implILNS1_25lookback_scan_determinismE0ELb0ES3_N6thrust23THRUST_200600_302600_NS16reverse_iteratorIPKiEESD_NSA_IPiEEiN6hipcub16HIPCUB_304000_NS3MaxENSH_8EqualityEiEE10hipError_tPvRmT2_T3_T4_T5_mT6_T7_P12ihipStream_tbENKUlT_T0_E_clISt17integral_constantIbLb0EESZ_IbLb1EEEEDaSV_SW_EUlSV_E_NS1_11comp_targetILNS1_3genE0ELNS1_11target_archE4294967295ELNS1_3gpuE0ELNS1_3repE0EEENS1_30default_config_static_selectorELNS0_4arch9wavefront6targetE1EEEvT1_.uses_vcc, 1
	.set _ZN7rocprim17ROCPRIM_400000_NS6detail17trampoline_kernelINS0_14default_configENS1_27scan_by_key_config_selectorIiiEEZZNS1_16scan_by_key_implILNS1_25lookback_scan_determinismE0ELb0ES3_N6thrust23THRUST_200600_302600_NS16reverse_iteratorIPKiEESD_NSA_IPiEEiN6hipcub16HIPCUB_304000_NS3MaxENSH_8EqualityEiEE10hipError_tPvRmT2_T3_T4_T5_mT6_T7_P12ihipStream_tbENKUlT_T0_E_clISt17integral_constantIbLb0EESZ_IbLb1EEEEDaSV_SW_EUlSV_E_NS1_11comp_targetILNS1_3genE0ELNS1_11target_archE4294967295ELNS1_3gpuE0ELNS1_3repE0EEENS1_30default_config_static_selectorELNS0_4arch9wavefront6targetE1EEEvT1_.uses_flat_scratch, 0
	.set _ZN7rocprim17ROCPRIM_400000_NS6detail17trampoline_kernelINS0_14default_configENS1_27scan_by_key_config_selectorIiiEEZZNS1_16scan_by_key_implILNS1_25lookback_scan_determinismE0ELb0ES3_N6thrust23THRUST_200600_302600_NS16reverse_iteratorIPKiEESD_NSA_IPiEEiN6hipcub16HIPCUB_304000_NS3MaxENSH_8EqualityEiEE10hipError_tPvRmT2_T3_T4_T5_mT6_T7_P12ihipStream_tbENKUlT_T0_E_clISt17integral_constantIbLb0EESZ_IbLb1EEEEDaSV_SW_EUlSV_E_NS1_11comp_targetILNS1_3genE0ELNS1_11target_archE4294967295ELNS1_3gpuE0ELNS1_3repE0EEENS1_30default_config_static_selectorELNS0_4arch9wavefront6targetE1EEEvT1_.has_dyn_sized_stack, 0
	.set _ZN7rocprim17ROCPRIM_400000_NS6detail17trampoline_kernelINS0_14default_configENS1_27scan_by_key_config_selectorIiiEEZZNS1_16scan_by_key_implILNS1_25lookback_scan_determinismE0ELb0ES3_N6thrust23THRUST_200600_302600_NS16reverse_iteratorIPKiEESD_NSA_IPiEEiN6hipcub16HIPCUB_304000_NS3MaxENSH_8EqualityEiEE10hipError_tPvRmT2_T3_T4_T5_mT6_T7_P12ihipStream_tbENKUlT_T0_E_clISt17integral_constantIbLb0EESZ_IbLb1EEEEDaSV_SW_EUlSV_E_NS1_11comp_targetILNS1_3genE0ELNS1_11target_archE4294967295ELNS1_3gpuE0ELNS1_3repE0EEENS1_30default_config_static_selectorELNS0_4arch9wavefront6targetE1EEEvT1_.has_recursion, 0
	.set _ZN7rocprim17ROCPRIM_400000_NS6detail17trampoline_kernelINS0_14default_configENS1_27scan_by_key_config_selectorIiiEEZZNS1_16scan_by_key_implILNS1_25lookback_scan_determinismE0ELb0ES3_N6thrust23THRUST_200600_302600_NS16reverse_iteratorIPKiEESD_NSA_IPiEEiN6hipcub16HIPCUB_304000_NS3MaxENSH_8EqualityEiEE10hipError_tPvRmT2_T3_T4_T5_mT6_T7_P12ihipStream_tbENKUlT_T0_E_clISt17integral_constantIbLb0EESZ_IbLb1EEEEDaSV_SW_EUlSV_E_NS1_11comp_targetILNS1_3genE0ELNS1_11target_archE4294967295ELNS1_3gpuE0ELNS1_3repE0EEENS1_30default_config_static_selectorELNS0_4arch9wavefront6targetE1EEEvT1_.has_indirect_call, 0
	.section	.AMDGPU.csdata,"",@progbits
; Kernel info:
; codeLenInByte = 11752
; TotalNumSgprs: 67
; NumVgprs: 60
; NumAgprs: 0
; TotalNumVgprs: 60
; ScratchSize: 0
; MemoryBound: 0
; FloatMode: 240
; IeeeMode: 1
; LDSByteSize: 14336 bytes/workgroup (compile time only)
; SGPRBlocks: 8
; VGPRBlocks: 7
; NumSGPRsForWavesPerEU: 67
; NumVGPRsForWavesPerEU: 60
; AccumOffset: 60
; Occupancy: 8
; WaveLimiterHint : 1
; COMPUTE_PGM_RSRC2:SCRATCH_EN: 0
; COMPUTE_PGM_RSRC2:USER_SGPR: 2
; COMPUTE_PGM_RSRC2:TRAP_HANDLER: 0
; COMPUTE_PGM_RSRC2:TGID_X_EN: 1
; COMPUTE_PGM_RSRC2:TGID_Y_EN: 0
; COMPUTE_PGM_RSRC2:TGID_Z_EN: 0
; COMPUTE_PGM_RSRC2:TIDIG_COMP_CNT: 0
; COMPUTE_PGM_RSRC3_GFX90A:ACCUM_OFFSET: 14
; COMPUTE_PGM_RSRC3_GFX90A:TG_SPLIT: 0
	.section	.text._ZN7rocprim17ROCPRIM_400000_NS6detail17trampoline_kernelINS0_14default_configENS1_27scan_by_key_config_selectorIiiEEZZNS1_16scan_by_key_implILNS1_25lookback_scan_determinismE0ELb0ES3_N6thrust23THRUST_200600_302600_NS16reverse_iteratorIPKiEESD_NSA_IPiEEiN6hipcub16HIPCUB_304000_NS3MaxENSH_8EqualityEiEE10hipError_tPvRmT2_T3_T4_T5_mT6_T7_P12ihipStream_tbENKUlT_T0_E_clISt17integral_constantIbLb0EESZ_IbLb1EEEEDaSV_SW_EUlSV_E_NS1_11comp_targetILNS1_3genE10ELNS1_11target_archE1201ELNS1_3gpuE5ELNS1_3repE0EEENS1_30default_config_static_selectorELNS0_4arch9wavefront6targetE1EEEvT1_,"axG",@progbits,_ZN7rocprim17ROCPRIM_400000_NS6detail17trampoline_kernelINS0_14default_configENS1_27scan_by_key_config_selectorIiiEEZZNS1_16scan_by_key_implILNS1_25lookback_scan_determinismE0ELb0ES3_N6thrust23THRUST_200600_302600_NS16reverse_iteratorIPKiEESD_NSA_IPiEEiN6hipcub16HIPCUB_304000_NS3MaxENSH_8EqualityEiEE10hipError_tPvRmT2_T3_T4_T5_mT6_T7_P12ihipStream_tbENKUlT_T0_E_clISt17integral_constantIbLb0EESZ_IbLb1EEEEDaSV_SW_EUlSV_E_NS1_11comp_targetILNS1_3genE10ELNS1_11target_archE1201ELNS1_3gpuE5ELNS1_3repE0EEENS1_30default_config_static_selectorELNS0_4arch9wavefront6targetE1EEEvT1_,comdat
	.protected	_ZN7rocprim17ROCPRIM_400000_NS6detail17trampoline_kernelINS0_14default_configENS1_27scan_by_key_config_selectorIiiEEZZNS1_16scan_by_key_implILNS1_25lookback_scan_determinismE0ELb0ES3_N6thrust23THRUST_200600_302600_NS16reverse_iteratorIPKiEESD_NSA_IPiEEiN6hipcub16HIPCUB_304000_NS3MaxENSH_8EqualityEiEE10hipError_tPvRmT2_T3_T4_T5_mT6_T7_P12ihipStream_tbENKUlT_T0_E_clISt17integral_constantIbLb0EESZ_IbLb1EEEEDaSV_SW_EUlSV_E_NS1_11comp_targetILNS1_3genE10ELNS1_11target_archE1201ELNS1_3gpuE5ELNS1_3repE0EEENS1_30default_config_static_selectorELNS0_4arch9wavefront6targetE1EEEvT1_ ; -- Begin function _ZN7rocprim17ROCPRIM_400000_NS6detail17trampoline_kernelINS0_14default_configENS1_27scan_by_key_config_selectorIiiEEZZNS1_16scan_by_key_implILNS1_25lookback_scan_determinismE0ELb0ES3_N6thrust23THRUST_200600_302600_NS16reverse_iteratorIPKiEESD_NSA_IPiEEiN6hipcub16HIPCUB_304000_NS3MaxENSH_8EqualityEiEE10hipError_tPvRmT2_T3_T4_T5_mT6_T7_P12ihipStream_tbENKUlT_T0_E_clISt17integral_constantIbLb0EESZ_IbLb1EEEEDaSV_SW_EUlSV_E_NS1_11comp_targetILNS1_3genE10ELNS1_11target_archE1201ELNS1_3gpuE5ELNS1_3repE0EEENS1_30default_config_static_selectorELNS0_4arch9wavefront6targetE1EEEvT1_
	.globl	_ZN7rocprim17ROCPRIM_400000_NS6detail17trampoline_kernelINS0_14default_configENS1_27scan_by_key_config_selectorIiiEEZZNS1_16scan_by_key_implILNS1_25lookback_scan_determinismE0ELb0ES3_N6thrust23THRUST_200600_302600_NS16reverse_iteratorIPKiEESD_NSA_IPiEEiN6hipcub16HIPCUB_304000_NS3MaxENSH_8EqualityEiEE10hipError_tPvRmT2_T3_T4_T5_mT6_T7_P12ihipStream_tbENKUlT_T0_E_clISt17integral_constantIbLb0EESZ_IbLb1EEEEDaSV_SW_EUlSV_E_NS1_11comp_targetILNS1_3genE10ELNS1_11target_archE1201ELNS1_3gpuE5ELNS1_3repE0EEENS1_30default_config_static_selectorELNS0_4arch9wavefront6targetE1EEEvT1_
	.p2align	8
	.type	_ZN7rocprim17ROCPRIM_400000_NS6detail17trampoline_kernelINS0_14default_configENS1_27scan_by_key_config_selectorIiiEEZZNS1_16scan_by_key_implILNS1_25lookback_scan_determinismE0ELb0ES3_N6thrust23THRUST_200600_302600_NS16reverse_iteratorIPKiEESD_NSA_IPiEEiN6hipcub16HIPCUB_304000_NS3MaxENSH_8EqualityEiEE10hipError_tPvRmT2_T3_T4_T5_mT6_T7_P12ihipStream_tbENKUlT_T0_E_clISt17integral_constantIbLb0EESZ_IbLb1EEEEDaSV_SW_EUlSV_E_NS1_11comp_targetILNS1_3genE10ELNS1_11target_archE1201ELNS1_3gpuE5ELNS1_3repE0EEENS1_30default_config_static_selectorELNS0_4arch9wavefront6targetE1EEEvT1_,@function
_ZN7rocprim17ROCPRIM_400000_NS6detail17trampoline_kernelINS0_14default_configENS1_27scan_by_key_config_selectorIiiEEZZNS1_16scan_by_key_implILNS1_25lookback_scan_determinismE0ELb0ES3_N6thrust23THRUST_200600_302600_NS16reverse_iteratorIPKiEESD_NSA_IPiEEiN6hipcub16HIPCUB_304000_NS3MaxENSH_8EqualityEiEE10hipError_tPvRmT2_T3_T4_T5_mT6_T7_P12ihipStream_tbENKUlT_T0_E_clISt17integral_constantIbLb0EESZ_IbLb1EEEEDaSV_SW_EUlSV_E_NS1_11comp_targetILNS1_3genE10ELNS1_11target_archE1201ELNS1_3gpuE5ELNS1_3repE0EEENS1_30default_config_static_selectorELNS0_4arch9wavefront6targetE1EEEvT1_: ; @_ZN7rocprim17ROCPRIM_400000_NS6detail17trampoline_kernelINS0_14default_configENS1_27scan_by_key_config_selectorIiiEEZZNS1_16scan_by_key_implILNS1_25lookback_scan_determinismE0ELb0ES3_N6thrust23THRUST_200600_302600_NS16reverse_iteratorIPKiEESD_NSA_IPiEEiN6hipcub16HIPCUB_304000_NS3MaxENSH_8EqualityEiEE10hipError_tPvRmT2_T3_T4_T5_mT6_T7_P12ihipStream_tbENKUlT_T0_E_clISt17integral_constantIbLb0EESZ_IbLb1EEEEDaSV_SW_EUlSV_E_NS1_11comp_targetILNS1_3genE10ELNS1_11target_archE1201ELNS1_3gpuE5ELNS1_3repE0EEENS1_30default_config_static_selectorELNS0_4arch9wavefront6targetE1EEEvT1_
; %bb.0:
	.section	.rodata,"a",@progbits
	.p2align	6, 0x0
	.amdhsa_kernel _ZN7rocprim17ROCPRIM_400000_NS6detail17trampoline_kernelINS0_14default_configENS1_27scan_by_key_config_selectorIiiEEZZNS1_16scan_by_key_implILNS1_25lookback_scan_determinismE0ELb0ES3_N6thrust23THRUST_200600_302600_NS16reverse_iteratorIPKiEESD_NSA_IPiEEiN6hipcub16HIPCUB_304000_NS3MaxENSH_8EqualityEiEE10hipError_tPvRmT2_T3_T4_T5_mT6_T7_P12ihipStream_tbENKUlT_T0_E_clISt17integral_constantIbLb0EESZ_IbLb1EEEEDaSV_SW_EUlSV_E_NS1_11comp_targetILNS1_3genE10ELNS1_11target_archE1201ELNS1_3gpuE5ELNS1_3repE0EEENS1_30default_config_static_selectorELNS0_4arch9wavefront6targetE1EEEvT1_
		.amdhsa_group_segment_fixed_size 0
		.amdhsa_private_segment_fixed_size 0
		.amdhsa_kernarg_size 112
		.amdhsa_user_sgpr_count 2
		.amdhsa_user_sgpr_dispatch_ptr 0
		.amdhsa_user_sgpr_queue_ptr 0
		.amdhsa_user_sgpr_kernarg_segment_ptr 1
		.amdhsa_user_sgpr_dispatch_id 0
		.amdhsa_user_sgpr_kernarg_preload_length 0
		.amdhsa_user_sgpr_kernarg_preload_offset 0
		.amdhsa_user_sgpr_private_segment_size 0
		.amdhsa_uses_dynamic_stack 0
		.amdhsa_enable_private_segment 0
		.amdhsa_system_sgpr_workgroup_id_x 1
		.amdhsa_system_sgpr_workgroup_id_y 0
		.amdhsa_system_sgpr_workgroup_id_z 0
		.amdhsa_system_sgpr_workgroup_info 0
		.amdhsa_system_vgpr_workitem_id 0
		.amdhsa_next_free_vgpr 1
		.amdhsa_next_free_sgpr 0
		.amdhsa_accum_offset 4
		.amdhsa_reserve_vcc 0
		.amdhsa_float_round_mode_32 0
		.amdhsa_float_round_mode_16_64 0
		.amdhsa_float_denorm_mode_32 3
		.amdhsa_float_denorm_mode_16_64 3
		.amdhsa_dx10_clamp 1
		.amdhsa_ieee_mode 1
		.amdhsa_fp16_overflow 0
		.amdhsa_tg_split 0
		.amdhsa_exception_fp_ieee_invalid_op 0
		.amdhsa_exception_fp_denorm_src 0
		.amdhsa_exception_fp_ieee_div_zero 0
		.amdhsa_exception_fp_ieee_overflow 0
		.amdhsa_exception_fp_ieee_underflow 0
		.amdhsa_exception_fp_ieee_inexact 0
		.amdhsa_exception_int_div_zero 0
	.end_amdhsa_kernel
	.section	.text._ZN7rocprim17ROCPRIM_400000_NS6detail17trampoline_kernelINS0_14default_configENS1_27scan_by_key_config_selectorIiiEEZZNS1_16scan_by_key_implILNS1_25lookback_scan_determinismE0ELb0ES3_N6thrust23THRUST_200600_302600_NS16reverse_iteratorIPKiEESD_NSA_IPiEEiN6hipcub16HIPCUB_304000_NS3MaxENSH_8EqualityEiEE10hipError_tPvRmT2_T3_T4_T5_mT6_T7_P12ihipStream_tbENKUlT_T0_E_clISt17integral_constantIbLb0EESZ_IbLb1EEEEDaSV_SW_EUlSV_E_NS1_11comp_targetILNS1_3genE10ELNS1_11target_archE1201ELNS1_3gpuE5ELNS1_3repE0EEENS1_30default_config_static_selectorELNS0_4arch9wavefront6targetE1EEEvT1_,"axG",@progbits,_ZN7rocprim17ROCPRIM_400000_NS6detail17trampoline_kernelINS0_14default_configENS1_27scan_by_key_config_selectorIiiEEZZNS1_16scan_by_key_implILNS1_25lookback_scan_determinismE0ELb0ES3_N6thrust23THRUST_200600_302600_NS16reverse_iteratorIPKiEESD_NSA_IPiEEiN6hipcub16HIPCUB_304000_NS3MaxENSH_8EqualityEiEE10hipError_tPvRmT2_T3_T4_T5_mT6_T7_P12ihipStream_tbENKUlT_T0_E_clISt17integral_constantIbLb0EESZ_IbLb1EEEEDaSV_SW_EUlSV_E_NS1_11comp_targetILNS1_3genE10ELNS1_11target_archE1201ELNS1_3gpuE5ELNS1_3repE0EEENS1_30default_config_static_selectorELNS0_4arch9wavefront6targetE1EEEvT1_,comdat
.Lfunc_end84:
	.size	_ZN7rocprim17ROCPRIM_400000_NS6detail17trampoline_kernelINS0_14default_configENS1_27scan_by_key_config_selectorIiiEEZZNS1_16scan_by_key_implILNS1_25lookback_scan_determinismE0ELb0ES3_N6thrust23THRUST_200600_302600_NS16reverse_iteratorIPKiEESD_NSA_IPiEEiN6hipcub16HIPCUB_304000_NS3MaxENSH_8EqualityEiEE10hipError_tPvRmT2_T3_T4_T5_mT6_T7_P12ihipStream_tbENKUlT_T0_E_clISt17integral_constantIbLb0EESZ_IbLb1EEEEDaSV_SW_EUlSV_E_NS1_11comp_targetILNS1_3genE10ELNS1_11target_archE1201ELNS1_3gpuE5ELNS1_3repE0EEENS1_30default_config_static_selectorELNS0_4arch9wavefront6targetE1EEEvT1_, .Lfunc_end84-_ZN7rocprim17ROCPRIM_400000_NS6detail17trampoline_kernelINS0_14default_configENS1_27scan_by_key_config_selectorIiiEEZZNS1_16scan_by_key_implILNS1_25lookback_scan_determinismE0ELb0ES3_N6thrust23THRUST_200600_302600_NS16reverse_iteratorIPKiEESD_NSA_IPiEEiN6hipcub16HIPCUB_304000_NS3MaxENSH_8EqualityEiEE10hipError_tPvRmT2_T3_T4_T5_mT6_T7_P12ihipStream_tbENKUlT_T0_E_clISt17integral_constantIbLb0EESZ_IbLb1EEEEDaSV_SW_EUlSV_E_NS1_11comp_targetILNS1_3genE10ELNS1_11target_archE1201ELNS1_3gpuE5ELNS1_3repE0EEENS1_30default_config_static_selectorELNS0_4arch9wavefront6targetE1EEEvT1_
                                        ; -- End function
	.set _ZN7rocprim17ROCPRIM_400000_NS6detail17trampoline_kernelINS0_14default_configENS1_27scan_by_key_config_selectorIiiEEZZNS1_16scan_by_key_implILNS1_25lookback_scan_determinismE0ELb0ES3_N6thrust23THRUST_200600_302600_NS16reverse_iteratorIPKiEESD_NSA_IPiEEiN6hipcub16HIPCUB_304000_NS3MaxENSH_8EqualityEiEE10hipError_tPvRmT2_T3_T4_T5_mT6_T7_P12ihipStream_tbENKUlT_T0_E_clISt17integral_constantIbLb0EESZ_IbLb1EEEEDaSV_SW_EUlSV_E_NS1_11comp_targetILNS1_3genE10ELNS1_11target_archE1201ELNS1_3gpuE5ELNS1_3repE0EEENS1_30default_config_static_selectorELNS0_4arch9wavefront6targetE1EEEvT1_.num_vgpr, 0
	.set _ZN7rocprim17ROCPRIM_400000_NS6detail17trampoline_kernelINS0_14default_configENS1_27scan_by_key_config_selectorIiiEEZZNS1_16scan_by_key_implILNS1_25lookback_scan_determinismE0ELb0ES3_N6thrust23THRUST_200600_302600_NS16reverse_iteratorIPKiEESD_NSA_IPiEEiN6hipcub16HIPCUB_304000_NS3MaxENSH_8EqualityEiEE10hipError_tPvRmT2_T3_T4_T5_mT6_T7_P12ihipStream_tbENKUlT_T0_E_clISt17integral_constantIbLb0EESZ_IbLb1EEEEDaSV_SW_EUlSV_E_NS1_11comp_targetILNS1_3genE10ELNS1_11target_archE1201ELNS1_3gpuE5ELNS1_3repE0EEENS1_30default_config_static_selectorELNS0_4arch9wavefront6targetE1EEEvT1_.num_agpr, 0
	.set _ZN7rocprim17ROCPRIM_400000_NS6detail17trampoline_kernelINS0_14default_configENS1_27scan_by_key_config_selectorIiiEEZZNS1_16scan_by_key_implILNS1_25lookback_scan_determinismE0ELb0ES3_N6thrust23THRUST_200600_302600_NS16reverse_iteratorIPKiEESD_NSA_IPiEEiN6hipcub16HIPCUB_304000_NS3MaxENSH_8EqualityEiEE10hipError_tPvRmT2_T3_T4_T5_mT6_T7_P12ihipStream_tbENKUlT_T0_E_clISt17integral_constantIbLb0EESZ_IbLb1EEEEDaSV_SW_EUlSV_E_NS1_11comp_targetILNS1_3genE10ELNS1_11target_archE1201ELNS1_3gpuE5ELNS1_3repE0EEENS1_30default_config_static_selectorELNS0_4arch9wavefront6targetE1EEEvT1_.numbered_sgpr, 0
	.set _ZN7rocprim17ROCPRIM_400000_NS6detail17trampoline_kernelINS0_14default_configENS1_27scan_by_key_config_selectorIiiEEZZNS1_16scan_by_key_implILNS1_25lookback_scan_determinismE0ELb0ES3_N6thrust23THRUST_200600_302600_NS16reverse_iteratorIPKiEESD_NSA_IPiEEiN6hipcub16HIPCUB_304000_NS3MaxENSH_8EqualityEiEE10hipError_tPvRmT2_T3_T4_T5_mT6_T7_P12ihipStream_tbENKUlT_T0_E_clISt17integral_constantIbLb0EESZ_IbLb1EEEEDaSV_SW_EUlSV_E_NS1_11comp_targetILNS1_3genE10ELNS1_11target_archE1201ELNS1_3gpuE5ELNS1_3repE0EEENS1_30default_config_static_selectorELNS0_4arch9wavefront6targetE1EEEvT1_.num_named_barrier, 0
	.set _ZN7rocprim17ROCPRIM_400000_NS6detail17trampoline_kernelINS0_14default_configENS1_27scan_by_key_config_selectorIiiEEZZNS1_16scan_by_key_implILNS1_25lookback_scan_determinismE0ELb0ES3_N6thrust23THRUST_200600_302600_NS16reverse_iteratorIPKiEESD_NSA_IPiEEiN6hipcub16HIPCUB_304000_NS3MaxENSH_8EqualityEiEE10hipError_tPvRmT2_T3_T4_T5_mT6_T7_P12ihipStream_tbENKUlT_T0_E_clISt17integral_constantIbLb0EESZ_IbLb1EEEEDaSV_SW_EUlSV_E_NS1_11comp_targetILNS1_3genE10ELNS1_11target_archE1201ELNS1_3gpuE5ELNS1_3repE0EEENS1_30default_config_static_selectorELNS0_4arch9wavefront6targetE1EEEvT1_.private_seg_size, 0
	.set _ZN7rocprim17ROCPRIM_400000_NS6detail17trampoline_kernelINS0_14default_configENS1_27scan_by_key_config_selectorIiiEEZZNS1_16scan_by_key_implILNS1_25lookback_scan_determinismE0ELb0ES3_N6thrust23THRUST_200600_302600_NS16reverse_iteratorIPKiEESD_NSA_IPiEEiN6hipcub16HIPCUB_304000_NS3MaxENSH_8EqualityEiEE10hipError_tPvRmT2_T3_T4_T5_mT6_T7_P12ihipStream_tbENKUlT_T0_E_clISt17integral_constantIbLb0EESZ_IbLb1EEEEDaSV_SW_EUlSV_E_NS1_11comp_targetILNS1_3genE10ELNS1_11target_archE1201ELNS1_3gpuE5ELNS1_3repE0EEENS1_30default_config_static_selectorELNS0_4arch9wavefront6targetE1EEEvT1_.uses_vcc, 0
	.set _ZN7rocprim17ROCPRIM_400000_NS6detail17trampoline_kernelINS0_14default_configENS1_27scan_by_key_config_selectorIiiEEZZNS1_16scan_by_key_implILNS1_25lookback_scan_determinismE0ELb0ES3_N6thrust23THRUST_200600_302600_NS16reverse_iteratorIPKiEESD_NSA_IPiEEiN6hipcub16HIPCUB_304000_NS3MaxENSH_8EqualityEiEE10hipError_tPvRmT2_T3_T4_T5_mT6_T7_P12ihipStream_tbENKUlT_T0_E_clISt17integral_constantIbLb0EESZ_IbLb1EEEEDaSV_SW_EUlSV_E_NS1_11comp_targetILNS1_3genE10ELNS1_11target_archE1201ELNS1_3gpuE5ELNS1_3repE0EEENS1_30default_config_static_selectorELNS0_4arch9wavefront6targetE1EEEvT1_.uses_flat_scratch, 0
	.set _ZN7rocprim17ROCPRIM_400000_NS6detail17trampoline_kernelINS0_14default_configENS1_27scan_by_key_config_selectorIiiEEZZNS1_16scan_by_key_implILNS1_25lookback_scan_determinismE0ELb0ES3_N6thrust23THRUST_200600_302600_NS16reverse_iteratorIPKiEESD_NSA_IPiEEiN6hipcub16HIPCUB_304000_NS3MaxENSH_8EqualityEiEE10hipError_tPvRmT2_T3_T4_T5_mT6_T7_P12ihipStream_tbENKUlT_T0_E_clISt17integral_constantIbLb0EESZ_IbLb1EEEEDaSV_SW_EUlSV_E_NS1_11comp_targetILNS1_3genE10ELNS1_11target_archE1201ELNS1_3gpuE5ELNS1_3repE0EEENS1_30default_config_static_selectorELNS0_4arch9wavefront6targetE1EEEvT1_.has_dyn_sized_stack, 0
	.set _ZN7rocprim17ROCPRIM_400000_NS6detail17trampoline_kernelINS0_14default_configENS1_27scan_by_key_config_selectorIiiEEZZNS1_16scan_by_key_implILNS1_25lookback_scan_determinismE0ELb0ES3_N6thrust23THRUST_200600_302600_NS16reverse_iteratorIPKiEESD_NSA_IPiEEiN6hipcub16HIPCUB_304000_NS3MaxENSH_8EqualityEiEE10hipError_tPvRmT2_T3_T4_T5_mT6_T7_P12ihipStream_tbENKUlT_T0_E_clISt17integral_constantIbLb0EESZ_IbLb1EEEEDaSV_SW_EUlSV_E_NS1_11comp_targetILNS1_3genE10ELNS1_11target_archE1201ELNS1_3gpuE5ELNS1_3repE0EEENS1_30default_config_static_selectorELNS0_4arch9wavefront6targetE1EEEvT1_.has_recursion, 0
	.set _ZN7rocprim17ROCPRIM_400000_NS6detail17trampoline_kernelINS0_14default_configENS1_27scan_by_key_config_selectorIiiEEZZNS1_16scan_by_key_implILNS1_25lookback_scan_determinismE0ELb0ES3_N6thrust23THRUST_200600_302600_NS16reverse_iteratorIPKiEESD_NSA_IPiEEiN6hipcub16HIPCUB_304000_NS3MaxENSH_8EqualityEiEE10hipError_tPvRmT2_T3_T4_T5_mT6_T7_P12ihipStream_tbENKUlT_T0_E_clISt17integral_constantIbLb0EESZ_IbLb1EEEEDaSV_SW_EUlSV_E_NS1_11comp_targetILNS1_3genE10ELNS1_11target_archE1201ELNS1_3gpuE5ELNS1_3repE0EEENS1_30default_config_static_selectorELNS0_4arch9wavefront6targetE1EEEvT1_.has_indirect_call, 0
	.section	.AMDGPU.csdata,"",@progbits
; Kernel info:
; codeLenInByte = 0
; TotalNumSgprs: 6
; NumVgprs: 0
; NumAgprs: 0
; TotalNumVgprs: 0
; ScratchSize: 0
; MemoryBound: 0
; FloatMode: 240
; IeeeMode: 1
; LDSByteSize: 0 bytes/workgroup (compile time only)
; SGPRBlocks: 0
; VGPRBlocks: 0
; NumSGPRsForWavesPerEU: 6
; NumVGPRsForWavesPerEU: 1
; AccumOffset: 4
; Occupancy: 8
; WaveLimiterHint : 0
; COMPUTE_PGM_RSRC2:SCRATCH_EN: 0
; COMPUTE_PGM_RSRC2:USER_SGPR: 2
; COMPUTE_PGM_RSRC2:TRAP_HANDLER: 0
; COMPUTE_PGM_RSRC2:TGID_X_EN: 1
; COMPUTE_PGM_RSRC2:TGID_Y_EN: 0
; COMPUTE_PGM_RSRC2:TGID_Z_EN: 0
; COMPUTE_PGM_RSRC2:TIDIG_COMP_CNT: 0
; COMPUTE_PGM_RSRC3_GFX90A:ACCUM_OFFSET: 0
; COMPUTE_PGM_RSRC3_GFX90A:TG_SPLIT: 0
	.section	.text._ZN7rocprim17ROCPRIM_400000_NS6detail17trampoline_kernelINS0_14default_configENS1_27scan_by_key_config_selectorIiiEEZZNS1_16scan_by_key_implILNS1_25lookback_scan_determinismE0ELb0ES3_N6thrust23THRUST_200600_302600_NS16reverse_iteratorIPKiEESD_NSA_IPiEEiN6hipcub16HIPCUB_304000_NS3MaxENSH_8EqualityEiEE10hipError_tPvRmT2_T3_T4_T5_mT6_T7_P12ihipStream_tbENKUlT_T0_E_clISt17integral_constantIbLb0EESZ_IbLb1EEEEDaSV_SW_EUlSV_E_NS1_11comp_targetILNS1_3genE5ELNS1_11target_archE942ELNS1_3gpuE9ELNS1_3repE0EEENS1_30default_config_static_selectorELNS0_4arch9wavefront6targetE1EEEvT1_,"axG",@progbits,_ZN7rocprim17ROCPRIM_400000_NS6detail17trampoline_kernelINS0_14default_configENS1_27scan_by_key_config_selectorIiiEEZZNS1_16scan_by_key_implILNS1_25lookback_scan_determinismE0ELb0ES3_N6thrust23THRUST_200600_302600_NS16reverse_iteratorIPKiEESD_NSA_IPiEEiN6hipcub16HIPCUB_304000_NS3MaxENSH_8EqualityEiEE10hipError_tPvRmT2_T3_T4_T5_mT6_T7_P12ihipStream_tbENKUlT_T0_E_clISt17integral_constantIbLb0EESZ_IbLb1EEEEDaSV_SW_EUlSV_E_NS1_11comp_targetILNS1_3genE5ELNS1_11target_archE942ELNS1_3gpuE9ELNS1_3repE0EEENS1_30default_config_static_selectorELNS0_4arch9wavefront6targetE1EEEvT1_,comdat
	.protected	_ZN7rocprim17ROCPRIM_400000_NS6detail17trampoline_kernelINS0_14default_configENS1_27scan_by_key_config_selectorIiiEEZZNS1_16scan_by_key_implILNS1_25lookback_scan_determinismE0ELb0ES3_N6thrust23THRUST_200600_302600_NS16reverse_iteratorIPKiEESD_NSA_IPiEEiN6hipcub16HIPCUB_304000_NS3MaxENSH_8EqualityEiEE10hipError_tPvRmT2_T3_T4_T5_mT6_T7_P12ihipStream_tbENKUlT_T0_E_clISt17integral_constantIbLb0EESZ_IbLb1EEEEDaSV_SW_EUlSV_E_NS1_11comp_targetILNS1_3genE5ELNS1_11target_archE942ELNS1_3gpuE9ELNS1_3repE0EEENS1_30default_config_static_selectorELNS0_4arch9wavefront6targetE1EEEvT1_ ; -- Begin function _ZN7rocprim17ROCPRIM_400000_NS6detail17trampoline_kernelINS0_14default_configENS1_27scan_by_key_config_selectorIiiEEZZNS1_16scan_by_key_implILNS1_25lookback_scan_determinismE0ELb0ES3_N6thrust23THRUST_200600_302600_NS16reverse_iteratorIPKiEESD_NSA_IPiEEiN6hipcub16HIPCUB_304000_NS3MaxENSH_8EqualityEiEE10hipError_tPvRmT2_T3_T4_T5_mT6_T7_P12ihipStream_tbENKUlT_T0_E_clISt17integral_constantIbLb0EESZ_IbLb1EEEEDaSV_SW_EUlSV_E_NS1_11comp_targetILNS1_3genE5ELNS1_11target_archE942ELNS1_3gpuE9ELNS1_3repE0EEENS1_30default_config_static_selectorELNS0_4arch9wavefront6targetE1EEEvT1_
	.globl	_ZN7rocprim17ROCPRIM_400000_NS6detail17trampoline_kernelINS0_14default_configENS1_27scan_by_key_config_selectorIiiEEZZNS1_16scan_by_key_implILNS1_25lookback_scan_determinismE0ELb0ES3_N6thrust23THRUST_200600_302600_NS16reverse_iteratorIPKiEESD_NSA_IPiEEiN6hipcub16HIPCUB_304000_NS3MaxENSH_8EqualityEiEE10hipError_tPvRmT2_T3_T4_T5_mT6_T7_P12ihipStream_tbENKUlT_T0_E_clISt17integral_constantIbLb0EESZ_IbLb1EEEEDaSV_SW_EUlSV_E_NS1_11comp_targetILNS1_3genE5ELNS1_11target_archE942ELNS1_3gpuE9ELNS1_3repE0EEENS1_30default_config_static_selectorELNS0_4arch9wavefront6targetE1EEEvT1_
	.p2align	8
	.type	_ZN7rocprim17ROCPRIM_400000_NS6detail17trampoline_kernelINS0_14default_configENS1_27scan_by_key_config_selectorIiiEEZZNS1_16scan_by_key_implILNS1_25lookback_scan_determinismE0ELb0ES3_N6thrust23THRUST_200600_302600_NS16reverse_iteratorIPKiEESD_NSA_IPiEEiN6hipcub16HIPCUB_304000_NS3MaxENSH_8EqualityEiEE10hipError_tPvRmT2_T3_T4_T5_mT6_T7_P12ihipStream_tbENKUlT_T0_E_clISt17integral_constantIbLb0EESZ_IbLb1EEEEDaSV_SW_EUlSV_E_NS1_11comp_targetILNS1_3genE5ELNS1_11target_archE942ELNS1_3gpuE9ELNS1_3repE0EEENS1_30default_config_static_selectorELNS0_4arch9wavefront6targetE1EEEvT1_,@function
_ZN7rocprim17ROCPRIM_400000_NS6detail17trampoline_kernelINS0_14default_configENS1_27scan_by_key_config_selectorIiiEEZZNS1_16scan_by_key_implILNS1_25lookback_scan_determinismE0ELb0ES3_N6thrust23THRUST_200600_302600_NS16reverse_iteratorIPKiEESD_NSA_IPiEEiN6hipcub16HIPCUB_304000_NS3MaxENSH_8EqualityEiEE10hipError_tPvRmT2_T3_T4_T5_mT6_T7_P12ihipStream_tbENKUlT_T0_E_clISt17integral_constantIbLb0EESZ_IbLb1EEEEDaSV_SW_EUlSV_E_NS1_11comp_targetILNS1_3genE5ELNS1_11target_archE942ELNS1_3gpuE9ELNS1_3repE0EEENS1_30default_config_static_selectorELNS0_4arch9wavefront6targetE1EEEvT1_: ; @_ZN7rocprim17ROCPRIM_400000_NS6detail17trampoline_kernelINS0_14default_configENS1_27scan_by_key_config_selectorIiiEEZZNS1_16scan_by_key_implILNS1_25lookback_scan_determinismE0ELb0ES3_N6thrust23THRUST_200600_302600_NS16reverse_iteratorIPKiEESD_NSA_IPiEEiN6hipcub16HIPCUB_304000_NS3MaxENSH_8EqualityEiEE10hipError_tPvRmT2_T3_T4_T5_mT6_T7_P12ihipStream_tbENKUlT_T0_E_clISt17integral_constantIbLb0EESZ_IbLb1EEEEDaSV_SW_EUlSV_E_NS1_11comp_targetILNS1_3genE5ELNS1_11target_archE942ELNS1_3gpuE9ELNS1_3repE0EEENS1_30default_config_static_selectorELNS0_4arch9wavefront6targetE1EEEvT1_
; %bb.0:
	.section	.rodata,"a",@progbits
	.p2align	6, 0x0
	.amdhsa_kernel _ZN7rocprim17ROCPRIM_400000_NS6detail17trampoline_kernelINS0_14default_configENS1_27scan_by_key_config_selectorIiiEEZZNS1_16scan_by_key_implILNS1_25lookback_scan_determinismE0ELb0ES3_N6thrust23THRUST_200600_302600_NS16reverse_iteratorIPKiEESD_NSA_IPiEEiN6hipcub16HIPCUB_304000_NS3MaxENSH_8EqualityEiEE10hipError_tPvRmT2_T3_T4_T5_mT6_T7_P12ihipStream_tbENKUlT_T0_E_clISt17integral_constantIbLb0EESZ_IbLb1EEEEDaSV_SW_EUlSV_E_NS1_11comp_targetILNS1_3genE5ELNS1_11target_archE942ELNS1_3gpuE9ELNS1_3repE0EEENS1_30default_config_static_selectorELNS0_4arch9wavefront6targetE1EEEvT1_
		.amdhsa_group_segment_fixed_size 0
		.amdhsa_private_segment_fixed_size 0
		.amdhsa_kernarg_size 112
		.amdhsa_user_sgpr_count 2
		.amdhsa_user_sgpr_dispatch_ptr 0
		.amdhsa_user_sgpr_queue_ptr 0
		.amdhsa_user_sgpr_kernarg_segment_ptr 1
		.amdhsa_user_sgpr_dispatch_id 0
		.amdhsa_user_sgpr_kernarg_preload_length 0
		.amdhsa_user_sgpr_kernarg_preload_offset 0
		.amdhsa_user_sgpr_private_segment_size 0
		.amdhsa_uses_dynamic_stack 0
		.amdhsa_enable_private_segment 0
		.amdhsa_system_sgpr_workgroup_id_x 1
		.amdhsa_system_sgpr_workgroup_id_y 0
		.amdhsa_system_sgpr_workgroup_id_z 0
		.amdhsa_system_sgpr_workgroup_info 0
		.amdhsa_system_vgpr_workitem_id 0
		.amdhsa_next_free_vgpr 1
		.amdhsa_next_free_sgpr 0
		.amdhsa_accum_offset 4
		.amdhsa_reserve_vcc 0
		.amdhsa_float_round_mode_32 0
		.amdhsa_float_round_mode_16_64 0
		.amdhsa_float_denorm_mode_32 3
		.amdhsa_float_denorm_mode_16_64 3
		.amdhsa_dx10_clamp 1
		.amdhsa_ieee_mode 1
		.amdhsa_fp16_overflow 0
		.amdhsa_tg_split 0
		.amdhsa_exception_fp_ieee_invalid_op 0
		.amdhsa_exception_fp_denorm_src 0
		.amdhsa_exception_fp_ieee_div_zero 0
		.amdhsa_exception_fp_ieee_overflow 0
		.amdhsa_exception_fp_ieee_underflow 0
		.amdhsa_exception_fp_ieee_inexact 0
		.amdhsa_exception_int_div_zero 0
	.end_amdhsa_kernel
	.section	.text._ZN7rocprim17ROCPRIM_400000_NS6detail17trampoline_kernelINS0_14default_configENS1_27scan_by_key_config_selectorIiiEEZZNS1_16scan_by_key_implILNS1_25lookback_scan_determinismE0ELb0ES3_N6thrust23THRUST_200600_302600_NS16reverse_iteratorIPKiEESD_NSA_IPiEEiN6hipcub16HIPCUB_304000_NS3MaxENSH_8EqualityEiEE10hipError_tPvRmT2_T3_T4_T5_mT6_T7_P12ihipStream_tbENKUlT_T0_E_clISt17integral_constantIbLb0EESZ_IbLb1EEEEDaSV_SW_EUlSV_E_NS1_11comp_targetILNS1_3genE5ELNS1_11target_archE942ELNS1_3gpuE9ELNS1_3repE0EEENS1_30default_config_static_selectorELNS0_4arch9wavefront6targetE1EEEvT1_,"axG",@progbits,_ZN7rocprim17ROCPRIM_400000_NS6detail17trampoline_kernelINS0_14default_configENS1_27scan_by_key_config_selectorIiiEEZZNS1_16scan_by_key_implILNS1_25lookback_scan_determinismE0ELb0ES3_N6thrust23THRUST_200600_302600_NS16reverse_iteratorIPKiEESD_NSA_IPiEEiN6hipcub16HIPCUB_304000_NS3MaxENSH_8EqualityEiEE10hipError_tPvRmT2_T3_T4_T5_mT6_T7_P12ihipStream_tbENKUlT_T0_E_clISt17integral_constantIbLb0EESZ_IbLb1EEEEDaSV_SW_EUlSV_E_NS1_11comp_targetILNS1_3genE5ELNS1_11target_archE942ELNS1_3gpuE9ELNS1_3repE0EEENS1_30default_config_static_selectorELNS0_4arch9wavefront6targetE1EEEvT1_,comdat
.Lfunc_end85:
	.size	_ZN7rocprim17ROCPRIM_400000_NS6detail17trampoline_kernelINS0_14default_configENS1_27scan_by_key_config_selectorIiiEEZZNS1_16scan_by_key_implILNS1_25lookback_scan_determinismE0ELb0ES3_N6thrust23THRUST_200600_302600_NS16reverse_iteratorIPKiEESD_NSA_IPiEEiN6hipcub16HIPCUB_304000_NS3MaxENSH_8EqualityEiEE10hipError_tPvRmT2_T3_T4_T5_mT6_T7_P12ihipStream_tbENKUlT_T0_E_clISt17integral_constantIbLb0EESZ_IbLb1EEEEDaSV_SW_EUlSV_E_NS1_11comp_targetILNS1_3genE5ELNS1_11target_archE942ELNS1_3gpuE9ELNS1_3repE0EEENS1_30default_config_static_selectorELNS0_4arch9wavefront6targetE1EEEvT1_, .Lfunc_end85-_ZN7rocprim17ROCPRIM_400000_NS6detail17trampoline_kernelINS0_14default_configENS1_27scan_by_key_config_selectorIiiEEZZNS1_16scan_by_key_implILNS1_25lookback_scan_determinismE0ELb0ES3_N6thrust23THRUST_200600_302600_NS16reverse_iteratorIPKiEESD_NSA_IPiEEiN6hipcub16HIPCUB_304000_NS3MaxENSH_8EqualityEiEE10hipError_tPvRmT2_T3_T4_T5_mT6_T7_P12ihipStream_tbENKUlT_T0_E_clISt17integral_constantIbLb0EESZ_IbLb1EEEEDaSV_SW_EUlSV_E_NS1_11comp_targetILNS1_3genE5ELNS1_11target_archE942ELNS1_3gpuE9ELNS1_3repE0EEENS1_30default_config_static_selectorELNS0_4arch9wavefront6targetE1EEEvT1_
                                        ; -- End function
	.set _ZN7rocprim17ROCPRIM_400000_NS6detail17trampoline_kernelINS0_14default_configENS1_27scan_by_key_config_selectorIiiEEZZNS1_16scan_by_key_implILNS1_25lookback_scan_determinismE0ELb0ES3_N6thrust23THRUST_200600_302600_NS16reverse_iteratorIPKiEESD_NSA_IPiEEiN6hipcub16HIPCUB_304000_NS3MaxENSH_8EqualityEiEE10hipError_tPvRmT2_T3_T4_T5_mT6_T7_P12ihipStream_tbENKUlT_T0_E_clISt17integral_constantIbLb0EESZ_IbLb1EEEEDaSV_SW_EUlSV_E_NS1_11comp_targetILNS1_3genE5ELNS1_11target_archE942ELNS1_3gpuE9ELNS1_3repE0EEENS1_30default_config_static_selectorELNS0_4arch9wavefront6targetE1EEEvT1_.num_vgpr, 0
	.set _ZN7rocprim17ROCPRIM_400000_NS6detail17trampoline_kernelINS0_14default_configENS1_27scan_by_key_config_selectorIiiEEZZNS1_16scan_by_key_implILNS1_25lookback_scan_determinismE0ELb0ES3_N6thrust23THRUST_200600_302600_NS16reverse_iteratorIPKiEESD_NSA_IPiEEiN6hipcub16HIPCUB_304000_NS3MaxENSH_8EqualityEiEE10hipError_tPvRmT2_T3_T4_T5_mT6_T7_P12ihipStream_tbENKUlT_T0_E_clISt17integral_constantIbLb0EESZ_IbLb1EEEEDaSV_SW_EUlSV_E_NS1_11comp_targetILNS1_3genE5ELNS1_11target_archE942ELNS1_3gpuE9ELNS1_3repE0EEENS1_30default_config_static_selectorELNS0_4arch9wavefront6targetE1EEEvT1_.num_agpr, 0
	.set _ZN7rocprim17ROCPRIM_400000_NS6detail17trampoline_kernelINS0_14default_configENS1_27scan_by_key_config_selectorIiiEEZZNS1_16scan_by_key_implILNS1_25lookback_scan_determinismE0ELb0ES3_N6thrust23THRUST_200600_302600_NS16reverse_iteratorIPKiEESD_NSA_IPiEEiN6hipcub16HIPCUB_304000_NS3MaxENSH_8EqualityEiEE10hipError_tPvRmT2_T3_T4_T5_mT6_T7_P12ihipStream_tbENKUlT_T0_E_clISt17integral_constantIbLb0EESZ_IbLb1EEEEDaSV_SW_EUlSV_E_NS1_11comp_targetILNS1_3genE5ELNS1_11target_archE942ELNS1_3gpuE9ELNS1_3repE0EEENS1_30default_config_static_selectorELNS0_4arch9wavefront6targetE1EEEvT1_.numbered_sgpr, 0
	.set _ZN7rocprim17ROCPRIM_400000_NS6detail17trampoline_kernelINS0_14default_configENS1_27scan_by_key_config_selectorIiiEEZZNS1_16scan_by_key_implILNS1_25lookback_scan_determinismE0ELb0ES3_N6thrust23THRUST_200600_302600_NS16reverse_iteratorIPKiEESD_NSA_IPiEEiN6hipcub16HIPCUB_304000_NS3MaxENSH_8EqualityEiEE10hipError_tPvRmT2_T3_T4_T5_mT6_T7_P12ihipStream_tbENKUlT_T0_E_clISt17integral_constantIbLb0EESZ_IbLb1EEEEDaSV_SW_EUlSV_E_NS1_11comp_targetILNS1_3genE5ELNS1_11target_archE942ELNS1_3gpuE9ELNS1_3repE0EEENS1_30default_config_static_selectorELNS0_4arch9wavefront6targetE1EEEvT1_.num_named_barrier, 0
	.set _ZN7rocprim17ROCPRIM_400000_NS6detail17trampoline_kernelINS0_14default_configENS1_27scan_by_key_config_selectorIiiEEZZNS1_16scan_by_key_implILNS1_25lookback_scan_determinismE0ELb0ES3_N6thrust23THRUST_200600_302600_NS16reverse_iteratorIPKiEESD_NSA_IPiEEiN6hipcub16HIPCUB_304000_NS3MaxENSH_8EqualityEiEE10hipError_tPvRmT2_T3_T4_T5_mT6_T7_P12ihipStream_tbENKUlT_T0_E_clISt17integral_constantIbLb0EESZ_IbLb1EEEEDaSV_SW_EUlSV_E_NS1_11comp_targetILNS1_3genE5ELNS1_11target_archE942ELNS1_3gpuE9ELNS1_3repE0EEENS1_30default_config_static_selectorELNS0_4arch9wavefront6targetE1EEEvT1_.private_seg_size, 0
	.set _ZN7rocprim17ROCPRIM_400000_NS6detail17trampoline_kernelINS0_14default_configENS1_27scan_by_key_config_selectorIiiEEZZNS1_16scan_by_key_implILNS1_25lookback_scan_determinismE0ELb0ES3_N6thrust23THRUST_200600_302600_NS16reverse_iteratorIPKiEESD_NSA_IPiEEiN6hipcub16HIPCUB_304000_NS3MaxENSH_8EqualityEiEE10hipError_tPvRmT2_T3_T4_T5_mT6_T7_P12ihipStream_tbENKUlT_T0_E_clISt17integral_constantIbLb0EESZ_IbLb1EEEEDaSV_SW_EUlSV_E_NS1_11comp_targetILNS1_3genE5ELNS1_11target_archE942ELNS1_3gpuE9ELNS1_3repE0EEENS1_30default_config_static_selectorELNS0_4arch9wavefront6targetE1EEEvT1_.uses_vcc, 0
	.set _ZN7rocprim17ROCPRIM_400000_NS6detail17trampoline_kernelINS0_14default_configENS1_27scan_by_key_config_selectorIiiEEZZNS1_16scan_by_key_implILNS1_25lookback_scan_determinismE0ELb0ES3_N6thrust23THRUST_200600_302600_NS16reverse_iteratorIPKiEESD_NSA_IPiEEiN6hipcub16HIPCUB_304000_NS3MaxENSH_8EqualityEiEE10hipError_tPvRmT2_T3_T4_T5_mT6_T7_P12ihipStream_tbENKUlT_T0_E_clISt17integral_constantIbLb0EESZ_IbLb1EEEEDaSV_SW_EUlSV_E_NS1_11comp_targetILNS1_3genE5ELNS1_11target_archE942ELNS1_3gpuE9ELNS1_3repE0EEENS1_30default_config_static_selectorELNS0_4arch9wavefront6targetE1EEEvT1_.uses_flat_scratch, 0
	.set _ZN7rocprim17ROCPRIM_400000_NS6detail17trampoline_kernelINS0_14default_configENS1_27scan_by_key_config_selectorIiiEEZZNS1_16scan_by_key_implILNS1_25lookback_scan_determinismE0ELb0ES3_N6thrust23THRUST_200600_302600_NS16reverse_iteratorIPKiEESD_NSA_IPiEEiN6hipcub16HIPCUB_304000_NS3MaxENSH_8EqualityEiEE10hipError_tPvRmT2_T3_T4_T5_mT6_T7_P12ihipStream_tbENKUlT_T0_E_clISt17integral_constantIbLb0EESZ_IbLb1EEEEDaSV_SW_EUlSV_E_NS1_11comp_targetILNS1_3genE5ELNS1_11target_archE942ELNS1_3gpuE9ELNS1_3repE0EEENS1_30default_config_static_selectorELNS0_4arch9wavefront6targetE1EEEvT1_.has_dyn_sized_stack, 0
	.set _ZN7rocprim17ROCPRIM_400000_NS6detail17trampoline_kernelINS0_14default_configENS1_27scan_by_key_config_selectorIiiEEZZNS1_16scan_by_key_implILNS1_25lookback_scan_determinismE0ELb0ES3_N6thrust23THRUST_200600_302600_NS16reverse_iteratorIPKiEESD_NSA_IPiEEiN6hipcub16HIPCUB_304000_NS3MaxENSH_8EqualityEiEE10hipError_tPvRmT2_T3_T4_T5_mT6_T7_P12ihipStream_tbENKUlT_T0_E_clISt17integral_constantIbLb0EESZ_IbLb1EEEEDaSV_SW_EUlSV_E_NS1_11comp_targetILNS1_3genE5ELNS1_11target_archE942ELNS1_3gpuE9ELNS1_3repE0EEENS1_30default_config_static_selectorELNS0_4arch9wavefront6targetE1EEEvT1_.has_recursion, 0
	.set _ZN7rocprim17ROCPRIM_400000_NS6detail17trampoline_kernelINS0_14default_configENS1_27scan_by_key_config_selectorIiiEEZZNS1_16scan_by_key_implILNS1_25lookback_scan_determinismE0ELb0ES3_N6thrust23THRUST_200600_302600_NS16reverse_iteratorIPKiEESD_NSA_IPiEEiN6hipcub16HIPCUB_304000_NS3MaxENSH_8EqualityEiEE10hipError_tPvRmT2_T3_T4_T5_mT6_T7_P12ihipStream_tbENKUlT_T0_E_clISt17integral_constantIbLb0EESZ_IbLb1EEEEDaSV_SW_EUlSV_E_NS1_11comp_targetILNS1_3genE5ELNS1_11target_archE942ELNS1_3gpuE9ELNS1_3repE0EEENS1_30default_config_static_selectorELNS0_4arch9wavefront6targetE1EEEvT1_.has_indirect_call, 0
	.section	.AMDGPU.csdata,"",@progbits
; Kernel info:
; codeLenInByte = 0
; TotalNumSgprs: 6
; NumVgprs: 0
; NumAgprs: 0
; TotalNumVgprs: 0
; ScratchSize: 0
; MemoryBound: 0
; FloatMode: 240
; IeeeMode: 1
; LDSByteSize: 0 bytes/workgroup (compile time only)
; SGPRBlocks: 0
; VGPRBlocks: 0
; NumSGPRsForWavesPerEU: 6
; NumVGPRsForWavesPerEU: 1
; AccumOffset: 4
; Occupancy: 8
; WaveLimiterHint : 0
; COMPUTE_PGM_RSRC2:SCRATCH_EN: 0
; COMPUTE_PGM_RSRC2:USER_SGPR: 2
; COMPUTE_PGM_RSRC2:TRAP_HANDLER: 0
; COMPUTE_PGM_RSRC2:TGID_X_EN: 1
; COMPUTE_PGM_RSRC2:TGID_Y_EN: 0
; COMPUTE_PGM_RSRC2:TGID_Z_EN: 0
; COMPUTE_PGM_RSRC2:TIDIG_COMP_CNT: 0
; COMPUTE_PGM_RSRC3_GFX90A:ACCUM_OFFSET: 0
; COMPUTE_PGM_RSRC3_GFX90A:TG_SPLIT: 0
	.section	.text._ZN7rocprim17ROCPRIM_400000_NS6detail17trampoline_kernelINS0_14default_configENS1_27scan_by_key_config_selectorIiiEEZZNS1_16scan_by_key_implILNS1_25lookback_scan_determinismE0ELb0ES3_N6thrust23THRUST_200600_302600_NS16reverse_iteratorIPKiEESD_NSA_IPiEEiN6hipcub16HIPCUB_304000_NS3MaxENSH_8EqualityEiEE10hipError_tPvRmT2_T3_T4_T5_mT6_T7_P12ihipStream_tbENKUlT_T0_E_clISt17integral_constantIbLb0EESZ_IbLb1EEEEDaSV_SW_EUlSV_E_NS1_11comp_targetILNS1_3genE4ELNS1_11target_archE910ELNS1_3gpuE8ELNS1_3repE0EEENS1_30default_config_static_selectorELNS0_4arch9wavefront6targetE1EEEvT1_,"axG",@progbits,_ZN7rocprim17ROCPRIM_400000_NS6detail17trampoline_kernelINS0_14default_configENS1_27scan_by_key_config_selectorIiiEEZZNS1_16scan_by_key_implILNS1_25lookback_scan_determinismE0ELb0ES3_N6thrust23THRUST_200600_302600_NS16reverse_iteratorIPKiEESD_NSA_IPiEEiN6hipcub16HIPCUB_304000_NS3MaxENSH_8EqualityEiEE10hipError_tPvRmT2_T3_T4_T5_mT6_T7_P12ihipStream_tbENKUlT_T0_E_clISt17integral_constantIbLb0EESZ_IbLb1EEEEDaSV_SW_EUlSV_E_NS1_11comp_targetILNS1_3genE4ELNS1_11target_archE910ELNS1_3gpuE8ELNS1_3repE0EEENS1_30default_config_static_selectorELNS0_4arch9wavefront6targetE1EEEvT1_,comdat
	.protected	_ZN7rocprim17ROCPRIM_400000_NS6detail17trampoline_kernelINS0_14default_configENS1_27scan_by_key_config_selectorIiiEEZZNS1_16scan_by_key_implILNS1_25lookback_scan_determinismE0ELb0ES3_N6thrust23THRUST_200600_302600_NS16reverse_iteratorIPKiEESD_NSA_IPiEEiN6hipcub16HIPCUB_304000_NS3MaxENSH_8EqualityEiEE10hipError_tPvRmT2_T3_T4_T5_mT6_T7_P12ihipStream_tbENKUlT_T0_E_clISt17integral_constantIbLb0EESZ_IbLb1EEEEDaSV_SW_EUlSV_E_NS1_11comp_targetILNS1_3genE4ELNS1_11target_archE910ELNS1_3gpuE8ELNS1_3repE0EEENS1_30default_config_static_selectorELNS0_4arch9wavefront6targetE1EEEvT1_ ; -- Begin function _ZN7rocprim17ROCPRIM_400000_NS6detail17trampoline_kernelINS0_14default_configENS1_27scan_by_key_config_selectorIiiEEZZNS1_16scan_by_key_implILNS1_25lookback_scan_determinismE0ELb0ES3_N6thrust23THRUST_200600_302600_NS16reverse_iteratorIPKiEESD_NSA_IPiEEiN6hipcub16HIPCUB_304000_NS3MaxENSH_8EqualityEiEE10hipError_tPvRmT2_T3_T4_T5_mT6_T7_P12ihipStream_tbENKUlT_T0_E_clISt17integral_constantIbLb0EESZ_IbLb1EEEEDaSV_SW_EUlSV_E_NS1_11comp_targetILNS1_3genE4ELNS1_11target_archE910ELNS1_3gpuE8ELNS1_3repE0EEENS1_30default_config_static_selectorELNS0_4arch9wavefront6targetE1EEEvT1_
	.globl	_ZN7rocprim17ROCPRIM_400000_NS6detail17trampoline_kernelINS0_14default_configENS1_27scan_by_key_config_selectorIiiEEZZNS1_16scan_by_key_implILNS1_25lookback_scan_determinismE0ELb0ES3_N6thrust23THRUST_200600_302600_NS16reverse_iteratorIPKiEESD_NSA_IPiEEiN6hipcub16HIPCUB_304000_NS3MaxENSH_8EqualityEiEE10hipError_tPvRmT2_T3_T4_T5_mT6_T7_P12ihipStream_tbENKUlT_T0_E_clISt17integral_constantIbLb0EESZ_IbLb1EEEEDaSV_SW_EUlSV_E_NS1_11comp_targetILNS1_3genE4ELNS1_11target_archE910ELNS1_3gpuE8ELNS1_3repE0EEENS1_30default_config_static_selectorELNS0_4arch9wavefront6targetE1EEEvT1_
	.p2align	8
	.type	_ZN7rocprim17ROCPRIM_400000_NS6detail17trampoline_kernelINS0_14default_configENS1_27scan_by_key_config_selectorIiiEEZZNS1_16scan_by_key_implILNS1_25lookback_scan_determinismE0ELb0ES3_N6thrust23THRUST_200600_302600_NS16reverse_iteratorIPKiEESD_NSA_IPiEEiN6hipcub16HIPCUB_304000_NS3MaxENSH_8EqualityEiEE10hipError_tPvRmT2_T3_T4_T5_mT6_T7_P12ihipStream_tbENKUlT_T0_E_clISt17integral_constantIbLb0EESZ_IbLb1EEEEDaSV_SW_EUlSV_E_NS1_11comp_targetILNS1_3genE4ELNS1_11target_archE910ELNS1_3gpuE8ELNS1_3repE0EEENS1_30default_config_static_selectorELNS0_4arch9wavefront6targetE1EEEvT1_,@function
_ZN7rocprim17ROCPRIM_400000_NS6detail17trampoline_kernelINS0_14default_configENS1_27scan_by_key_config_selectorIiiEEZZNS1_16scan_by_key_implILNS1_25lookback_scan_determinismE0ELb0ES3_N6thrust23THRUST_200600_302600_NS16reverse_iteratorIPKiEESD_NSA_IPiEEiN6hipcub16HIPCUB_304000_NS3MaxENSH_8EqualityEiEE10hipError_tPvRmT2_T3_T4_T5_mT6_T7_P12ihipStream_tbENKUlT_T0_E_clISt17integral_constantIbLb0EESZ_IbLb1EEEEDaSV_SW_EUlSV_E_NS1_11comp_targetILNS1_3genE4ELNS1_11target_archE910ELNS1_3gpuE8ELNS1_3repE0EEENS1_30default_config_static_selectorELNS0_4arch9wavefront6targetE1EEEvT1_: ; @_ZN7rocprim17ROCPRIM_400000_NS6detail17trampoline_kernelINS0_14default_configENS1_27scan_by_key_config_selectorIiiEEZZNS1_16scan_by_key_implILNS1_25lookback_scan_determinismE0ELb0ES3_N6thrust23THRUST_200600_302600_NS16reverse_iteratorIPKiEESD_NSA_IPiEEiN6hipcub16HIPCUB_304000_NS3MaxENSH_8EqualityEiEE10hipError_tPvRmT2_T3_T4_T5_mT6_T7_P12ihipStream_tbENKUlT_T0_E_clISt17integral_constantIbLb0EESZ_IbLb1EEEEDaSV_SW_EUlSV_E_NS1_11comp_targetILNS1_3genE4ELNS1_11target_archE910ELNS1_3gpuE8ELNS1_3repE0EEENS1_30default_config_static_selectorELNS0_4arch9wavefront6targetE1EEEvT1_
; %bb.0:
	.section	.rodata,"a",@progbits
	.p2align	6, 0x0
	.amdhsa_kernel _ZN7rocprim17ROCPRIM_400000_NS6detail17trampoline_kernelINS0_14default_configENS1_27scan_by_key_config_selectorIiiEEZZNS1_16scan_by_key_implILNS1_25lookback_scan_determinismE0ELb0ES3_N6thrust23THRUST_200600_302600_NS16reverse_iteratorIPKiEESD_NSA_IPiEEiN6hipcub16HIPCUB_304000_NS3MaxENSH_8EqualityEiEE10hipError_tPvRmT2_T3_T4_T5_mT6_T7_P12ihipStream_tbENKUlT_T0_E_clISt17integral_constantIbLb0EESZ_IbLb1EEEEDaSV_SW_EUlSV_E_NS1_11comp_targetILNS1_3genE4ELNS1_11target_archE910ELNS1_3gpuE8ELNS1_3repE0EEENS1_30default_config_static_selectorELNS0_4arch9wavefront6targetE1EEEvT1_
		.amdhsa_group_segment_fixed_size 0
		.amdhsa_private_segment_fixed_size 0
		.amdhsa_kernarg_size 112
		.amdhsa_user_sgpr_count 2
		.amdhsa_user_sgpr_dispatch_ptr 0
		.amdhsa_user_sgpr_queue_ptr 0
		.amdhsa_user_sgpr_kernarg_segment_ptr 1
		.amdhsa_user_sgpr_dispatch_id 0
		.amdhsa_user_sgpr_kernarg_preload_length 0
		.amdhsa_user_sgpr_kernarg_preload_offset 0
		.amdhsa_user_sgpr_private_segment_size 0
		.amdhsa_uses_dynamic_stack 0
		.amdhsa_enable_private_segment 0
		.amdhsa_system_sgpr_workgroup_id_x 1
		.amdhsa_system_sgpr_workgroup_id_y 0
		.amdhsa_system_sgpr_workgroup_id_z 0
		.amdhsa_system_sgpr_workgroup_info 0
		.amdhsa_system_vgpr_workitem_id 0
		.amdhsa_next_free_vgpr 1
		.amdhsa_next_free_sgpr 0
		.amdhsa_accum_offset 4
		.amdhsa_reserve_vcc 0
		.amdhsa_float_round_mode_32 0
		.amdhsa_float_round_mode_16_64 0
		.amdhsa_float_denorm_mode_32 3
		.amdhsa_float_denorm_mode_16_64 3
		.amdhsa_dx10_clamp 1
		.amdhsa_ieee_mode 1
		.amdhsa_fp16_overflow 0
		.amdhsa_tg_split 0
		.amdhsa_exception_fp_ieee_invalid_op 0
		.amdhsa_exception_fp_denorm_src 0
		.amdhsa_exception_fp_ieee_div_zero 0
		.amdhsa_exception_fp_ieee_overflow 0
		.amdhsa_exception_fp_ieee_underflow 0
		.amdhsa_exception_fp_ieee_inexact 0
		.amdhsa_exception_int_div_zero 0
	.end_amdhsa_kernel
	.section	.text._ZN7rocprim17ROCPRIM_400000_NS6detail17trampoline_kernelINS0_14default_configENS1_27scan_by_key_config_selectorIiiEEZZNS1_16scan_by_key_implILNS1_25lookback_scan_determinismE0ELb0ES3_N6thrust23THRUST_200600_302600_NS16reverse_iteratorIPKiEESD_NSA_IPiEEiN6hipcub16HIPCUB_304000_NS3MaxENSH_8EqualityEiEE10hipError_tPvRmT2_T3_T4_T5_mT6_T7_P12ihipStream_tbENKUlT_T0_E_clISt17integral_constantIbLb0EESZ_IbLb1EEEEDaSV_SW_EUlSV_E_NS1_11comp_targetILNS1_3genE4ELNS1_11target_archE910ELNS1_3gpuE8ELNS1_3repE0EEENS1_30default_config_static_selectorELNS0_4arch9wavefront6targetE1EEEvT1_,"axG",@progbits,_ZN7rocprim17ROCPRIM_400000_NS6detail17trampoline_kernelINS0_14default_configENS1_27scan_by_key_config_selectorIiiEEZZNS1_16scan_by_key_implILNS1_25lookback_scan_determinismE0ELb0ES3_N6thrust23THRUST_200600_302600_NS16reverse_iteratorIPKiEESD_NSA_IPiEEiN6hipcub16HIPCUB_304000_NS3MaxENSH_8EqualityEiEE10hipError_tPvRmT2_T3_T4_T5_mT6_T7_P12ihipStream_tbENKUlT_T0_E_clISt17integral_constantIbLb0EESZ_IbLb1EEEEDaSV_SW_EUlSV_E_NS1_11comp_targetILNS1_3genE4ELNS1_11target_archE910ELNS1_3gpuE8ELNS1_3repE0EEENS1_30default_config_static_selectorELNS0_4arch9wavefront6targetE1EEEvT1_,comdat
.Lfunc_end86:
	.size	_ZN7rocprim17ROCPRIM_400000_NS6detail17trampoline_kernelINS0_14default_configENS1_27scan_by_key_config_selectorIiiEEZZNS1_16scan_by_key_implILNS1_25lookback_scan_determinismE0ELb0ES3_N6thrust23THRUST_200600_302600_NS16reverse_iteratorIPKiEESD_NSA_IPiEEiN6hipcub16HIPCUB_304000_NS3MaxENSH_8EqualityEiEE10hipError_tPvRmT2_T3_T4_T5_mT6_T7_P12ihipStream_tbENKUlT_T0_E_clISt17integral_constantIbLb0EESZ_IbLb1EEEEDaSV_SW_EUlSV_E_NS1_11comp_targetILNS1_3genE4ELNS1_11target_archE910ELNS1_3gpuE8ELNS1_3repE0EEENS1_30default_config_static_selectorELNS0_4arch9wavefront6targetE1EEEvT1_, .Lfunc_end86-_ZN7rocprim17ROCPRIM_400000_NS6detail17trampoline_kernelINS0_14default_configENS1_27scan_by_key_config_selectorIiiEEZZNS1_16scan_by_key_implILNS1_25lookback_scan_determinismE0ELb0ES3_N6thrust23THRUST_200600_302600_NS16reverse_iteratorIPKiEESD_NSA_IPiEEiN6hipcub16HIPCUB_304000_NS3MaxENSH_8EqualityEiEE10hipError_tPvRmT2_T3_T4_T5_mT6_T7_P12ihipStream_tbENKUlT_T0_E_clISt17integral_constantIbLb0EESZ_IbLb1EEEEDaSV_SW_EUlSV_E_NS1_11comp_targetILNS1_3genE4ELNS1_11target_archE910ELNS1_3gpuE8ELNS1_3repE0EEENS1_30default_config_static_selectorELNS0_4arch9wavefront6targetE1EEEvT1_
                                        ; -- End function
	.set _ZN7rocprim17ROCPRIM_400000_NS6detail17trampoline_kernelINS0_14default_configENS1_27scan_by_key_config_selectorIiiEEZZNS1_16scan_by_key_implILNS1_25lookback_scan_determinismE0ELb0ES3_N6thrust23THRUST_200600_302600_NS16reverse_iteratorIPKiEESD_NSA_IPiEEiN6hipcub16HIPCUB_304000_NS3MaxENSH_8EqualityEiEE10hipError_tPvRmT2_T3_T4_T5_mT6_T7_P12ihipStream_tbENKUlT_T0_E_clISt17integral_constantIbLb0EESZ_IbLb1EEEEDaSV_SW_EUlSV_E_NS1_11comp_targetILNS1_3genE4ELNS1_11target_archE910ELNS1_3gpuE8ELNS1_3repE0EEENS1_30default_config_static_selectorELNS0_4arch9wavefront6targetE1EEEvT1_.num_vgpr, 0
	.set _ZN7rocprim17ROCPRIM_400000_NS6detail17trampoline_kernelINS0_14default_configENS1_27scan_by_key_config_selectorIiiEEZZNS1_16scan_by_key_implILNS1_25lookback_scan_determinismE0ELb0ES3_N6thrust23THRUST_200600_302600_NS16reverse_iteratorIPKiEESD_NSA_IPiEEiN6hipcub16HIPCUB_304000_NS3MaxENSH_8EqualityEiEE10hipError_tPvRmT2_T3_T4_T5_mT6_T7_P12ihipStream_tbENKUlT_T0_E_clISt17integral_constantIbLb0EESZ_IbLb1EEEEDaSV_SW_EUlSV_E_NS1_11comp_targetILNS1_3genE4ELNS1_11target_archE910ELNS1_3gpuE8ELNS1_3repE0EEENS1_30default_config_static_selectorELNS0_4arch9wavefront6targetE1EEEvT1_.num_agpr, 0
	.set _ZN7rocprim17ROCPRIM_400000_NS6detail17trampoline_kernelINS0_14default_configENS1_27scan_by_key_config_selectorIiiEEZZNS1_16scan_by_key_implILNS1_25lookback_scan_determinismE0ELb0ES3_N6thrust23THRUST_200600_302600_NS16reverse_iteratorIPKiEESD_NSA_IPiEEiN6hipcub16HIPCUB_304000_NS3MaxENSH_8EqualityEiEE10hipError_tPvRmT2_T3_T4_T5_mT6_T7_P12ihipStream_tbENKUlT_T0_E_clISt17integral_constantIbLb0EESZ_IbLb1EEEEDaSV_SW_EUlSV_E_NS1_11comp_targetILNS1_3genE4ELNS1_11target_archE910ELNS1_3gpuE8ELNS1_3repE0EEENS1_30default_config_static_selectorELNS0_4arch9wavefront6targetE1EEEvT1_.numbered_sgpr, 0
	.set _ZN7rocprim17ROCPRIM_400000_NS6detail17trampoline_kernelINS0_14default_configENS1_27scan_by_key_config_selectorIiiEEZZNS1_16scan_by_key_implILNS1_25lookback_scan_determinismE0ELb0ES3_N6thrust23THRUST_200600_302600_NS16reverse_iteratorIPKiEESD_NSA_IPiEEiN6hipcub16HIPCUB_304000_NS3MaxENSH_8EqualityEiEE10hipError_tPvRmT2_T3_T4_T5_mT6_T7_P12ihipStream_tbENKUlT_T0_E_clISt17integral_constantIbLb0EESZ_IbLb1EEEEDaSV_SW_EUlSV_E_NS1_11comp_targetILNS1_3genE4ELNS1_11target_archE910ELNS1_3gpuE8ELNS1_3repE0EEENS1_30default_config_static_selectorELNS0_4arch9wavefront6targetE1EEEvT1_.num_named_barrier, 0
	.set _ZN7rocprim17ROCPRIM_400000_NS6detail17trampoline_kernelINS0_14default_configENS1_27scan_by_key_config_selectorIiiEEZZNS1_16scan_by_key_implILNS1_25lookback_scan_determinismE0ELb0ES3_N6thrust23THRUST_200600_302600_NS16reverse_iteratorIPKiEESD_NSA_IPiEEiN6hipcub16HIPCUB_304000_NS3MaxENSH_8EqualityEiEE10hipError_tPvRmT2_T3_T4_T5_mT6_T7_P12ihipStream_tbENKUlT_T0_E_clISt17integral_constantIbLb0EESZ_IbLb1EEEEDaSV_SW_EUlSV_E_NS1_11comp_targetILNS1_3genE4ELNS1_11target_archE910ELNS1_3gpuE8ELNS1_3repE0EEENS1_30default_config_static_selectorELNS0_4arch9wavefront6targetE1EEEvT1_.private_seg_size, 0
	.set _ZN7rocprim17ROCPRIM_400000_NS6detail17trampoline_kernelINS0_14default_configENS1_27scan_by_key_config_selectorIiiEEZZNS1_16scan_by_key_implILNS1_25lookback_scan_determinismE0ELb0ES3_N6thrust23THRUST_200600_302600_NS16reverse_iteratorIPKiEESD_NSA_IPiEEiN6hipcub16HIPCUB_304000_NS3MaxENSH_8EqualityEiEE10hipError_tPvRmT2_T3_T4_T5_mT6_T7_P12ihipStream_tbENKUlT_T0_E_clISt17integral_constantIbLb0EESZ_IbLb1EEEEDaSV_SW_EUlSV_E_NS1_11comp_targetILNS1_3genE4ELNS1_11target_archE910ELNS1_3gpuE8ELNS1_3repE0EEENS1_30default_config_static_selectorELNS0_4arch9wavefront6targetE1EEEvT1_.uses_vcc, 0
	.set _ZN7rocprim17ROCPRIM_400000_NS6detail17trampoline_kernelINS0_14default_configENS1_27scan_by_key_config_selectorIiiEEZZNS1_16scan_by_key_implILNS1_25lookback_scan_determinismE0ELb0ES3_N6thrust23THRUST_200600_302600_NS16reverse_iteratorIPKiEESD_NSA_IPiEEiN6hipcub16HIPCUB_304000_NS3MaxENSH_8EqualityEiEE10hipError_tPvRmT2_T3_T4_T5_mT6_T7_P12ihipStream_tbENKUlT_T0_E_clISt17integral_constantIbLb0EESZ_IbLb1EEEEDaSV_SW_EUlSV_E_NS1_11comp_targetILNS1_3genE4ELNS1_11target_archE910ELNS1_3gpuE8ELNS1_3repE0EEENS1_30default_config_static_selectorELNS0_4arch9wavefront6targetE1EEEvT1_.uses_flat_scratch, 0
	.set _ZN7rocprim17ROCPRIM_400000_NS6detail17trampoline_kernelINS0_14default_configENS1_27scan_by_key_config_selectorIiiEEZZNS1_16scan_by_key_implILNS1_25lookback_scan_determinismE0ELb0ES3_N6thrust23THRUST_200600_302600_NS16reverse_iteratorIPKiEESD_NSA_IPiEEiN6hipcub16HIPCUB_304000_NS3MaxENSH_8EqualityEiEE10hipError_tPvRmT2_T3_T4_T5_mT6_T7_P12ihipStream_tbENKUlT_T0_E_clISt17integral_constantIbLb0EESZ_IbLb1EEEEDaSV_SW_EUlSV_E_NS1_11comp_targetILNS1_3genE4ELNS1_11target_archE910ELNS1_3gpuE8ELNS1_3repE0EEENS1_30default_config_static_selectorELNS0_4arch9wavefront6targetE1EEEvT1_.has_dyn_sized_stack, 0
	.set _ZN7rocprim17ROCPRIM_400000_NS6detail17trampoline_kernelINS0_14default_configENS1_27scan_by_key_config_selectorIiiEEZZNS1_16scan_by_key_implILNS1_25lookback_scan_determinismE0ELb0ES3_N6thrust23THRUST_200600_302600_NS16reverse_iteratorIPKiEESD_NSA_IPiEEiN6hipcub16HIPCUB_304000_NS3MaxENSH_8EqualityEiEE10hipError_tPvRmT2_T3_T4_T5_mT6_T7_P12ihipStream_tbENKUlT_T0_E_clISt17integral_constantIbLb0EESZ_IbLb1EEEEDaSV_SW_EUlSV_E_NS1_11comp_targetILNS1_3genE4ELNS1_11target_archE910ELNS1_3gpuE8ELNS1_3repE0EEENS1_30default_config_static_selectorELNS0_4arch9wavefront6targetE1EEEvT1_.has_recursion, 0
	.set _ZN7rocprim17ROCPRIM_400000_NS6detail17trampoline_kernelINS0_14default_configENS1_27scan_by_key_config_selectorIiiEEZZNS1_16scan_by_key_implILNS1_25lookback_scan_determinismE0ELb0ES3_N6thrust23THRUST_200600_302600_NS16reverse_iteratorIPKiEESD_NSA_IPiEEiN6hipcub16HIPCUB_304000_NS3MaxENSH_8EqualityEiEE10hipError_tPvRmT2_T3_T4_T5_mT6_T7_P12ihipStream_tbENKUlT_T0_E_clISt17integral_constantIbLb0EESZ_IbLb1EEEEDaSV_SW_EUlSV_E_NS1_11comp_targetILNS1_3genE4ELNS1_11target_archE910ELNS1_3gpuE8ELNS1_3repE0EEENS1_30default_config_static_selectorELNS0_4arch9wavefront6targetE1EEEvT1_.has_indirect_call, 0
	.section	.AMDGPU.csdata,"",@progbits
; Kernel info:
; codeLenInByte = 0
; TotalNumSgprs: 6
; NumVgprs: 0
; NumAgprs: 0
; TotalNumVgprs: 0
; ScratchSize: 0
; MemoryBound: 0
; FloatMode: 240
; IeeeMode: 1
; LDSByteSize: 0 bytes/workgroup (compile time only)
; SGPRBlocks: 0
; VGPRBlocks: 0
; NumSGPRsForWavesPerEU: 6
; NumVGPRsForWavesPerEU: 1
; AccumOffset: 4
; Occupancy: 8
; WaveLimiterHint : 0
; COMPUTE_PGM_RSRC2:SCRATCH_EN: 0
; COMPUTE_PGM_RSRC2:USER_SGPR: 2
; COMPUTE_PGM_RSRC2:TRAP_HANDLER: 0
; COMPUTE_PGM_RSRC2:TGID_X_EN: 1
; COMPUTE_PGM_RSRC2:TGID_Y_EN: 0
; COMPUTE_PGM_RSRC2:TGID_Z_EN: 0
; COMPUTE_PGM_RSRC2:TIDIG_COMP_CNT: 0
; COMPUTE_PGM_RSRC3_GFX90A:ACCUM_OFFSET: 0
; COMPUTE_PGM_RSRC3_GFX90A:TG_SPLIT: 0
	.section	.text._ZN7rocprim17ROCPRIM_400000_NS6detail17trampoline_kernelINS0_14default_configENS1_27scan_by_key_config_selectorIiiEEZZNS1_16scan_by_key_implILNS1_25lookback_scan_determinismE0ELb0ES3_N6thrust23THRUST_200600_302600_NS16reverse_iteratorIPKiEESD_NSA_IPiEEiN6hipcub16HIPCUB_304000_NS3MaxENSH_8EqualityEiEE10hipError_tPvRmT2_T3_T4_T5_mT6_T7_P12ihipStream_tbENKUlT_T0_E_clISt17integral_constantIbLb0EESZ_IbLb1EEEEDaSV_SW_EUlSV_E_NS1_11comp_targetILNS1_3genE3ELNS1_11target_archE908ELNS1_3gpuE7ELNS1_3repE0EEENS1_30default_config_static_selectorELNS0_4arch9wavefront6targetE1EEEvT1_,"axG",@progbits,_ZN7rocprim17ROCPRIM_400000_NS6detail17trampoline_kernelINS0_14default_configENS1_27scan_by_key_config_selectorIiiEEZZNS1_16scan_by_key_implILNS1_25lookback_scan_determinismE0ELb0ES3_N6thrust23THRUST_200600_302600_NS16reverse_iteratorIPKiEESD_NSA_IPiEEiN6hipcub16HIPCUB_304000_NS3MaxENSH_8EqualityEiEE10hipError_tPvRmT2_T3_T4_T5_mT6_T7_P12ihipStream_tbENKUlT_T0_E_clISt17integral_constantIbLb0EESZ_IbLb1EEEEDaSV_SW_EUlSV_E_NS1_11comp_targetILNS1_3genE3ELNS1_11target_archE908ELNS1_3gpuE7ELNS1_3repE0EEENS1_30default_config_static_selectorELNS0_4arch9wavefront6targetE1EEEvT1_,comdat
	.protected	_ZN7rocprim17ROCPRIM_400000_NS6detail17trampoline_kernelINS0_14default_configENS1_27scan_by_key_config_selectorIiiEEZZNS1_16scan_by_key_implILNS1_25lookback_scan_determinismE0ELb0ES3_N6thrust23THRUST_200600_302600_NS16reverse_iteratorIPKiEESD_NSA_IPiEEiN6hipcub16HIPCUB_304000_NS3MaxENSH_8EqualityEiEE10hipError_tPvRmT2_T3_T4_T5_mT6_T7_P12ihipStream_tbENKUlT_T0_E_clISt17integral_constantIbLb0EESZ_IbLb1EEEEDaSV_SW_EUlSV_E_NS1_11comp_targetILNS1_3genE3ELNS1_11target_archE908ELNS1_3gpuE7ELNS1_3repE0EEENS1_30default_config_static_selectorELNS0_4arch9wavefront6targetE1EEEvT1_ ; -- Begin function _ZN7rocprim17ROCPRIM_400000_NS6detail17trampoline_kernelINS0_14default_configENS1_27scan_by_key_config_selectorIiiEEZZNS1_16scan_by_key_implILNS1_25lookback_scan_determinismE0ELb0ES3_N6thrust23THRUST_200600_302600_NS16reverse_iteratorIPKiEESD_NSA_IPiEEiN6hipcub16HIPCUB_304000_NS3MaxENSH_8EqualityEiEE10hipError_tPvRmT2_T3_T4_T5_mT6_T7_P12ihipStream_tbENKUlT_T0_E_clISt17integral_constantIbLb0EESZ_IbLb1EEEEDaSV_SW_EUlSV_E_NS1_11comp_targetILNS1_3genE3ELNS1_11target_archE908ELNS1_3gpuE7ELNS1_3repE0EEENS1_30default_config_static_selectorELNS0_4arch9wavefront6targetE1EEEvT1_
	.globl	_ZN7rocprim17ROCPRIM_400000_NS6detail17trampoline_kernelINS0_14default_configENS1_27scan_by_key_config_selectorIiiEEZZNS1_16scan_by_key_implILNS1_25lookback_scan_determinismE0ELb0ES3_N6thrust23THRUST_200600_302600_NS16reverse_iteratorIPKiEESD_NSA_IPiEEiN6hipcub16HIPCUB_304000_NS3MaxENSH_8EqualityEiEE10hipError_tPvRmT2_T3_T4_T5_mT6_T7_P12ihipStream_tbENKUlT_T0_E_clISt17integral_constantIbLb0EESZ_IbLb1EEEEDaSV_SW_EUlSV_E_NS1_11comp_targetILNS1_3genE3ELNS1_11target_archE908ELNS1_3gpuE7ELNS1_3repE0EEENS1_30default_config_static_selectorELNS0_4arch9wavefront6targetE1EEEvT1_
	.p2align	8
	.type	_ZN7rocprim17ROCPRIM_400000_NS6detail17trampoline_kernelINS0_14default_configENS1_27scan_by_key_config_selectorIiiEEZZNS1_16scan_by_key_implILNS1_25lookback_scan_determinismE0ELb0ES3_N6thrust23THRUST_200600_302600_NS16reverse_iteratorIPKiEESD_NSA_IPiEEiN6hipcub16HIPCUB_304000_NS3MaxENSH_8EqualityEiEE10hipError_tPvRmT2_T3_T4_T5_mT6_T7_P12ihipStream_tbENKUlT_T0_E_clISt17integral_constantIbLb0EESZ_IbLb1EEEEDaSV_SW_EUlSV_E_NS1_11comp_targetILNS1_3genE3ELNS1_11target_archE908ELNS1_3gpuE7ELNS1_3repE0EEENS1_30default_config_static_selectorELNS0_4arch9wavefront6targetE1EEEvT1_,@function
_ZN7rocprim17ROCPRIM_400000_NS6detail17trampoline_kernelINS0_14default_configENS1_27scan_by_key_config_selectorIiiEEZZNS1_16scan_by_key_implILNS1_25lookback_scan_determinismE0ELb0ES3_N6thrust23THRUST_200600_302600_NS16reverse_iteratorIPKiEESD_NSA_IPiEEiN6hipcub16HIPCUB_304000_NS3MaxENSH_8EqualityEiEE10hipError_tPvRmT2_T3_T4_T5_mT6_T7_P12ihipStream_tbENKUlT_T0_E_clISt17integral_constantIbLb0EESZ_IbLb1EEEEDaSV_SW_EUlSV_E_NS1_11comp_targetILNS1_3genE3ELNS1_11target_archE908ELNS1_3gpuE7ELNS1_3repE0EEENS1_30default_config_static_selectorELNS0_4arch9wavefront6targetE1EEEvT1_: ; @_ZN7rocprim17ROCPRIM_400000_NS6detail17trampoline_kernelINS0_14default_configENS1_27scan_by_key_config_selectorIiiEEZZNS1_16scan_by_key_implILNS1_25lookback_scan_determinismE0ELb0ES3_N6thrust23THRUST_200600_302600_NS16reverse_iteratorIPKiEESD_NSA_IPiEEiN6hipcub16HIPCUB_304000_NS3MaxENSH_8EqualityEiEE10hipError_tPvRmT2_T3_T4_T5_mT6_T7_P12ihipStream_tbENKUlT_T0_E_clISt17integral_constantIbLb0EESZ_IbLb1EEEEDaSV_SW_EUlSV_E_NS1_11comp_targetILNS1_3genE3ELNS1_11target_archE908ELNS1_3gpuE7ELNS1_3repE0EEENS1_30default_config_static_selectorELNS0_4arch9wavefront6targetE1EEEvT1_
; %bb.0:
	.section	.rodata,"a",@progbits
	.p2align	6, 0x0
	.amdhsa_kernel _ZN7rocprim17ROCPRIM_400000_NS6detail17trampoline_kernelINS0_14default_configENS1_27scan_by_key_config_selectorIiiEEZZNS1_16scan_by_key_implILNS1_25lookback_scan_determinismE0ELb0ES3_N6thrust23THRUST_200600_302600_NS16reverse_iteratorIPKiEESD_NSA_IPiEEiN6hipcub16HIPCUB_304000_NS3MaxENSH_8EqualityEiEE10hipError_tPvRmT2_T3_T4_T5_mT6_T7_P12ihipStream_tbENKUlT_T0_E_clISt17integral_constantIbLb0EESZ_IbLb1EEEEDaSV_SW_EUlSV_E_NS1_11comp_targetILNS1_3genE3ELNS1_11target_archE908ELNS1_3gpuE7ELNS1_3repE0EEENS1_30default_config_static_selectorELNS0_4arch9wavefront6targetE1EEEvT1_
		.amdhsa_group_segment_fixed_size 0
		.amdhsa_private_segment_fixed_size 0
		.amdhsa_kernarg_size 112
		.amdhsa_user_sgpr_count 2
		.amdhsa_user_sgpr_dispatch_ptr 0
		.amdhsa_user_sgpr_queue_ptr 0
		.amdhsa_user_sgpr_kernarg_segment_ptr 1
		.amdhsa_user_sgpr_dispatch_id 0
		.amdhsa_user_sgpr_kernarg_preload_length 0
		.amdhsa_user_sgpr_kernarg_preload_offset 0
		.amdhsa_user_sgpr_private_segment_size 0
		.amdhsa_uses_dynamic_stack 0
		.amdhsa_enable_private_segment 0
		.amdhsa_system_sgpr_workgroup_id_x 1
		.amdhsa_system_sgpr_workgroup_id_y 0
		.amdhsa_system_sgpr_workgroup_id_z 0
		.amdhsa_system_sgpr_workgroup_info 0
		.amdhsa_system_vgpr_workitem_id 0
		.amdhsa_next_free_vgpr 1
		.amdhsa_next_free_sgpr 0
		.amdhsa_accum_offset 4
		.amdhsa_reserve_vcc 0
		.amdhsa_float_round_mode_32 0
		.amdhsa_float_round_mode_16_64 0
		.amdhsa_float_denorm_mode_32 3
		.amdhsa_float_denorm_mode_16_64 3
		.amdhsa_dx10_clamp 1
		.amdhsa_ieee_mode 1
		.amdhsa_fp16_overflow 0
		.amdhsa_tg_split 0
		.amdhsa_exception_fp_ieee_invalid_op 0
		.amdhsa_exception_fp_denorm_src 0
		.amdhsa_exception_fp_ieee_div_zero 0
		.amdhsa_exception_fp_ieee_overflow 0
		.amdhsa_exception_fp_ieee_underflow 0
		.amdhsa_exception_fp_ieee_inexact 0
		.amdhsa_exception_int_div_zero 0
	.end_amdhsa_kernel
	.section	.text._ZN7rocprim17ROCPRIM_400000_NS6detail17trampoline_kernelINS0_14default_configENS1_27scan_by_key_config_selectorIiiEEZZNS1_16scan_by_key_implILNS1_25lookback_scan_determinismE0ELb0ES3_N6thrust23THRUST_200600_302600_NS16reverse_iteratorIPKiEESD_NSA_IPiEEiN6hipcub16HIPCUB_304000_NS3MaxENSH_8EqualityEiEE10hipError_tPvRmT2_T3_T4_T5_mT6_T7_P12ihipStream_tbENKUlT_T0_E_clISt17integral_constantIbLb0EESZ_IbLb1EEEEDaSV_SW_EUlSV_E_NS1_11comp_targetILNS1_3genE3ELNS1_11target_archE908ELNS1_3gpuE7ELNS1_3repE0EEENS1_30default_config_static_selectorELNS0_4arch9wavefront6targetE1EEEvT1_,"axG",@progbits,_ZN7rocprim17ROCPRIM_400000_NS6detail17trampoline_kernelINS0_14default_configENS1_27scan_by_key_config_selectorIiiEEZZNS1_16scan_by_key_implILNS1_25lookback_scan_determinismE0ELb0ES3_N6thrust23THRUST_200600_302600_NS16reverse_iteratorIPKiEESD_NSA_IPiEEiN6hipcub16HIPCUB_304000_NS3MaxENSH_8EqualityEiEE10hipError_tPvRmT2_T3_T4_T5_mT6_T7_P12ihipStream_tbENKUlT_T0_E_clISt17integral_constantIbLb0EESZ_IbLb1EEEEDaSV_SW_EUlSV_E_NS1_11comp_targetILNS1_3genE3ELNS1_11target_archE908ELNS1_3gpuE7ELNS1_3repE0EEENS1_30default_config_static_selectorELNS0_4arch9wavefront6targetE1EEEvT1_,comdat
.Lfunc_end87:
	.size	_ZN7rocprim17ROCPRIM_400000_NS6detail17trampoline_kernelINS0_14default_configENS1_27scan_by_key_config_selectorIiiEEZZNS1_16scan_by_key_implILNS1_25lookback_scan_determinismE0ELb0ES3_N6thrust23THRUST_200600_302600_NS16reverse_iteratorIPKiEESD_NSA_IPiEEiN6hipcub16HIPCUB_304000_NS3MaxENSH_8EqualityEiEE10hipError_tPvRmT2_T3_T4_T5_mT6_T7_P12ihipStream_tbENKUlT_T0_E_clISt17integral_constantIbLb0EESZ_IbLb1EEEEDaSV_SW_EUlSV_E_NS1_11comp_targetILNS1_3genE3ELNS1_11target_archE908ELNS1_3gpuE7ELNS1_3repE0EEENS1_30default_config_static_selectorELNS0_4arch9wavefront6targetE1EEEvT1_, .Lfunc_end87-_ZN7rocprim17ROCPRIM_400000_NS6detail17trampoline_kernelINS0_14default_configENS1_27scan_by_key_config_selectorIiiEEZZNS1_16scan_by_key_implILNS1_25lookback_scan_determinismE0ELb0ES3_N6thrust23THRUST_200600_302600_NS16reverse_iteratorIPKiEESD_NSA_IPiEEiN6hipcub16HIPCUB_304000_NS3MaxENSH_8EqualityEiEE10hipError_tPvRmT2_T3_T4_T5_mT6_T7_P12ihipStream_tbENKUlT_T0_E_clISt17integral_constantIbLb0EESZ_IbLb1EEEEDaSV_SW_EUlSV_E_NS1_11comp_targetILNS1_3genE3ELNS1_11target_archE908ELNS1_3gpuE7ELNS1_3repE0EEENS1_30default_config_static_selectorELNS0_4arch9wavefront6targetE1EEEvT1_
                                        ; -- End function
	.set _ZN7rocprim17ROCPRIM_400000_NS6detail17trampoline_kernelINS0_14default_configENS1_27scan_by_key_config_selectorIiiEEZZNS1_16scan_by_key_implILNS1_25lookback_scan_determinismE0ELb0ES3_N6thrust23THRUST_200600_302600_NS16reverse_iteratorIPKiEESD_NSA_IPiEEiN6hipcub16HIPCUB_304000_NS3MaxENSH_8EqualityEiEE10hipError_tPvRmT2_T3_T4_T5_mT6_T7_P12ihipStream_tbENKUlT_T0_E_clISt17integral_constantIbLb0EESZ_IbLb1EEEEDaSV_SW_EUlSV_E_NS1_11comp_targetILNS1_3genE3ELNS1_11target_archE908ELNS1_3gpuE7ELNS1_3repE0EEENS1_30default_config_static_selectorELNS0_4arch9wavefront6targetE1EEEvT1_.num_vgpr, 0
	.set _ZN7rocprim17ROCPRIM_400000_NS6detail17trampoline_kernelINS0_14default_configENS1_27scan_by_key_config_selectorIiiEEZZNS1_16scan_by_key_implILNS1_25lookback_scan_determinismE0ELb0ES3_N6thrust23THRUST_200600_302600_NS16reverse_iteratorIPKiEESD_NSA_IPiEEiN6hipcub16HIPCUB_304000_NS3MaxENSH_8EqualityEiEE10hipError_tPvRmT2_T3_T4_T5_mT6_T7_P12ihipStream_tbENKUlT_T0_E_clISt17integral_constantIbLb0EESZ_IbLb1EEEEDaSV_SW_EUlSV_E_NS1_11comp_targetILNS1_3genE3ELNS1_11target_archE908ELNS1_3gpuE7ELNS1_3repE0EEENS1_30default_config_static_selectorELNS0_4arch9wavefront6targetE1EEEvT1_.num_agpr, 0
	.set _ZN7rocprim17ROCPRIM_400000_NS6detail17trampoline_kernelINS0_14default_configENS1_27scan_by_key_config_selectorIiiEEZZNS1_16scan_by_key_implILNS1_25lookback_scan_determinismE0ELb0ES3_N6thrust23THRUST_200600_302600_NS16reverse_iteratorIPKiEESD_NSA_IPiEEiN6hipcub16HIPCUB_304000_NS3MaxENSH_8EqualityEiEE10hipError_tPvRmT2_T3_T4_T5_mT6_T7_P12ihipStream_tbENKUlT_T0_E_clISt17integral_constantIbLb0EESZ_IbLb1EEEEDaSV_SW_EUlSV_E_NS1_11comp_targetILNS1_3genE3ELNS1_11target_archE908ELNS1_3gpuE7ELNS1_3repE0EEENS1_30default_config_static_selectorELNS0_4arch9wavefront6targetE1EEEvT1_.numbered_sgpr, 0
	.set _ZN7rocprim17ROCPRIM_400000_NS6detail17trampoline_kernelINS0_14default_configENS1_27scan_by_key_config_selectorIiiEEZZNS1_16scan_by_key_implILNS1_25lookback_scan_determinismE0ELb0ES3_N6thrust23THRUST_200600_302600_NS16reverse_iteratorIPKiEESD_NSA_IPiEEiN6hipcub16HIPCUB_304000_NS3MaxENSH_8EqualityEiEE10hipError_tPvRmT2_T3_T4_T5_mT6_T7_P12ihipStream_tbENKUlT_T0_E_clISt17integral_constantIbLb0EESZ_IbLb1EEEEDaSV_SW_EUlSV_E_NS1_11comp_targetILNS1_3genE3ELNS1_11target_archE908ELNS1_3gpuE7ELNS1_3repE0EEENS1_30default_config_static_selectorELNS0_4arch9wavefront6targetE1EEEvT1_.num_named_barrier, 0
	.set _ZN7rocprim17ROCPRIM_400000_NS6detail17trampoline_kernelINS0_14default_configENS1_27scan_by_key_config_selectorIiiEEZZNS1_16scan_by_key_implILNS1_25lookback_scan_determinismE0ELb0ES3_N6thrust23THRUST_200600_302600_NS16reverse_iteratorIPKiEESD_NSA_IPiEEiN6hipcub16HIPCUB_304000_NS3MaxENSH_8EqualityEiEE10hipError_tPvRmT2_T3_T4_T5_mT6_T7_P12ihipStream_tbENKUlT_T0_E_clISt17integral_constantIbLb0EESZ_IbLb1EEEEDaSV_SW_EUlSV_E_NS1_11comp_targetILNS1_3genE3ELNS1_11target_archE908ELNS1_3gpuE7ELNS1_3repE0EEENS1_30default_config_static_selectorELNS0_4arch9wavefront6targetE1EEEvT1_.private_seg_size, 0
	.set _ZN7rocprim17ROCPRIM_400000_NS6detail17trampoline_kernelINS0_14default_configENS1_27scan_by_key_config_selectorIiiEEZZNS1_16scan_by_key_implILNS1_25lookback_scan_determinismE0ELb0ES3_N6thrust23THRUST_200600_302600_NS16reverse_iteratorIPKiEESD_NSA_IPiEEiN6hipcub16HIPCUB_304000_NS3MaxENSH_8EqualityEiEE10hipError_tPvRmT2_T3_T4_T5_mT6_T7_P12ihipStream_tbENKUlT_T0_E_clISt17integral_constantIbLb0EESZ_IbLb1EEEEDaSV_SW_EUlSV_E_NS1_11comp_targetILNS1_3genE3ELNS1_11target_archE908ELNS1_3gpuE7ELNS1_3repE0EEENS1_30default_config_static_selectorELNS0_4arch9wavefront6targetE1EEEvT1_.uses_vcc, 0
	.set _ZN7rocprim17ROCPRIM_400000_NS6detail17trampoline_kernelINS0_14default_configENS1_27scan_by_key_config_selectorIiiEEZZNS1_16scan_by_key_implILNS1_25lookback_scan_determinismE0ELb0ES3_N6thrust23THRUST_200600_302600_NS16reverse_iteratorIPKiEESD_NSA_IPiEEiN6hipcub16HIPCUB_304000_NS3MaxENSH_8EqualityEiEE10hipError_tPvRmT2_T3_T4_T5_mT6_T7_P12ihipStream_tbENKUlT_T0_E_clISt17integral_constantIbLb0EESZ_IbLb1EEEEDaSV_SW_EUlSV_E_NS1_11comp_targetILNS1_3genE3ELNS1_11target_archE908ELNS1_3gpuE7ELNS1_3repE0EEENS1_30default_config_static_selectorELNS0_4arch9wavefront6targetE1EEEvT1_.uses_flat_scratch, 0
	.set _ZN7rocprim17ROCPRIM_400000_NS6detail17trampoline_kernelINS0_14default_configENS1_27scan_by_key_config_selectorIiiEEZZNS1_16scan_by_key_implILNS1_25lookback_scan_determinismE0ELb0ES3_N6thrust23THRUST_200600_302600_NS16reverse_iteratorIPKiEESD_NSA_IPiEEiN6hipcub16HIPCUB_304000_NS3MaxENSH_8EqualityEiEE10hipError_tPvRmT2_T3_T4_T5_mT6_T7_P12ihipStream_tbENKUlT_T0_E_clISt17integral_constantIbLb0EESZ_IbLb1EEEEDaSV_SW_EUlSV_E_NS1_11comp_targetILNS1_3genE3ELNS1_11target_archE908ELNS1_3gpuE7ELNS1_3repE0EEENS1_30default_config_static_selectorELNS0_4arch9wavefront6targetE1EEEvT1_.has_dyn_sized_stack, 0
	.set _ZN7rocprim17ROCPRIM_400000_NS6detail17trampoline_kernelINS0_14default_configENS1_27scan_by_key_config_selectorIiiEEZZNS1_16scan_by_key_implILNS1_25lookback_scan_determinismE0ELb0ES3_N6thrust23THRUST_200600_302600_NS16reverse_iteratorIPKiEESD_NSA_IPiEEiN6hipcub16HIPCUB_304000_NS3MaxENSH_8EqualityEiEE10hipError_tPvRmT2_T3_T4_T5_mT6_T7_P12ihipStream_tbENKUlT_T0_E_clISt17integral_constantIbLb0EESZ_IbLb1EEEEDaSV_SW_EUlSV_E_NS1_11comp_targetILNS1_3genE3ELNS1_11target_archE908ELNS1_3gpuE7ELNS1_3repE0EEENS1_30default_config_static_selectorELNS0_4arch9wavefront6targetE1EEEvT1_.has_recursion, 0
	.set _ZN7rocprim17ROCPRIM_400000_NS6detail17trampoline_kernelINS0_14default_configENS1_27scan_by_key_config_selectorIiiEEZZNS1_16scan_by_key_implILNS1_25lookback_scan_determinismE0ELb0ES3_N6thrust23THRUST_200600_302600_NS16reverse_iteratorIPKiEESD_NSA_IPiEEiN6hipcub16HIPCUB_304000_NS3MaxENSH_8EqualityEiEE10hipError_tPvRmT2_T3_T4_T5_mT6_T7_P12ihipStream_tbENKUlT_T0_E_clISt17integral_constantIbLb0EESZ_IbLb1EEEEDaSV_SW_EUlSV_E_NS1_11comp_targetILNS1_3genE3ELNS1_11target_archE908ELNS1_3gpuE7ELNS1_3repE0EEENS1_30default_config_static_selectorELNS0_4arch9wavefront6targetE1EEEvT1_.has_indirect_call, 0
	.section	.AMDGPU.csdata,"",@progbits
; Kernel info:
; codeLenInByte = 0
; TotalNumSgprs: 6
; NumVgprs: 0
; NumAgprs: 0
; TotalNumVgprs: 0
; ScratchSize: 0
; MemoryBound: 0
; FloatMode: 240
; IeeeMode: 1
; LDSByteSize: 0 bytes/workgroup (compile time only)
; SGPRBlocks: 0
; VGPRBlocks: 0
; NumSGPRsForWavesPerEU: 6
; NumVGPRsForWavesPerEU: 1
; AccumOffset: 4
; Occupancy: 8
; WaveLimiterHint : 0
; COMPUTE_PGM_RSRC2:SCRATCH_EN: 0
; COMPUTE_PGM_RSRC2:USER_SGPR: 2
; COMPUTE_PGM_RSRC2:TRAP_HANDLER: 0
; COMPUTE_PGM_RSRC2:TGID_X_EN: 1
; COMPUTE_PGM_RSRC2:TGID_Y_EN: 0
; COMPUTE_PGM_RSRC2:TGID_Z_EN: 0
; COMPUTE_PGM_RSRC2:TIDIG_COMP_CNT: 0
; COMPUTE_PGM_RSRC3_GFX90A:ACCUM_OFFSET: 0
; COMPUTE_PGM_RSRC3_GFX90A:TG_SPLIT: 0
	.section	.text._ZN7rocprim17ROCPRIM_400000_NS6detail17trampoline_kernelINS0_14default_configENS1_27scan_by_key_config_selectorIiiEEZZNS1_16scan_by_key_implILNS1_25lookback_scan_determinismE0ELb0ES3_N6thrust23THRUST_200600_302600_NS16reverse_iteratorIPKiEESD_NSA_IPiEEiN6hipcub16HIPCUB_304000_NS3MaxENSH_8EqualityEiEE10hipError_tPvRmT2_T3_T4_T5_mT6_T7_P12ihipStream_tbENKUlT_T0_E_clISt17integral_constantIbLb0EESZ_IbLb1EEEEDaSV_SW_EUlSV_E_NS1_11comp_targetILNS1_3genE2ELNS1_11target_archE906ELNS1_3gpuE6ELNS1_3repE0EEENS1_30default_config_static_selectorELNS0_4arch9wavefront6targetE1EEEvT1_,"axG",@progbits,_ZN7rocprim17ROCPRIM_400000_NS6detail17trampoline_kernelINS0_14default_configENS1_27scan_by_key_config_selectorIiiEEZZNS1_16scan_by_key_implILNS1_25lookback_scan_determinismE0ELb0ES3_N6thrust23THRUST_200600_302600_NS16reverse_iteratorIPKiEESD_NSA_IPiEEiN6hipcub16HIPCUB_304000_NS3MaxENSH_8EqualityEiEE10hipError_tPvRmT2_T3_T4_T5_mT6_T7_P12ihipStream_tbENKUlT_T0_E_clISt17integral_constantIbLb0EESZ_IbLb1EEEEDaSV_SW_EUlSV_E_NS1_11comp_targetILNS1_3genE2ELNS1_11target_archE906ELNS1_3gpuE6ELNS1_3repE0EEENS1_30default_config_static_selectorELNS0_4arch9wavefront6targetE1EEEvT1_,comdat
	.protected	_ZN7rocprim17ROCPRIM_400000_NS6detail17trampoline_kernelINS0_14default_configENS1_27scan_by_key_config_selectorIiiEEZZNS1_16scan_by_key_implILNS1_25lookback_scan_determinismE0ELb0ES3_N6thrust23THRUST_200600_302600_NS16reverse_iteratorIPKiEESD_NSA_IPiEEiN6hipcub16HIPCUB_304000_NS3MaxENSH_8EqualityEiEE10hipError_tPvRmT2_T3_T4_T5_mT6_T7_P12ihipStream_tbENKUlT_T0_E_clISt17integral_constantIbLb0EESZ_IbLb1EEEEDaSV_SW_EUlSV_E_NS1_11comp_targetILNS1_3genE2ELNS1_11target_archE906ELNS1_3gpuE6ELNS1_3repE0EEENS1_30default_config_static_selectorELNS0_4arch9wavefront6targetE1EEEvT1_ ; -- Begin function _ZN7rocprim17ROCPRIM_400000_NS6detail17trampoline_kernelINS0_14default_configENS1_27scan_by_key_config_selectorIiiEEZZNS1_16scan_by_key_implILNS1_25lookback_scan_determinismE0ELb0ES3_N6thrust23THRUST_200600_302600_NS16reverse_iteratorIPKiEESD_NSA_IPiEEiN6hipcub16HIPCUB_304000_NS3MaxENSH_8EqualityEiEE10hipError_tPvRmT2_T3_T4_T5_mT6_T7_P12ihipStream_tbENKUlT_T0_E_clISt17integral_constantIbLb0EESZ_IbLb1EEEEDaSV_SW_EUlSV_E_NS1_11comp_targetILNS1_3genE2ELNS1_11target_archE906ELNS1_3gpuE6ELNS1_3repE0EEENS1_30default_config_static_selectorELNS0_4arch9wavefront6targetE1EEEvT1_
	.globl	_ZN7rocprim17ROCPRIM_400000_NS6detail17trampoline_kernelINS0_14default_configENS1_27scan_by_key_config_selectorIiiEEZZNS1_16scan_by_key_implILNS1_25lookback_scan_determinismE0ELb0ES3_N6thrust23THRUST_200600_302600_NS16reverse_iteratorIPKiEESD_NSA_IPiEEiN6hipcub16HIPCUB_304000_NS3MaxENSH_8EqualityEiEE10hipError_tPvRmT2_T3_T4_T5_mT6_T7_P12ihipStream_tbENKUlT_T0_E_clISt17integral_constantIbLb0EESZ_IbLb1EEEEDaSV_SW_EUlSV_E_NS1_11comp_targetILNS1_3genE2ELNS1_11target_archE906ELNS1_3gpuE6ELNS1_3repE0EEENS1_30default_config_static_selectorELNS0_4arch9wavefront6targetE1EEEvT1_
	.p2align	8
	.type	_ZN7rocprim17ROCPRIM_400000_NS6detail17trampoline_kernelINS0_14default_configENS1_27scan_by_key_config_selectorIiiEEZZNS1_16scan_by_key_implILNS1_25lookback_scan_determinismE0ELb0ES3_N6thrust23THRUST_200600_302600_NS16reverse_iteratorIPKiEESD_NSA_IPiEEiN6hipcub16HIPCUB_304000_NS3MaxENSH_8EqualityEiEE10hipError_tPvRmT2_T3_T4_T5_mT6_T7_P12ihipStream_tbENKUlT_T0_E_clISt17integral_constantIbLb0EESZ_IbLb1EEEEDaSV_SW_EUlSV_E_NS1_11comp_targetILNS1_3genE2ELNS1_11target_archE906ELNS1_3gpuE6ELNS1_3repE0EEENS1_30default_config_static_selectorELNS0_4arch9wavefront6targetE1EEEvT1_,@function
_ZN7rocprim17ROCPRIM_400000_NS6detail17trampoline_kernelINS0_14default_configENS1_27scan_by_key_config_selectorIiiEEZZNS1_16scan_by_key_implILNS1_25lookback_scan_determinismE0ELb0ES3_N6thrust23THRUST_200600_302600_NS16reverse_iteratorIPKiEESD_NSA_IPiEEiN6hipcub16HIPCUB_304000_NS3MaxENSH_8EqualityEiEE10hipError_tPvRmT2_T3_T4_T5_mT6_T7_P12ihipStream_tbENKUlT_T0_E_clISt17integral_constantIbLb0EESZ_IbLb1EEEEDaSV_SW_EUlSV_E_NS1_11comp_targetILNS1_3genE2ELNS1_11target_archE906ELNS1_3gpuE6ELNS1_3repE0EEENS1_30default_config_static_selectorELNS0_4arch9wavefront6targetE1EEEvT1_: ; @_ZN7rocprim17ROCPRIM_400000_NS6detail17trampoline_kernelINS0_14default_configENS1_27scan_by_key_config_selectorIiiEEZZNS1_16scan_by_key_implILNS1_25lookback_scan_determinismE0ELb0ES3_N6thrust23THRUST_200600_302600_NS16reverse_iteratorIPKiEESD_NSA_IPiEEiN6hipcub16HIPCUB_304000_NS3MaxENSH_8EqualityEiEE10hipError_tPvRmT2_T3_T4_T5_mT6_T7_P12ihipStream_tbENKUlT_T0_E_clISt17integral_constantIbLb0EESZ_IbLb1EEEEDaSV_SW_EUlSV_E_NS1_11comp_targetILNS1_3genE2ELNS1_11target_archE906ELNS1_3gpuE6ELNS1_3repE0EEENS1_30default_config_static_selectorELNS0_4arch9wavefront6targetE1EEEvT1_
; %bb.0:
	.section	.rodata,"a",@progbits
	.p2align	6, 0x0
	.amdhsa_kernel _ZN7rocprim17ROCPRIM_400000_NS6detail17trampoline_kernelINS0_14default_configENS1_27scan_by_key_config_selectorIiiEEZZNS1_16scan_by_key_implILNS1_25lookback_scan_determinismE0ELb0ES3_N6thrust23THRUST_200600_302600_NS16reverse_iteratorIPKiEESD_NSA_IPiEEiN6hipcub16HIPCUB_304000_NS3MaxENSH_8EqualityEiEE10hipError_tPvRmT2_T3_T4_T5_mT6_T7_P12ihipStream_tbENKUlT_T0_E_clISt17integral_constantIbLb0EESZ_IbLb1EEEEDaSV_SW_EUlSV_E_NS1_11comp_targetILNS1_3genE2ELNS1_11target_archE906ELNS1_3gpuE6ELNS1_3repE0EEENS1_30default_config_static_selectorELNS0_4arch9wavefront6targetE1EEEvT1_
		.amdhsa_group_segment_fixed_size 0
		.amdhsa_private_segment_fixed_size 0
		.amdhsa_kernarg_size 112
		.amdhsa_user_sgpr_count 2
		.amdhsa_user_sgpr_dispatch_ptr 0
		.amdhsa_user_sgpr_queue_ptr 0
		.amdhsa_user_sgpr_kernarg_segment_ptr 1
		.amdhsa_user_sgpr_dispatch_id 0
		.amdhsa_user_sgpr_kernarg_preload_length 0
		.amdhsa_user_sgpr_kernarg_preload_offset 0
		.amdhsa_user_sgpr_private_segment_size 0
		.amdhsa_uses_dynamic_stack 0
		.amdhsa_enable_private_segment 0
		.amdhsa_system_sgpr_workgroup_id_x 1
		.amdhsa_system_sgpr_workgroup_id_y 0
		.amdhsa_system_sgpr_workgroup_id_z 0
		.amdhsa_system_sgpr_workgroup_info 0
		.amdhsa_system_vgpr_workitem_id 0
		.amdhsa_next_free_vgpr 1
		.amdhsa_next_free_sgpr 0
		.amdhsa_accum_offset 4
		.amdhsa_reserve_vcc 0
		.amdhsa_float_round_mode_32 0
		.amdhsa_float_round_mode_16_64 0
		.amdhsa_float_denorm_mode_32 3
		.amdhsa_float_denorm_mode_16_64 3
		.amdhsa_dx10_clamp 1
		.amdhsa_ieee_mode 1
		.amdhsa_fp16_overflow 0
		.amdhsa_tg_split 0
		.amdhsa_exception_fp_ieee_invalid_op 0
		.amdhsa_exception_fp_denorm_src 0
		.amdhsa_exception_fp_ieee_div_zero 0
		.amdhsa_exception_fp_ieee_overflow 0
		.amdhsa_exception_fp_ieee_underflow 0
		.amdhsa_exception_fp_ieee_inexact 0
		.amdhsa_exception_int_div_zero 0
	.end_amdhsa_kernel
	.section	.text._ZN7rocprim17ROCPRIM_400000_NS6detail17trampoline_kernelINS0_14default_configENS1_27scan_by_key_config_selectorIiiEEZZNS1_16scan_by_key_implILNS1_25lookback_scan_determinismE0ELb0ES3_N6thrust23THRUST_200600_302600_NS16reverse_iteratorIPKiEESD_NSA_IPiEEiN6hipcub16HIPCUB_304000_NS3MaxENSH_8EqualityEiEE10hipError_tPvRmT2_T3_T4_T5_mT6_T7_P12ihipStream_tbENKUlT_T0_E_clISt17integral_constantIbLb0EESZ_IbLb1EEEEDaSV_SW_EUlSV_E_NS1_11comp_targetILNS1_3genE2ELNS1_11target_archE906ELNS1_3gpuE6ELNS1_3repE0EEENS1_30default_config_static_selectorELNS0_4arch9wavefront6targetE1EEEvT1_,"axG",@progbits,_ZN7rocprim17ROCPRIM_400000_NS6detail17trampoline_kernelINS0_14default_configENS1_27scan_by_key_config_selectorIiiEEZZNS1_16scan_by_key_implILNS1_25lookback_scan_determinismE0ELb0ES3_N6thrust23THRUST_200600_302600_NS16reverse_iteratorIPKiEESD_NSA_IPiEEiN6hipcub16HIPCUB_304000_NS3MaxENSH_8EqualityEiEE10hipError_tPvRmT2_T3_T4_T5_mT6_T7_P12ihipStream_tbENKUlT_T0_E_clISt17integral_constantIbLb0EESZ_IbLb1EEEEDaSV_SW_EUlSV_E_NS1_11comp_targetILNS1_3genE2ELNS1_11target_archE906ELNS1_3gpuE6ELNS1_3repE0EEENS1_30default_config_static_selectorELNS0_4arch9wavefront6targetE1EEEvT1_,comdat
.Lfunc_end88:
	.size	_ZN7rocprim17ROCPRIM_400000_NS6detail17trampoline_kernelINS0_14default_configENS1_27scan_by_key_config_selectorIiiEEZZNS1_16scan_by_key_implILNS1_25lookback_scan_determinismE0ELb0ES3_N6thrust23THRUST_200600_302600_NS16reverse_iteratorIPKiEESD_NSA_IPiEEiN6hipcub16HIPCUB_304000_NS3MaxENSH_8EqualityEiEE10hipError_tPvRmT2_T3_T4_T5_mT6_T7_P12ihipStream_tbENKUlT_T0_E_clISt17integral_constantIbLb0EESZ_IbLb1EEEEDaSV_SW_EUlSV_E_NS1_11comp_targetILNS1_3genE2ELNS1_11target_archE906ELNS1_3gpuE6ELNS1_3repE0EEENS1_30default_config_static_selectorELNS0_4arch9wavefront6targetE1EEEvT1_, .Lfunc_end88-_ZN7rocprim17ROCPRIM_400000_NS6detail17trampoline_kernelINS0_14default_configENS1_27scan_by_key_config_selectorIiiEEZZNS1_16scan_by_key_implILNS1_25lookback_scan_determinismE0ELb0ES3_N6thrust23THRUST_200600_302600_NS16reverse_iteratorIPKiEESD_NSA_IPiEEiN6hipcub16HIPCUB_304000_NS3MaxENSH_8EqualityEiEE10hipError_tPvRmT2_T3_T4_T5_mT6_T7_P12ihipStream_tbENKUlT_T0_E_clISt17integral_constantIbLb0EESZ_IbLb1EEEEDaSV_SW_EUlSV_E_NS1_11comp_targetILNS1_3genE2ELNS1_11target_archE906ELNS1_3gpuE6ELNS1_3repE0EEENS1_30default_config_static_selectorELNS0_4arch9wavefront6targetE1EEEvT1_
                                        ; -- End function
	.set _ZN7rocprim17ROCPRIM_400000_NS6detail17trampoline_kernelINS0_14default_configENS1_27scan_by_key_config_selectorIiiEEZZNS1_16scan_by_key_implILNS1_25lookback_scan_determinismE0ELb0ES3_N6thrust23THRUST_200600_302600_NS16reverse_iteratorIPKiEESD_NSA_IPiEEiN6hipcub16HIPCUB_304000_NS3MaxENSH_8EqualityEiEE10hipError_tPvRmT2_T3_T4_T5_mT6_T7_P12ihipStream_tbENKUlT_T0_E_clISt17integral_constantIbLb0EESZ_IbLb1EEEEDaSV_SW_EUlSV_E_NS1_11comp_targetILNS1_3genE2ELNS1_11target_archE906ELNS1_3gpuE6ELNS1_3repE0EEENS1_30default_config_static_selectorELNS0_4arch9wavefront6targetE1EEEvT1_.num_vgpr, 0
	.set _ZN7rocprim17ROCPRIM_400000_NS6detail17trampoline_kernelINS0_14default_configENS1_27scan_by_key_config_selectorIiiEEZZNS1_16scan_by_key_implILNS1_25lookback_scan_determinismE0ELb0ES3_N6thrust23THRUST_200600_302600_NS16reverse_iteratorIPKiEESD_NSA_IPiEEiN6hipcub16HIPCUB_304000_NS3MaxENSH_8EqualityEiEE10hipError_tPvRmT2_T3_T4_T5_mT6_T7_P12ihipStream_tbENKUlT_T0_E_clISt17integral_constantIbLb0EESZ_IbLb1EEEEDaSV_SW_EUlSV_E_NS1_11comp_targetILNS1_3genE2ELNS1_11target_archE906ELNS1_3gpuE6ELNS1_3repE0EEENS1_30default_config_static_selectorELNS0_4arch9wavefront6targetE1EEEvT1_.num_agpr, 0
	.set _ZN7rocprim17ROCPRIM_400000_NS6detail17trampoline_kernelINS0_14default_configENS1_27scan_by_key_config_selectorIiiEEZZNS1_16scan_by_key_implILNS1_25lookback_scan_determinismE0ELb0ES3_N6thrust23THRUST_200600_302600_NS16reverse_iteratorIPKiEESD_NSA_IPiEEiN6hipcub16HIPCUB_304000_NS3MaxENSH_8EqualityEiEE10hipError_tPvRmT2_T3_T4_T5_mT6_T7_P12ihipStream_tbENKUlT_T0_E_clISt17integral_constantIbLb0EESZ_IbLb1EEEEDaSV_SW_EUlSV_E_NS1_11comp_targetILNS1_3genE2ELNS1_11target_archE906ELNS1_3gpuE6ELNS1_3repE0EEENS1_30default_config_static_selectorELNS0_4arch9wavefront6targetE1EEEvT1_.numbered_sgpr, 0
	.set _ZN7rocprim17ROCPRIM_400000_NS6detail17trampoline_kernelINS0_14default_configENS1_27scan_by_key_config_selectorIiiEEZZNS1_16scan_by_key_implILNS1_25lookback_scan_determinismE0ELb0ES3_N6thrust23THRUST_200600_302600_NS16reverse_iteratorIPKiEESD_NSA_IPiEEiN6hipcub16HIPCUB_304000_NS3MaxENSH_8EqualityEiEE10hipError_tPvRmT2_T3_T4_T5_mT6_T7_P12ihipStream_tbENKUlT_T0_E_clISt17integral_constantIbLb0EESZ_IbLb1EEEEDaSV_SW_EUlSV_E_NS1_11comp_targetILNS1_3genE2ELNS1_11target_archE906ELNS1_3gpuE6ELNS1_3repE0EEENS1_30default_config_static_selectorELNS0_4arch9wavefront6targetE1EEEvT1_.num_named_barrier, 0
	.set _ZN7rocprim17ROCPRIM_400000_NS6detail17trampoline_kernelINS0_14default_configENS1_27scan_by_key_config_selectorIiiEEZZNS1_16scan_by_key_implILNS1_25lookback_scan_determinismE0ELb0ES3_N6thrust23THRUST_200600_302600_NS16reverse_iteratorIPKiEESD_NSA_IPiEEiN6hipcub16HIPCUB_304000_NS3MaxENSH_8EqualityEiEE10hipError_tPvRmT2_T3_T4_T5_mT6_T7_P12ihipStream_tbENKUlT_T0_E_clISt17integral_constantIbLb0EESZ_IbLb1EEEEDaSV_SW_EUlSV_E_NS1_11comp_targetILNS1_3genE2ELNS1_11target_archE906ELNS1_3gpuE6ELNS1_3repE0EEENS1_30default_config_static_selectorELNS0_4arch9wavefront6targetE1EEEvT1_.private_seg_size, 0
	.set _ZN7rocprim17ROCPRIM_400000_NS6detail17trampoline_kernelINS0_14default_configENS1_27scan_by_key_config_selectorIiiEEZZNS1_16scan_by_key_implILNS1_25lookback_scan_determinismE0ELb0ES3_N6thrust23THRUST_200600_302600_NS16reverse_iteratorIPKiEESD_NSA_IPiEEiN6hipcub16HIPCUB_304000_NS3MaxENSH_8EqualityEiEE10hipError_tPvRmT2_T3_T4_T5_mT6_T7_P12ihipStream_tbENKUlT_T0_E_clISt17integral_constantIbLb0EESZ_IbLb1EEEEDaSV_SW_EUlSV_E_NS1_11comp_targetILNS1_3genE2ELNS1_11target_archE906ELNS1_3gpuE6ELNS1_3repE0EEENS1_30default_config_static_selectorELNS0_4arch9wavefront6targetE1EEEvT1_.uses_vcc, 0
	.set _ZN7rocprim17ROCPRIM_400000_NS6detail17trampoline_kernelINS0_14default_configENS1_27scan_by_key_config_selectorIiiEEZZNS1_16scan_by_key_implILNS1_25lookback_scan_determinismE0ELb0ES3_N6thrust23THRUST_200600_302600_NS16reverse_iteratorIPKiEESD_NSA_IPiEEiN6hipcub16HIPCUB_304000_NS3MaxENSH_8EqualityEiEE10hipError_tPvRmT2_T3_T4_T5_mT6_T7_P12ihipStream_tbENKUlT_T0_E_clISt17integral_constantIbLb0EESZ_IbLb1EEEEDaSV_SW_EUlSV_E_NS1_11comp_targetILNS1_3genE2ELNS1_11target_archE906ELNS1_3gpuE6ELNS1_3repE0EEENS1_30default_config_static_selectorELNS0_4arch9wavefront6targetE1EEEvT1_.uses_flat_scratch, 0
	.set _ZN7rocprim17ROCPRIM_400000_NS6detail17trampoline_kernelINS0_14default_configENS1_27scan_by_key_config_selectorIiiEEZZNS1_16scan_by_key_implILNS1_25lookback_scan_determinismE0ELb0ES3_N6thrust23THRUST_200600_302600_NS16reverse_iteratorIPKiEESD_NSA_IPiEEiN6hipcub16HIPCUB_304000_NS3MaxENSH_8EqualityEiEE10hipError_tPvRmT2_T3_T4_T5_mT6_T7_P12ihipStream_tbENKUlT_T0_E_clISt17integral_constantIbLb0EESZ_IbLb1EEEEDaSV_SW_EUlSV_E_NS1_11comp_targetILNS1_3genE2ELNS1_11target_archE906ELNS1_3gpuE6ELNS1_3repE0EEENS1_30default_config_static_selectorELNS0_4arch9wavefront6targetE1EEEvT1_.has_dyn_sized_stack, 0
	.set _ZN7rocprim17ROCPRIM_400000_NS6detail17trampoline_kernelINS0_14default_configENS1_27scan_by_key_config_selectorIiiEEZZNS1_16scan_by_key_implILNS1_25lookback_scan_determinismE0ELb0ES3_N6thrust23THRUST_200600_302600_NS16reverse_iteratorIPKiEESD_NSA_IPiEEiN6hipcub16HIPCUB_304000_NS3MaxENSH_8EqualityEiEE10hipError_tPvRmT2_T3_T4_T5_mT6_T7_P12ihipStream_tbENKUlT_T0_E_clISt17integral_constantIbLb0EESZ_IbLb1EEEEDaSV_SW_EUlSV_E_NS1_11comp_targetILNS1_3genE2ELNS1_11target_archE906ELNS1_3gpuE6ELNS1_3repE0EEENS1_30default_config_static_selectorELNS0_4arch9wavefront6targetE1EEEvT1_.has_recursion, 0
	.set _ZN7rocprim17ROCPRIM_400000_NS6detail17trampoline_kernelINS0_14default_configENS1_27scan_by_key_config_selectorIiiEEZZNS1_16scan_by_key_implILNS1_25lookback_scan_determinismE0ELb0ES3_N6thrust23THRUST_200600_302600_NS16reverse_iteratorIPKiEESD_NSA_IPiEEiN6hipcub16HIPCUB_304000_NS3MaxENSH_8EqualityEiEE10hipError_tPvRmT2_T3_T4_T5_mT6_T7_P12ihipStream_tbENKUlT_T0_E_clISt17integral_constantIbLb0EESZ_IbLb1EEEEDaSV_SW_EUlSV_E_NS1_11comp_targetILNS1_3genE2ELNS1_11target_archE906ELNS1_3gpuE6ELNS1_3repE0EEENS1_30default_config_static_selectorELNS0_4arch9wavefront6targetE1EEEvT1_.has_indirect_call, 0
	.section	.AMDGPU.csdata,"",@progbits
; Kernel info:
; codeLenInByte = 0
; TotalNumSgprs: 6
; NumVgprs: 0
; NumAgprs: 0
; TotalNumVgprs: 0
; ScratchSize: 0
; MemoryBound: 0
; FloatMode: 240
; IeeeMode: 1
; LDSByteSize: 0 bytes/workgroup (compile time only)
; SGPRBlocks: 0
; VGPRBlocks: 0
; NumSGPRsForWavesPerEU: 6
; NumVGPRsForWavesPerEU: 1
; AccumOffset: 4
; Occupancy: 8
; WaveLimiterHint : 0
; COMPUTE_PGM_RSRC2:SCRATCH_EN: 0
; COMPUTE_PGM_RSRC2:USER_SGPR: 2
; COMPUTE_PGM_RSRC2:TRAP_HANDLER: 0
; COMPUTE_PGM_RSRC2:TGID_X_EN: 1
; COMPUTE_PGM_RSRC2:TGID_Y_EN: 0
; COMPUTE_PGM_RSRC2:TGID_Z_EN: 0
; COMPUTE_PGM_RSRC2:TIDIG_COMP_CNT: 0
; COMPUTE_PGM_RSRC3_GFX90A:ACCUM_OFFSET: 0
; COMPUTE_PGM_RSRC3_GFX90A:TG_SPLIT: 0
	.section	.text._ZN7rocprim17ROCPRIM_400000_NS6detail17trampoline_kernelINS0_14default_configENS1_27scan_by_key_config_selectorIiiEEZZNS1_16scan_by_key_implILNS1_25lookback_scan_determinismE0ELb0ES3_N6thrust23THRUST_200600_302600_NS16reverse_iteratorIPKiEESD_NSA_IPiEEiN6hipcub16HIPCUB_304000_NS3MaxENSH_8EqualityEiEE10hipError_tPvRmT2_T3_T4_T5_mT6_T7_P12ihipStream_tbENKUlT_T0_E_clISt17integral_constantIbLb0EESZ_IbLb1EEEEDaSV_SW_EUlSV_E_NS1_11comp_targetILNS1_3genE10ELNS1_11target_archE1200ELNS1_3gpuE4ELNS1_3repE0EEENS1_30default_config_static_selectorELNS0_4arch9wavefront6targetE1EEEvT1_,"axG",@progbits,_ZN7rocprim17ROCPRIM_400000_NS6detail17trampoline_kernelINS0_14default_configENS1_27scan_by_key_config_selectorIiiEEZZNS1_16scan_by_key_implILNS1_25lookback_scan_determinismE0ELb0ES3_N6thrust23THRUST_200600_302600_NS16reverse_iteratorIPKiEESD_NSA_IPiEEiN6hipcub16HIPCUB_304000_NS3MaxENSH_8EqualityEiEE10hipError_tPvRmT2_T3_T4_T5_mT6_T7_P12ihipStream_tbENKUlT_T0_E_clISt17integral_constantIbLb0EESZ_IbLb1EEEEDaSV_SW_EUlSV_E_NS1_11comp_targetILNS1_3genE10ELNS1_11target_archE1200ELNS1_3gpuE4ELNS1_3repE0EEENS1_30default_config_static_selectorELNS0_4arch9wavefront6targetE1EEEvT1_,comdat
	.protected	_ZN7rocprim17ROCPRIM_400000_NS6detail17trampoline_kernelINS0_14default_configENS1_27scan_by_key_config_selectorIiiEEZZNS1_16scan_by_key_implILNS1_25lookback_scan_determinismE0ELb0ES3_N6thrust23THRUST_200600_302600_NS16reverse_iteratorIPKiEESD_NSA_IPiEEiN6hipcub16HIPCUB_304000_NS3MaxENSH_8EqualityEiEE10hipError_tPvRmT2_T3_T4_T5_mT6_T7_P12ihipStream_tbENKUlT_T0_E_clISt17integral_constantIbLb0EESZ_IbLb1EEEEDaSV_SW_EUlSV_E_NS1_11comp_targetILNS1_3genE10ELNS1_11target_archE1200ELNS1_3gpuE4ELNS1_3repE0EEENS1_30default_config_static_selectorELNS0_4arch9wavefront6targetE1EEEvT1_ ; -- Begin function _ZN7rocprim17ROCPRIM_400000_NS6detail17trampoline_kernelINS0_14default_configENS1_27scan_by_key_config_selectorIiiEEZZNS1_16scan_by_key_implILNS1_25lookback_scan_determinismE0ELb0ES3_N6thrust23THRUST_200600_302600_NS16reverse_iteratorIPKiEESD_NSA_IPiEEiN6hipcub16HIPCUB_304000_NS3MaxENSH_8EqualityEiEE10hipError_tPvRmT2_T3_T4_T5_mT6_T7_P12ihipStream_tbENKUlT_T0_E_clISt17integral_constantIbLb0EESZ_IbLb1EEEEDaSV_SW_EUlSV_E_NS1_11comp_targetILNS1_3genE10ELNS1_11target_archE1200ELNS1_3gpuE4ELNS1_3repE0EEENS1_30default_config_static_selectorELNS0_4arch9wavefront6targetE1EEEvT1_
	.globl	_ZN7rocprim17ROCPRIM_400000_NS6detail17trampoline_kernelINS0_14default_configENS1_27scan_by_key_config_selectorIiiEEZZNS1_16scan_by_key_implILNS1_25lookback_scan_determinismE0ELb0ES3_N6thrust23THRUST_200600_302600_NS16reverse_iteratorIPKiEESD_NSA_IPiEEiN6hipcub16HIPCUB_304000_NS3MaxENSH_8EqualityEiEE10hipError_tPvRmT2_T3_T4_T5_mT6_T7_P12ihipStream_tbENKUlT_T0_E_clISt17integral_constantIbLb0EESZ_IbLb1EEEEDaSV_SW_EUlSV_E_NS1_11comp_targetILNS1_3genE10ELNS1_11target_archE1200ELNS1_3gpuE4ELNS1_3repE0EEENS1_30default_config_static_selectorELNS0_4arch9wavefront6targetE1EEEvT1_
	.p2align	8
	.type	_ZN7rocprim17ROCPRIM_400000_NS6detail17trampoline_kernelINS0_14default_configENS1_27scan_by_key_config_selectorIiiEEZZNS1_16scan_by_key_implILNS1_25lookback_scan_determinismE0ELb0ES3_N6thrust23THRUST_200600_302600_NS16reverse_iteratorIPKiEESD_NSA_IPiEEiN6hipcub16HIPCUB_304000_NS3MaxENSH_8EqualityEiEE10hipError_tPvRmT2_T3_T4_T5_mT6_T7_P12ihipStream_tbENKUlT_T0_E_clISt17integral_constantIbLb0EESZ_IbLb1EEEEDaSV_SW_EUlSV_E_NS1_11comp_targetILNS1_3genE10ELNS1_11target_archE1200ELNS1_3gpuE4ELNS1_3repE0EEENS1_30default_config_static_selectorELNS0_4arch9wavefront6targetE1EEEvT1_,@function
_ZN7rocprim17ROCPRIM_400000_NS6detail17trampoline_kernelINS0_14default_configENS1_27scan_by_key_config_selectorIiiEEZZNS1_16scan_by_key_implILNS1_25lookback_scan_determinismE0ELb0ES3_N6thrust23THRUST_200600_302600_NS16reverse_iteratorIPKiEESD_NSA_IPiEEiN6hipcub16HIPCUB_304000_NS3MaxENSH_8EqualityEiEE10hipError_tPvRmT2_T3_T4_T5_mT6_T7_P12ihipStream_tbENKUlT_T0_E_clISt17integral_constantIbLb0EESZ_IbLb1EEEEDaSV_SW_EUlSV_E_NS1_11comp_targetILNS1_3genE10ELNS1_11target_archE1200ELNS1_3gpuE4ELNS1_3repE0EEENS1_30default_config_static_selectorELNS0_4arch9wavefront6targetE1EEEvT1_: ; @_ZN7rocprim17ROCPRIM_400000_NS6detail17trampoline_kernelINS0_14default_configENS1_27scan_by_key_config_selectorIiiEEZZNS1_16scan_by_key_implILNS1_25lookback_scan_determinismE0ELb0ES3_N6thrust23THRUST_200600_302600_NS16reverse_iteratorIPKiEESD_NSA_IPiEEiN6hipcub16HIPCUB_304000_NS3MaxENSH_8EqualityEiEE10hipError_tPvRmT2_T3_T4_T5_mT6_T7_P12ihipStream_tbENKUlT_T0_E_clISt17integral_constantIbLb0EESZ_IbLb1EEEEDaSV_SW_EUlSV_E_NS1_11comp_targetILNS1_3genE10ELNS1_11target_archE1200ELNS1_3gpuE4ELNS1_3repE0EEENS1_30default_config_static_selectorELNS0_4arch9wavefront6targetE1EEEvT1_
; %bb.0:
	.section	.rodata,"a",@progbits
	.p2align	6, 0x0
	.amdhsa_kernel _ZN7rocprim17ROCPRIM_400000_NS6detail17trampoline_kernelINS0_14default_configENS1_27scan_by_key_config_selectorIiiEEZZNS1_16scan_by_key_implILNS1_25lookback_scan_determinismE0ELb0ES3_N6thrust23THRUST_200600_302600_NS16reverse_iteratorIPKiEESD_NSA_IPiEEiN6hipcub16HIPCUB_304000_NS3MaxENSH_8EqualityEiEE10hipError_tPvRmT2_T3_T4_T5_mT6_T7_P12ihipStream_tbENKUlT_T0_E_clISt17integral_constantIbLb0EESZ_IbLb1EEEEDaSV_SW_EUlSV_E_NS1_11comp_targetILNS1_3genE10ELNS1_11target_archE1200ELNS1_3gpuE4ELNS1_3repE0EEENS1_30default_config_static_selectorELNS0_4arch9wavefront6targetE1EEEvT1_
		.amdhsa_group_segment_fixed_size 0
		.amdhsa_private_segment_fixed_size 0
		.amdhsa_kernarg_size 112
		.amdhsa_user_sgpr_count 2
		.amdhsa_user_sgpr_dispatch_ptr 0
		.amdhsa_user_sgpr_queue_ptr 0
		.amdhsa_user_sgpr_kernarg_segment_ptr 1
		.amdhsa_user_sgpr_dispatch_id 0
		.amdhsa_user_sgpr_kernarg_preload_length 0
		.amdhsa_user_sgpr_kernarg_preload_offset 0
		.amdhsa_user_sgpr_private_segment_size 0
		.amdhsa_uses_dynamic_stack 0
		.amdhsa_enable_private_segment 0
		.amdhsa_system_sgpr_workgroup_id_x 1
		.amdhsa_system_sgpr_workgroup_id_y 0
		.amdhsa_system_sgpr_workgroup_id_z 0
		.amdhsa_system_sgpr_workgroup_info 0
		.amdhsa_system_vgpr_workitem_id 0
		.amdhsa_next_free_vgpr 1
		.amdhsa_next_free_sgpr 0
		.amdhsa_accum_offset 4
		.amdhsa_reserve_vcc 0
		.amdhsa_float_round_mode_32 0
		.amdhsa_float_round_mode_16_64 0
		.amdhsa_float_denorm_mode_32 3
		.amdhsa_float_denorm_mode_16_64 3
		.amdhsa_dx10_clamp 1
		.amdhsa_ieee_mode 1
		.amdhsa_fp16_overflow 0
		.amdhsa_tg_split 0
		.amdhsa_exception_fp_ieee_invalid_op 0
		.amdhsa_exception_fp_denorm_src 0
		.amdhsa_exception_fp_ieee_div_zero 0
		.amdhsa_exception_fp_ieee_overflow 0
		.amdhsa_exception_fp_ieee_underflow 0
		.amdhsa_exception_fp_ieee_inexact 0
		.amdhsa_exception_int_div_zero 0
	.end_amdhsa_kernel
	.section	.text._ZN7rocprim17ROCPRIM_400000_NS6detail17trampoline_kernelINS0_14default_configENS1_27scan_by_key_config_selectorIiiEEZZNS1_16scan_by_key_implILNS1_25lookback_scan_determinismE0ELb0ES3_N6thrust23THRUST_200600_302600_NS16reverse_iteratorIPKiEESD_NSA_IPiEEiN6hipcub16HIPCUB_304000_NS3MaxENSH_8EqualityEiEE10hipError_tPvRmT2_T3_T4_T5_mT6_T7_P12ihipStream_tbENKUlT_T0_E_clISt17integral_constantIbLb0EESZ_IbLb1EEEEDaSV_SW_EUlSV_E_NS1_11comp_targetILNS1_3genE10ELNS1_11target_archE1200ELNS1_3gpuE4ELNS1_3repE0EEENS1_30default_config_static_selectorELNS0_4arch9wavefront6targetE1EEEvT1_,"axG",@progbits,_ZN7rocprim17ROCPRIM_400000_NS6detail17trampoline_kernelINS0_14default_configENS1_27scan_by_key_config_selectorIiiEEZZNS1_16scan_by_key_implILNS1_25lookback_scan_determinismE0ELb0ES3_N6thrust23THRUST_200600_302600_NS16reverse_iteratorIPKiEESD_NSA_IPiEEiN6hipcub16HIPCUB_304000_NS3MaxENSH_8EqualityEiEE10hipError_tPvRmT2_T3_T4_T5_mT6_T7_P12ihipStream_tbENKUlT_T0_E_clISt17integral_constantIbLb0EESZ_IbLb1EEEEDaSV_SW_EUlSV_E_NS1_11comp_targetILNS1_3genE10ELNS1_11target_archE1200ELNS1_3gpuE4ELNS1_3repE0EEENS1_30default_config_static_selectorELNS0_4arch9wavefront6targetE1EEEvT1_,comdat
.Lfunc_end89:
	.size	_ZN7rocprim17ROCPRIM_400000_NS6detail17trampoline_kernelINS0_14default_configENS1_27scan_by_key_config_selectorIiiEEZZNS1_16scan_by_key_implILNS1_25lookback_scan_determinismE0ELb0ES3_N6thrust23THRUST_200600_302600_NS16reverse_iteratorIPKiEESD_NSA_IPiEEiN6hipcub16HIPCUB_304000_NS3MaxENSH_8EqualityEiEE10hipError_tPvRmT2_T3_T4_T5_mT6_T7_P12ihipStream_tbENKUlT_T0_E_clISt17integral_constantIbLb0EESZ_IbLb1EEEEDaSV_SW_EUlSV_E_NS1_11comp_targetILNS1_3genE10ELNS1_11target_archE1200ELNS1_3gpuE4ELNS1_3repE0EEENS1_30default_config_static_selectorELNS0_4arch9wavefront6targetE1EEEvT1_, .Lfunc_end89-_ZN7rocprim17ROCPRIM_400000_NS6detail17trampoline_kernelINS0_14default_configENS1_27scan_by_key_config_selectorIiiEEZZNS1_16scan_by_key_implILNS1_25lookback_scan_determinismE0ELb0ES3_N6thrust23THRUST_200600_302600_NS16reverse_iteratorIPKiEESD_NSA_IPiEEiN6hipcub16HIPCUB_304000_NS3MaxENSH_8EqualityEiEE10hipError_tPvRmT2_T3_T4_T5_mT6_T7_P12ihipStream_tbENKUlT_T0_E_clISt17integral_constantIbLb0EESZ_IbLb1EEEEDaSV_SW_EUlSV_E_NS1_11comp_targetILNS1_3genE10ELNS1_11target_archE1200ELNS1_3gpuE4ELNS1_3repE0EEENS1_30default_config_static_selectorELNS0_4arch9wavefront6targetE1EEEvT1_
                                        ; -- End function
	.set _ZN7rocprim17ROCPRIM_400000_NS6detail17trampoline_kernelINS0_14default_configENS1_27scan_by_key_config_selectorIiiEEZZNS1_16scan_by_key_implILNS1_25lookback_scan_determinismE0ELb0ES3_N6thrust23THRUST_200600_302600_NS16reverse_iteratorIPKiEESD_NSA_IPiEEiN6hipcub16HIPCUB_304000_NS3MaxENSH_8EqualityEiEE10hipError_tPvRmT2_T3_T4_T5_mT6_T7_P12ihipStream_tbENKUlT_T0_E_clISt17integral_constantIbLb0EESZ_IbLb1EEEEDaSV_SW_EUlSV_E_NS1_11comp_targetILNS1_3genE10ELNS1_11target_archE1200ELNS1_3gpuE4ELNS1_3repE0EEENS1_30default_config_static_selectorELNS0_4arch9wavefront6targetE1EEEvT1_.num_vgpr, 0
	.set _ZN7rocprim17ROCPRIM_400000_NS6detail17trampoline_kernelINS0_14default_configENS1_27scan_by_key_config_selectorIiiEEZZNS1_16scan_by_key_implILNS1_25lookback_scan_determinismE0ELb0ES3_N6thrust23THRUST_200600_302600_NS16reverse_iteratorIPKiEESD_NSA_IPiEEiN6hipcub16HIPCUB_304000_NS3MaxENSH_8EqualityEiEE10hipError_tPvRmT2_T3_T4_T5_mT6_T7_P12ihipStream_tbENKUlT_T0_E_clISt17integral_constantIbLb0EESZ_IbLb1EEEEDaSV_SW_EUlSV_E_NS1_11comp_targetILNS1_3genE10ELNS1_11target_archE1200ELNS1_3gpuE4ELNS1_3repE0EEENS1_30default_config_static_selectorELNS0_4arch9wavefront6targetE1EEEvT1_.num_agpr, 0
	.set _ZN7rocprim17ROCPRIM_400000_NS6detail17trampoline_kernelINS0_14default_configENS1_27scan_by_key_config_selectorIiiEEZZNS1_16scan_by_key_implILNS1_25lookback_scan_determinismE0ELb0ES3_N6thrust23THRUST_200600_302600_NS16reverse_iteratorIPKiEESD_NSA_IPiEEiN6hipcub16HIPCUB_304000_NS3MaxENSH_8EqualityEiEE10hipError_tPvRmT2_T3_T4_T5_mT6_T7_P12ihipStream_tbENKUlT_T0_E_clISt17integral_constantIbLb0EESZ_IbLb1EEEEDaSV_SW_EUlSV_E_NS1_11comp_targetILNS1_3genE10ELNS1_11target_archE1200ELNS1_3gpuE4ELNS1_3repE0EEENS1_30default_config_static_selectorELNS0_4arch9wavefront6targetE1EEEvT1_.numbered_sgpr, 0
	.set _ZN7rocprim17ROCPRIM_400000_NS6detail17trampoline_kernelINS0_14default_configENS1_27scan_by_key_config_selectorIiiEEZZNS1_16scan_by_key_implILNS1_25lookback_scan_determinismE0ELb0ES3_N6thrust23THRUST_200600_302600_NS16reverse_iteratorIPKiEESD_NSA_IPiEEiN6hipcub16HIPCUB_304000_NS3MaxENSH_8EqualityEiEE10hipError_tPvRmT2_T3_T4_T5_mT6_T7_P12ihipStream_tbENKUlT_T0_E_clISt17integral_constantIbLb0EESZ_IbLb1EEEEDaSV_SW_EUlSV_E_NS1_11comp_targetILNS1_3genE10ELNS1_11target_archE1200ELNS1_3gpuE4ELNS1_3repE0EEENS1_30default_config_static_selectorELNS0_4arch9wavefront6targetE1EEEvT1_.num_named_barrier, 0
	.set _ZN7rocprim17ROCPRIM_400000_NS6detail17trampoline_kernelINS0_14default_configENS1_27scan_by_key_config_selectorIiiEEZZNS1_16scan_by_key_implILNS1_25lookback_scan_determinismE0ELb0ES3_N6thrust23THRUST_200600_302600_NS16reverse_iteratorIPKiEESD_NSA_IPiEEiN6hipcub16HIPCUB_304000_NS3MaxENSH_8EqualityEiEE10hipError_tPvRmT2_T3_T4_T5_mT6_T7_P12ihipStream_tbENKUlT_T0_E_clISt17integral_constantIbLb0EESZ_IbLb1EEEEDaSV_SW_EUlSV_E_NS1_11comp_targetILNS1_3genE10ELNS1_11target_archE1200ELNS1_3gpuE4ELNS1_3repE0EEENS1_30default_config_static_selectorELNS0_4arch9wavefront6targetE1EEEvT1_.private_seg_size, 0
	.set _ZN7rocprim17ROCPRIM_400000_NS6detail17trampoline_kernelINS0_14default_configENS1_27scan_by_key_config_selectorIiiEEZZNS1_16scan_by_key_implILNS1_25lookback_scan_determinismE0ELb0ES3_N6thrust23THRUST_200600_302600_NS16reverse_iteratorIPKiEESD_NSA_IPiEEiN6hipcub16HIPCUB_304000_NS3MaxENSH_8EqualityEiEE10hipError_tPvRmT2_T3_T4_T5_mT6_T7_P12ihipStream_tbENKUlT_T0_E_clISt17integral_constantIbLb0EESZ_IbLb1EEEEDaSV_SW_EUlSV_E_NS1_11comp_targetILNS1_3genE10ELNS1_11target_archE1200ELNS1_3gpuE4ELNS1_3repE0EEENS1_30default_config_static_selectorELNS0_4arch9wavefront6targetE1EEEvT1_.uses_vcc, 0
	.set _ZN7rocprim17ROCPRIM_400000_NS6detail17trampoline_kernelINS0_14default_configENS1_27scan_by_key_config_selectorIiiEEZZNS1_16scan_by_key_implILNS1_25lookback_scan_determinismE0ELb0ES3_N6thrust23THRUST_200600_302600_NS16reverse_iteratorIPKiEESD_NSA_IPiEEiN6hipcub16HIPCUB_304000_NS3MaxENSH_8EqualityEiEE10hipError_tPvRmT2_T3_T4_T5_mT6_T7_P12ihipStream_tbENKUlT_T0_E_clISt17integral_constantIbLb0EESZ_IbLb1EEEEDaSV_SW_EUlSV_E_NS1_11comp_targetILNS1_3genE10ELNS1_11target_archE1200ELNS1_3gpuE4ELNS1_3repE0EEENS1_30default_config_static_selectorELNS0_4arch9wavefront6targetE1EEEvT1_.uses_flat_scratch, 0
	.set _ZN7rocprim17ROCPRIM_400000_NS6detail17trampoline_kernelINS0_14default_configENS1_27scan_by_key_config_selectorIiiEEZZNS1_16scan_by_key_implILNS1_25lookback_scan_determinismE0ELb0ES3_N6thrust23THRUST_200600_302600_NS16reverse_iteratorIPKiEESD_NSA_IPiEEiN6hipcub16HIPCUB_304000_NS3MaxENSH_8EqualityEiEE10hipError_tPvRmT2_T3_T4_T5_mT6_T7_P12ihipStream_tbENKUlT_T0_E_clISt17integral_constantIbLb0EESZ_IbLb1EEEEDaSV_SW_EUlSV_E_NS1_11comp_targetILNS1_3genE10ELNS1_11target_archE1200ELNS1_3gpuE4ELNS1_3repE0EEENS1_30default_config_static_selectorELNS0_4arch9wavefront6targetE1EEEvT1_.has_dyn_sized_stack, 0
	.set _ZN7rocprim17ROCPRIM_400000_NS6detail17trampoline_kernelINS0_14default_configENS1_27scan_by_key_config_selectorIiiEEZZNS1_16scan_by_key_implILNS1_25lookback_scan_determinismE0ELb0ES3_N6thrust23THRUST_200600_302600_NS16reverse_iteratorIPKiEESD_NSA_IPiEEiN6hipcub16HIPCUB_304000_NS3MaxENSH_8EqualityEiEE10hipError_tPvRmT2_T3_T4_T5_mT6_T7_P12ihipStream_tbENKUlT_T0_E_clISt17integral_constantIbLb0EESZ_IbLb1EEEEDaSV_SW_EUlSV_E_NS1_11comp_targetILNS1_3genE10ELNS1_11target_archE1200ELNS1_3gpuE4ELNS1_3repE0EEENS1_30default_config_static_selectorELNS0_4arch9wavefront6targetE1EEEvT1_.has_recursion, 0
	.set _ZN7rocprim17ROCPRIM_400000_NS6detail17trampoline_kernelINS0_14default_configENS1_27scan_by_key_config_selectorIiiEEZZNS1_16scan_by_key_implILNS1_25lookback_scan_determinismE0ELb0ES3_N6thrust23THRUST_200600_302600_NS16reverse_iteratorIPKiEESD_NSA_IPiEEiN6hipcub16HIPCUB_304000_NS3MaxENSH_8EqualityEiEE10hipError_tPvRmT2_T3_T4_T5_mT6_T7_P12ihipStream_tbENKUlT_T0_E_clISt17integral_constantIbLb0EESZ_IbLb1EEEEDaSV_SW_EUlSV_E_NS1_11comp_targetILNS1_3genE10ELNS1_11target_archE1200ELNS1_3gpuE4ELNS1_3repE0EEENS1_30default_config_static_selectorELNS0_4arch9wavefront6targetE1EEEvT1_.has_indirect_call, 0
	.section	.AMDGPU.csdata,"",@progbits
; Kernel info:
; codeLenInByte = 0
; TotalNumSgprs: 6
; NumVgprs: 0
; NumAgprs: 0
; TotalNumVgprs: 0
; ScratchSize: 0
; MemoryBound: 0
; FloatMode: 240
; IeeeMode: 1
; LDSByteSize: 0 bytes/workgroup (compile time only)
; SGPRBlocks: 0
; VGPRBlocks: 0
; NumSGPRsForWavesPerEU: 6
; NumVGPRsForWavesPerEU: 1
; AccumOffset: 4
; Occupancy: 8
; WaveLimiterHint : 0
; COMPUTE_PGM_RSRC2:SCRATCH_EN: 0
; COMPUTE_PGM_RSRC2:USER_SGPR: 2
; COMPUTE_PGM_RSRC2:TRAP_HANDLER: 0
; COMPUTE_PGM_RSRC2:TGID_X_EN: 1
; COMPUTE_PGM_RSRC2:TGID_Y_EN: 0
; COMPUTE_PGM_RSRC2:TGID_Z_EN: 0
; COMPUTE_PGM_RSRC2:TIDIG_COMP_CNT: 0
; COMPUTE_PGM_RSRC3_GFX90A:ACCUM_OFFSET: 0
; COMPUTE_PGM_RSRC3_GFX90A:TG_SPLIT: 0
	.section	.text._ZN7rocprim17ROCPRIM_400000_NS6detail17trampoline_kernelINS0_14default_configENS1_27scan_by_key_config_selectorIiiEEZZNS1_16scan_by_key_implILNS1_25lookback_scan_determinismE0ELb0ES3_N6thrust23THRUST_200600_302600_NS16reverse_iteratorIPKiEESD_NSA_IPiEEiN6hipcub16HIPCUB_304000_NS3MaxENSH_8EqualityEiEE10hipError_tPvRmT2_T3_T4_T5_mT6_T7_P12ihipStream_tbENKUlT_T0_E_clISt17integral_constantIbLb0EESZ_IbLb1EEEEDaSV_SW_EUlSV_E_NS1_11comp_targetILNS1_3genE9ELNS1_11target_archE1100ELNS1_3gpuE3ELNS1_3repE0EEENS1_30default_config_static_selectorELNS0_4arch9wavefront6targetE1EEEvT1_,"axG",@progbits,_ZN7rocprim17ROCPRIM_400000_NS6detail17trampoline_kernelINS0_14default_configENS1_27scan_by_key_config_selectorIiiEEZZNS1_16scan_by_key_implILNS1_25lookback_scan_determinismE0ELb0ES3_N6thrust23THRUST_200600_302600_NS16reverse_iteratorIPKiEESD_NSA_IPiEEiN6hipcub16HIPCUB_304000_NS3MaxENSH_8EqualityEiEE10hipError_tPvRmT2_T3_T4_T5_mT6_T7_P12ihipStream_tbENKUlT_T0_E_clISt17integral_constantIbLb0EESZ_IbLb1EEEEDaSV_SW_EUlSV_E_NS1_11comp_targetILNS1_3genE9ELNS1_11target_archE1100ELNS1_3gpuE3ELNS1_3repE0EEENS1_30default_config_static_selectorELNS0_4arch9wavefront6targetE1EEEvT1_,comdat
	.protected	_ZN7rocprim17ROCPRIM_400000_NS6detail17trampoline_kernelINS0_14default_configENS1_27scan_by_key_config_selectorIiiEEZZNS1_16scan_by_key_implILNS1_25lookback_scan_determinismE0ELb0ES3_N6thrust23THRUST_200600_302600_NS16reverse_iteratorIPKiEESD_NSA_IPiEEiN6hipcub16HIPCUB_304000_NS3MaxENSH_8EqualityEiEE10hipError_tPvRmT2_T3_T4_T5_mT6_T7_P12ihipStream_tbENKUlT_T0_E_clISt17integral_constantIbLb0EESZ_IbLb1EEEEDaSV_SW_EUlSV_E_NS1_11comp_targetILNS1_3genE9ELNS1_11target_archE1100ELNS1_3gpuE3ELNS1_3repE0EEENS1_30default_config_static_selectorELNS0_4arch9wavefront6targetE1EEEvT1_ ; -- Begin function _ZN7rocprim17ROCPRIM_400000_NS6detail17trampoline_kernelINS0_14default_configENS1_27scan_by_key_config_selectorIiiEEZZNS1_16scan_by_key_implILNS1_25lookback_scan_determinismE0ELb0ES3_N6thrust23THRUST_200600_302600_NS16reverse_iteratorIPKiEESD_NSA_IPiEEiN6hipcub16HIPCUB_304000_NS3MaxENSH_8EqualityEiEE10hipError_tPvRmT2_T3_T4_T5_mT6_T7_P12ihipStream_tbENKUlT_T0_E_clISt17integral_constantIbLb0EESZ_IbLb1EEEEDaSV_SW_EUlSV_E_NS1_11comp_targetILNS1_3genE9ELNS1_11target_archE1100ELNS1_3gpuE3ELNS1_3repE0EEENS1_30default_config_static_selectorELNS0_4arch9wavefront6targetE1EEEvT1_
	.globl	_ZN7rocprim17ROCPRIM_400000_NS6detail17trampoline_kernelINS0_14default_configENS1_27scan_by_key_config_selectorIiiEEZZNS1_16scan_by_key_implILNS1_25lookback_scan_determinismE0ELb0ES3_N6thrust23THRUST_200600_302600_NS16reverse_iteratorIPKiEESD_NSA_IPiEEiN6hipcub16HIPCUB_304000_NS3MaxENSH_8EqualityEiEE10hipError_tPvRmT2_T3_T4_T5_mT6_T7_P12ihipStream_tbENKUlT_T0_E_clISt17integral_constantIbLb0EESZ_IbLb1EEEEDaSV_SW_EUlSV_E_NS1_11comp_targetILNS1_3genE9ELNS1_11target_archE1100ELNS1_3gpuE3ELNS1_3repE0EEENS1_30default_config_static_selectorELNS0_4arch9wavefront6targetE1EEEvT1_
	.p2align	8
	.type	_ZN7rocprim17ROCPRIM_400000_NS6detail17trampoline_kernelINS0_14default_configENS1_27scan_by_key_config_selectorIiiEEZZNS1_16scan_by_key_implILNS1_25lookback_scan_determinismE0ELb0ES3_N6thrust23THRUST_200600_302600_NS16reverse_iteratorIPKiEESD_NSA_IPiEEiN6hipcub16HIPCUB_304000_NS3MaxENSH_8EqualityEiEE10hipError_tPvRmT2_T3_T4_T5_mT6_T7_P12ihipStream_tbENKUlT_T0_E_clISt17integral_constantIbLb0EESZ_IbLb1EEEEDaSV_SW_EUlSV_E_NS1_11comp_targetILNS1_3genE9ELNS1_11target_archE1100ELNS1_3gpuE3ELNS1_3repE0EEENS1_30default_config_static_selectorELNS0_4arch9wavefront6targetE1EEEvT1_,@function
_ZN7rocprim17ROCPRIM_400000_NS6detail17trampoline_kernelINS0_14default_configENS1_27scan_by_key_config_selectorIiiEEZZNS1_16scan_by_key_implILNS1_25lookback_scan_determinismE0ELb0ES3_N6thrust23THRUST_200600_302600_NS16reverse_iteratorIPKiEESD_NSA_IPiEEiN6hipcub16HIPCUB_304000_NS3MaxENSH_8EqualityEiEE10hipError_tPvRmT2_T3_T4_T5_mT6_T7_P12ihipStream_tbENKUlT_T0_E_clISt17integral_constantIbLb0EESZ_IbLb1EEEEDaSV_SW_EUlSV_E_NS1_11comp_targetILNS1_3genE9ELNS1_11target_archE1100ELNS1_3gpuE3ELNS1_3repE0EEENS1_30default_config_static_selectorELNS0_4arch9wavefront6targetE1EEEvT1_: ; @_ZN7rocprim17ROCPRIM_400000_NS6detail17trampoline_kernelINS0_14default_configENS1_27scan_by_key_config_selectorIiiEEZZNS1_16scan_by_key_implILNS1_25lookback_scan_determinismE0ELb0ES3_N6thrust23THRUST_200600_302600_NS16reverse_iteratorIPKiEESD_NSA_IPiEEiN6hipcub16HIPCUB_304000_NS3MaxENSH_8EqualityEiEE10hipError_tPvRmT2_T3_T4_T5_mT6_T7_P12ihipStream_tbENKUlT_T0_E_clISt17integral_constantIbLb0EESZ_IbLb1EEEEDaSV_SW_EUlSV_E_NS1_11comp_targetILNS1_3genE9ELNS1_11target_archE1100ELNS1_3gpuE3ELNS1_3repE0EEENS1_30default_config_static_selectorELNS0_4arch9wavefront6targetE1EEEvT1_
; %bb.0:
	.section	.rodata,"a",@progbits
	.p2align	6, 0x0
	.amdhsa_kernel _ZN7rocprim17ROCPRIM_400000_NS6detail17trampoline_kernelINS0_14default_configENS1_27scan_by_key_config_selectorIiiEEZZNS1_16scan_by_key_implILNS1_25lookback_scan_determinismE0ELb0ES3_N6thrust23THRUST_200600_302600_NS16reverse_iteratorIPKiEESD_NSA_IPiEEiN6hipcub16HIPCUB_304000_NS3MaxENSH_8EqualityEiEE10hipError_tPvRmT2_T3_T4_T5_mT6_T7_P12ihipStream_tbENKUlT_T0_E_clISt17integral_constantIbLb0EESZ_IbLb1EEEEDaSV_SW_EUlSV_E_NS1_11comp_targetILNS1_3genE9ELNS1_11target_archE1100ELNS1_3gpuE3ELNS1_3repE0EEENS1_30default_config_static_selectorELNS0_4arch9wavefront6targetE1EEEvT1_
		.amdhsa_group_segment_fixed_size 0
		.amdhsa_private_segment_fixed_size 0
		.amdhsa_kernarg_size 112
		.amdhsa_user_sgpr_count 2
		.amdhsa_user_sgpr_dispatch_ptr 0
		.amdhsa_user_sgpr_queue_ptr 0
		.amdhsa_user_sgpr_kernarg_segment_ptr 1
		.amdhsa_user_sgpr_dispatch_id 0
		.amdhsa_user_sgpr_kernarg_preload_length 0
		.amdhsa_user_sgpr_kernarg_preload_offset 0
		.amdhsa_user_sgpr_private_segment_size 0
		.amdhsa_uses_dynamic_stack 0
		.amdhsa_enable_private_segment 0
		.amdhsa_system_sgpr_workgroup_id_x 1
		.amdhsa_system_sgpr_workgroup_id_y 0
		.amdhsa_system_sgpr_workgroup_id_z 0
		.amdhsa_system_sgpr_workgroup_info 0
		.amdhsa_system_vgpr_workitem_id 0
		.amdhsa_next_free_vgpr 1
		.amdhsa_next_free_sgpr 0
		.amdhsa_accum_offset 4
		.amdhsa_reserve_vcc 0
		.amdhsa_float_round_mode_32 0
		.amdhsa_float_round_mode_16_64 0
		.amdhsa_float_denorm_mode_32 3
		.amdhsa_float_denorm_mode_16_64 3
		.amdhsa_dx10_clamp 1
		.amdhsa_ieee_mode 1
		.amdhsa_fp16_overflow 0
		.amdhsa_tg_split 0
		.amdhsa_exception_fp_ieee_invalid_op 0
		.amdhsa_exception_fp_denorm_src 0
		.amdhsa_exception_fp_ieee_div_zero 0
		.amdhsa_exception_fp_ieee_overflow 0
		.amdhsa_exception_fp_ieee_underflow 0
		.amdhsa_exception_fp_ieee_inexact 0
		.amdhsa_exception_int_div_zero 0
	.end_amdhsa_kernel
	.section	.text._ZN7rocprim17ROCPRIM_400000_NS6detail17trampoline_kernelINS0_14default_configENS1_27scan_by_key_config_selectorIiiEEZZNS1_16scan_by_key_implILNS1_25lookback_scan_determinismE0ELb0ES3_N6thrust23THRUST_200600_302600_NS16reverse_iteratorIPKiEESD_NSA_IPiEEiN6hipcub16HIPCUB_304000_NS3MaxENSH_8EqualityEiEE10hipError_tPvRmT2_T3_T4_T5_mT6_T7_P12ihipStream_tbENKUlT_T0_E_clISt17integral_constantIbLb0EESZ_IbLb1EEEEDaSV_SW_EUlSV_E_NS1_11comp_targetILNS1_3genE9ELNS1_11target_archE1100ELNS1_3gpuE3ELNS1_3repE0EEENS1_30default_config_static_selectorELNS0_4arch9wavefront6targetE1EEEvT1_,"axG",@progbits,_ZN7rocprim17ROCPRIM_400000_NS6detail17trampoline_kernelINS0_14default_configENS1_27scan_by_key_config_selectorIiiEEZZNS1_16scan_by_key_implILNS1_25lookback_scan_determinismE0ELb0ES3_N6thrust23THRUST_200600_302600_NS16reverse_iteratorIPKiEESD_NSA_IPiEEiN6hipcub16HIPCUB_304000_NS3MaxENSH_8EqualityEiEE10hipError_tPvRmT2_T3_T4_T5_mT6_T7_P12ihipStream_tbENKUlT_T0_E_clISt17integral_constantIbLb0EESZ_IbLb1EEEEDaSV_SW_EUlSV_E_NS1_11comp_targetILNS1_3genE9ELNS1_11target_archE1100ELNS1_3gpuE3ELNS1_3repE0EEENS1_30default_config_static_selectorELNS0_4arch9wavefront6targetE1EEEvT1_,comdat
.Lfunc_end90:
	.size	_ZN7rocprim17ROCPRIM_400000_NS6detail17trampoline_kernelINS0_14default_configENS1_27scan_by_key_config_selectorIiiEEZZNS1_16scan_by_key_implILNS1_25lookback_scan_determinismE0ELb0ES3_N6thrust23THRUST_200600_302600_NS16reverse_iteratorIPKiEESD_NSA_IPiEEiN6hipcub16HIPCUB_304000_NS3MaxENSH_8EqualityEiEE10hipError_tPvRmT2_T3_T4_T5_mT6_T7_P12ihipStream_tbENKUlT_T0_E_clISt17integral_constantIbLb0EESZ_IbLb1EEEEDaSV_SW_EUlSV_E_NS1_11comp_targetILNS1_3genE9ELNS1_11target_archE1100ELNS1_3gpuE3ELNS1_3repE0EEENS1_30default_config_static_selectorELNS0_4arch9wavefront6targetE1EEEvT1_, .Lfunc_end90-_ZN7rocprim17ROCPRIM_400000_NS6detail17trampoline_kernelINS0_14default_configENS1_27scan_by_key_config_selectorIiiEEZZNS1_16scan_by_key_implILNS1_25lookback_scan_determinismE0ELb0ES3_N6thrust23THRUST_200600_302600_NS16reverse_iteratorIPKiEESD_NSA_IPiEEiN6hipcub16HIPCUB_304000_NS3MaxENSH_8EqualityEiEE10hipError_tPvRmT2_T3_T4_T5_mT6_T7_P12ihipStream_tbENKUlT_T0_E_clISt17integral_constantIbLb0EESZ_IbLb1EEEEDaSV_SW_EUlSV_E_NS1_11comp_targetILNS1_3genE9ELNS1_11target_archE1100ELNS1_3gpuE3ELNS1_3repE0EEENS1_30default_config_static_selectorELNS0_4arch9wavefront6targetE1EEEvT1_
                                        ; -- End function
	.set _ZN7rocprim17ROCPRIM_400000_NS6detail17trampoline_kernelINS0_14default_configENS1_27scan_by_key_config_selectorIiiEEZZNS1_16scan_by_key_implILNS1_25lookback_scan_determinismE0ELb0ES3_N6thrust23THRUST_200600_302600_NS16reverse_iteratorIPKiEESD_NSA_IPiEEiN6hipcub16HIPCUB_304000_NS3MaxENSH_8EqualityEiEE10hipError_tPvRmT2_T3_T4_T5_mT6_T7_P12ihipStream_tbENKUlT_T0_E_clISt17integral_constantIbLb0EESZ_IbLb1EEEEDaSV_SW_EUlSV_E_NS1_11comp_targetILNS1_3genE9ELNS1_11target_archE1100ELNS1_3gpuE3ELNS1_3repE0EEENS1_30default_config_static_selectorELNS0_4arch9wavefront6targetE1EEEvT1_.num_vgpr, 0
	.set _ZN7rocprim17ROCPRIM_400000_NS6detail17trampoline_kernelINS0_14default_configENS1_27scan_by_key_config_selectorIiiEEZZNS1_16scan_by_key_implILNS1_25lookback_scan_determinismE0ELb0ES3_N6thrust23THRUST_200600_302600_NS16reverse_iteratorIPKiEESD_NSA_IPiEEiN6hipcub16HIPCUB_304000_NS3MaxENSH_8EqualityEiEE10hipError_tPvRmT2_T3_T4_T5_mT6_T7_P12ihipStream_tbENKUlT_T0_E_clISt17integral_constantIbLb0EESZ_IbLb1EEEEDaSV_SW_EUlSV_E_NS1_11comp_targetILNS1_3genE9ELNS1_11target_archE1100ELNS1_3gpuE3ELNS1_3repE0EEENS1_30default_config_static_selectorELNS0_4arch9wavefront6targetE1EEEvT1_.num_agpr, 0
	.set _ZN7rocprim17ROCPRIM_400000_NS6detail17trampoline_kernelINS0_14default_configENS1_27scan_by_key_config_selectorIiiEEZZNS1_16scan_by_key_implILNS1_25lookback_scan_determinismE0ELb0ES3_N6thrust23THRUST_200600_302600_NS16reverse_iteratorIPKiEESD_NSA_IPiEEiN6hipcub16HIPCUB_304000_NS3MaxENSH_8EqualityEiEE10hipError_tPvRmT2_T3_T4_T5_mT6_T7_P12ihipStream_tbENKUlT_T0_E_clISt17integral_constantIbLb0EESZ_IbLb1EEEEDaSV_SW_EUlSV_E_NS1_11comp_targetILNS1_3genE9ELNS1_11target_archE1100ELNS1_3gpuE3ELNS1_3repE0EEENS1_30default_config_static_selectorELNS0_4arch9wavefront6targetE1EEEvT1_.numbered_sgpr, 0
	.set _ZN7rocprim17ROCPRIM_400000_NS6detail17trampoline_kernelINS0_14default_configENS1_27scan_by_key_config_selectorIiiEEZZNS1_16scan_by_key_implILNS1_25lookback_scan_determinismE0ELb0ES3_N6thrust23THRUST_200600_302600_NS16reverse_iteratorIPKiEESD_NSA_IPiEEiN6hipcub16HIPCUB_304000_NS3MaxENSH_8EqualityEiEE10hipError_tPvRmT2_T3_T4_T5_mT6_T7_P12ihipStream_tbENKUlT_T0_E_clISt17integral_constantIbLb0EESZ_IbLb1EEEEDaSV_SW_EUlSV_E_NS1_11comp_targetILNS1_3genE9ELNS1_11target_archE1100ELNS1_3gpuE3ELNS1_3repE0EEENS1_30default_config_static_selectorELNS0_4arch9wavefront6targetE1EEEvT1_.num_named_barrier, 0
	.set _ZN7rocprim17ROCPRIM_400000_NS6detail17trampoline_kernelINS0_14default_configENS1_27scan_by_key_config_selectorIiiEEZZNS1_16scan_by_key_implILNS1_25lookback_scan_determinismE0ELb0ES3_N6thrust23THRUST_200600_302600_NS16reverse_iteratorIPKiEESD_NSA_IPiEEiN6hipcub16HIPCUB_304000_NS3MaxENSH_8EqualityEiEE10hipError_tPvRmT2_T3_T4_T5_mT6_T7_P12ihipStream_tbENKUlT_T0_E_clISt17integral_constantIbLb0EESZ_IbLb1EEEEDaSV_SW_EUlSV_E_NS1_11comp_targetILNS1_3genE9ELNS1_11target_archE1100ELNS1_3gpuE3ELNS1_3repE0EEENS1_30default_config_static_selectorELNS0_4arch9wavefront6targetE1EEEvT1_.private_seg_size, 0
	.set _ZN7rocprim17ROCPRIM_400000_NS6detail17trampoline_kernelINS0_14default_configENS1_27scan_by_key_config_selectorIiiEEZZNS1_16scan_by_key_implILNS1_25lookback_scan_determinismE0ELb0ES3_N6thrust23THRUST_200600_302600_NS16reverse_iteratorIPKiEESD_NSA_IPiEEiN6hipcub16HIPCUB_304000_NS3MaxENSH_8EqualityEiEE10hipError_tPvRmT2_T3_T4_T5_mT6_T7_P12ihipStream_tbENKUlT_T0_E_clISt17integral_constantIbLb0EESZ_IbLb1EEEEDaSV_SW_EUlSV_E_NS1_11comp_targetILNS1_3genE9ELNS1_11target_archE1100ELNS1_3gpuE3ELNS1_3repE0EEENS1_30default_config_static_selectorELNS0_4arch9wavefront6targetE1EEEvT1_.uses_vcc, 0
	.set _ZN7rocprim17ROCPRIM_400000_NS6detail17trampoline_kernelINS0_14default_configENS1_27scan_by_key_config_selectorIiiEEZZNS1_16scan_by_key_implILNS1_25lookback_scan_determinismE0ELb0ES3_N6thrust23THRUST_200600_302600_NS16reverse_iteratorIPKiEESD_NSA_IPiEEiN6hipcub16HIPCUB_304000_NS3MaxENSH_8EqualityEiEE10hipError_tPvRmT2_T3_T4_T5_mT6_T7_P12ihipStream_tbENKUlT_T0_E_clISt17integral_constantIbLb0EESZ_IbLb1EEEEDaSV_SW_EUlSV_E_NS1_11comp_targetILNS1_3genE9ELNS1_11target_archE1100ELNS1_3gpuE3ELNS1_3repE0EEENS1_30default_config_static_selectorELNS0_4arch9wavefront6targetE1EEEvT1_.uses_flat_scratch, 0
	.set _ZN7rocprim17ROCPRIM_400000_NS6detail17trampoline_kernelINS0_14default_configENS1_27scan_by_key_config_selectorIiiEEZZNS1_16scan_by_key_implILNS1_25lookback_scan_determinismE0ELb0ES3_N6thrust23THRUST_200600_302600_NS16reverse_iteratorIPKiEESD_NSA_IPiEEiN6hipcub16HIPCUB_304000_NS3MaxENSH_8EqualityEiEE10hipError_tPvRmT2_T3_T4_T5_mT6_T7_P12ihipStream_tbENKUlT_T0_E_clISt17integral_constantIbLb0EESZ_IbLb1EEEEDaSV_SW_EUlSV_E_NS1_11comp_targetILNS1_3genE9ELNS1_11target_archE1100ELNS1_3gpuE3ELNS1_3repE0EEENS1_30default_config_static_selectorELNS0_4arch9wavefront6targetE1EEEvT1_.has_dyn_sized_stack, 0
	.set _ZN7rocprim17ROCPRIM_400000_NS6detail17trampoline_kernelINS0_14default_configENS1_27scan_by_key_config_selectorIiiEEZZNS1_16scan_by_key_implILNS1_25lookback_scan_determinismE0ELb0ES3_N6thrust23THRUST_200600_302600_NS16reverse_iteratorIPKiEESD_NSA_IPiEEiN6hipcub16HIPCUB_304000_NS3MaxENSH_8EqualityEiEE10hipError_tPvRmT2_T3_T4_T5_mT6_T7_P12ihipStream_tbENKUlT_T0_E_clISt17integral_constantIbLb0EESZ_IbLb1EEEEDaSV_SW_EUlSV_E_NS1_11comp_targetILNS1_3genE9ELNS1_11target_archE1100ELNS1_3gpuE3ELNS1_3repE0EEENS1_30default_config_static_selectorELNS0_4arch9wavefront6targetE1EEEvT1_.has_recursion, 0
	.set _ZN7rocprim17ROCPRIM_400000_NS6detail17trampoline_kernelINS0_14default_configENS1_27scan_by_key_config_selectorIiiEEZZNS1_16scan_by_key_implILNS1_25lookback_scan_determinismE0ELb0ES3_N6thrust23THRUST_200600_302600_NS16reverse_iteratorIPKiEESD_NSA_IPiEEiN6hipcub16HIPCUB_304000_NS3MaxENSH_8EqualityEiEE10hipError_tPvRmT2_T3_T4_T5_mT6_T7_P12ihipStream_tbENKUlT_T0_E_clISt17integral_constantIbLb0EESZ_IbLb1EEEEDaSV_SW_EUlSV_E_NS1_11comp_targetILNS1_3genE9ELNS1_11target_archE1100ELNS1_3gpuE3ELNS1_3repE0EEENS1_30default_config_static_selectorELNS0_4arch9wavefront6targetE1EEEvT1_.has_indirect_call, 0
	.section	.AMDGPU.csdata,"",@progbits
; Kernel info:
; codeLenInByte = 0
; TotalNumSgprs: 6
; NumVgprs: 0
; NumAgprs: 0
; TotalNumVgprs: 0
; ScratchSize: 0
; MemoryBound: 0
; FloatMode: 240
; IeeeMode: 1
; LDSByteSize: 0 bytes/workgroup (compile time only)
; SGPRBlocks: 0
; VGPRBlocks: 0
; NumSGPRsForWavesPerEU: 6
; NumVGPRsForWavesPerEU: 1
; AccumOffset: 4
; Occupancy: 8
; WaveLimiterHint : 0
; COMPUTE_PGM_RSRC2:SCRATCH_EN: 0
; COMPUTE_PGM_RSRC2:USER_SGPR: 2
; COMPUTE_PGM_RSRC2:TRAP_HANDLER: 0
; COMPUTE_PGM_RSRC2:TGID_X_EN: 1
; COMPUTE_PGM_RSRC2:TGID_Y_EN: 0
; COMPUTE_PGM_RSRC2:TGID_Z_EN: 0
; COMPUTE_PGM_RSRC2:TIDIG_COMP_CNT: 0
; COMPUTE_PGM_RSRC3_GFX90A:ACCUM_OFFSET: 0
; COMPUTE_PGM_RSRC3_GFX90A:TG_SPLIT: 0
	.section	.text._ZN7rocprim17ROCPRIM_400000_NS6detail17trampoline_kernelINS0_14default_configENS1_27scan_by_key_config_selectorIiiEEZZNS1_16scan_by_key_implILNS1_25lookback_scan_determinismE0ELb0ES3_N6thrust23THRUST_200600_302600_NS16reverse_iteratorIPKiEESD_NSA_IPiEEiN6hipcub16HIPCUB_304000_NS3MaxENSH_8EqualityEiEE10hipError_tPvRmT2_T3_T4_T5_mT6_T7_P12ihipStream_tbENKUlT_T0_E_clISt17integral_constantIbLb0EESZ_IbLb1EEEEDaSV_SW_EUlSV_E_NS1_11comp_targetILNS1_3genE8ELNS1_11target_archE1030ELNS1_3gpuE2ELNS1_3repE0EEENS1_30default_config_static_selectorELNS0_4arch9wavefront6targetE1EEEvT1_,"axG",@progbits,_ZN7rocprim17ROCPRIM_400000_NS6detail17trampoline_kernelINS0_14default_configENS1_27scan_by_key_config_selectorIiiEEZZNS1_16scan_by_key_implILNS1_25lookback_scan_determinismE0ELb0ES3_N6thrust23THRUST_200600_302600_NS16reverse_iteratorIPKiEESD_NSA_IPiEEiN6hipcub16HIPCUB_304000_NS3MaxENSH_8EqualityEiEE10hipError_tPvRmT2_T3_T4_T5_mT6_T7_P12ihipStream_tbENKUlT_T0_E_clISt17integral_constantIbLb0EESZ_IbLb1EEEEDaSV_SW_EUlSV_E_NS1_11comp_targetILNS1_3genE8ELNS1_11target_archE1030ELNS1_3gpuE2ELNS1_3repE0EEENS1_30default_config_static_selectorELNS0_4arch9wavefront6targetE1EEEvT1_,comdat
	.protected	_ZN7rocprim17ROCPRIM_400000_NS6detail17trampoline_kernelINS0_14default_configENS1_27scan_by_key_config_selectorIiiEEZZNS1_16scan_by_key_implILNS1_25lookback_scan_determinismE0ELb0ES3_N6thrust23THRUST_200600_302600_NS16reverse_iteratorIPKiEESD_NSA_IPiEEiN6hipcub16HIPCUB_304000_NS3MaxENSH_8EqualityEiEE10hipError_tPvRmT2_T3_T4_T5_mT6_T7_P12ihipStream_tbENKUlT_T0_E_clISt17integral_constantIbLb0EESZ_IbLb1EEEEDaSV_SW_EUlSV_E_NS1_11comp_targetILNS1_3genE8ELNS1_11target_archE1030ELNS1_3gpuE2ELNS1_3repE0EEENS1_30default_config_static_selectorELNS0_4arch9wavefront6targetE1EEEvT1_ ; -- Begin function _ZN7rocprim17ROCPRIM_400000_NS6detail17trampoline_kernelINS0_14default_configENS1_27scan_by_key_config_selectorIiiEEZZNS1_16scan_by_key_implILNS1_25lookback_scan_determinismE0ELb0ES3_N6thrust23THRUST_200600_302600_NS16reverse_iteratorIPKiEESD_NSA_IPiEEiN6hipcub16HIPCUB_304000_NS3MaxENSH_8EqualityEiEE10hipError_tPvRmT2_T3_T4_T5_mT6_T7_P12ihipStream_tbENKUlT_T0_E_clISt17integral_constantIbLb0EESZ_IbLb1EEEEDaSV_SW_EUlSV_E_NS1_11comp_targetILNS1_3genE8ELNS1_11target_archE1030ELNS1_3gpuE2ELNS1_3repE0EEENS1_30default_config_static_selectorELNS0_4arch9wavefront6targetE1EEEvT1_
	.globl	_ZN7rocprim17ROCPRIM_400000_NS6detail17trampoline_kernelINS0_14default_configENS1_27scan_by_key_config_selectorIiiEEZZNS1_16scan_by_key_implILNS1_25lookback_scan_determinismE0ELb0ES3_N6thrust23THRUST_200600_302600_NS16reverse_iteratorIPKiEESD_NSA_IPiEEiN6hipcub16HIPCUB_304000_NS3MaxENSH_8EqualityEiEE10hipError_tPvRmT2_T3_T4_T5_mT6_T7_P12ihipStream_tbENKUlT_T0_E_clISt17integral_constantIbLb0EESZ_IbLb1EEEEDaSV_SW_EUlSV_E_NS1_11comp_targetILNS1_3genE8ELNS1_11target_archE1030ELNS1_3gpuE2ELNS1_3repE0EEENS1_30default_config_static_selectorELNS0_4arch9wavefront6targetE1EEEvT1_
	.p2align	8
	.type	_ZN7rocprim17ROCPRIM_400000_NS6detail17trampoline_kernelINS0_14default_configENS1_27scan_by_key_config_selectorIiiEEZZNS1_16scan_by_key_implILNS1_25lookback_scan_determinismE0ELb0ES3_N6thrust23THRUST_200600_302600_NS16reverse_iteratorIPKiEESD_NSA_IPiEEiN6hipcub16HIPCUB_304000_NS3MaxENSH_8EqualityEiEE10hipError_tPvRmT2_T3_T4_T5_mT6_T7_P12ihipStream_tbENKUlT_T0_E_clISt17integral_constantIbLb0EESZ_IbLb1EEEEDaSV_SW_EUlSV_E_NS1_11comp_targetILNS1_3genE8ELNS1_11target_archE1030ELNS1_3gpuE2ELNS1_3repE0EEENS1_30default_config_static_selectorELNS0_4arch9wavefront6targetE1EEEvT1_,@function
_ZN7rocprim17ROCPRIM_400000_NS6detail17trampoline_kernelINS0_14default_configENS1_27scan_by_key_config_selectorIiiEEZZNS1_16scan_by_key_implILNS1_25lookback_scan_determinismE0ELb0ES3_N6thrust23THRUST_200600_302600_NS16reverse_iteratorIPKiEESD_NSA_IPiEEiN6hipcub16HIPCUB_304000_NS3MaxENSH_8EqualityEiEE10hipError_tPvRmT2_T3_T4_T5_mT6_T7_P12ihipStream_tbENKUlT_T0_E_clISt17integral_constantIbLb0EESZ_IbLb1EEEEDaSV_SW_EUlSV_E_NS1_11comp_targetILNS1_3genE8ELNS1_11target_archE1030ELNS1_3gpuE2ELNS1_3repE0EEENS1_30default_config_static_selectorELNS0_4arch9wavefront6targetE1EEEvT1_: ; @_ZN7rocprim17ROCPRIM_400000_NS6detail17trampoline_kernelINS0_14default_configENS1_27scan_by_key_config_selectorIiiEEZZNS1_16scan_by_key_implILNS1_25lookback_scan_determinismE0ELb0ES3_N6thrust23THRUST_200600_302600_NS16reverse_iteratorIPKiEESD_NSA_IPiEEiN6hipcub16HIPCUB_304000_NS3MaxENSH_8EqualityEiEE10hipError_tPvRmT2_T3_T4_T5_mT6_T7_P12ihipStream_tbENKUlT_T0_E_clISt17integral_constantIbLb0EESZ_IbLb1EEEEDaSV_SW_EUlSV_E_NS1_11comp_targetILNS1_3genE8ELNS1_11target_archE1030ELNS1_3gpuE2ELNS1_3repE0EEENS1_30default_config_static_selectorELNS0_4arch9wavefront6targetE1EEEvT1_
; %bb.0:
	.section	.rodata,"a",@progbits
	.p2align	6, 0x0
	.amdhsa_kernel _ZN7rocprim17ROCPRIM_400000_NS6detail17trampoline_kernelINS0_14default_configENS1_27scan_by_key_config_selectorIiiEEZZNS1_16scan_by_key_implILNS1_25lookback_scan_determinismE0ELb0ES3_N6thrust23THRUST_200600_302600_NS16reverse_iteratorIPKiEESD_NSA_IPiEEiN6hipcub16HIPCUB_304000_NS3MaxENSH_8EqualityEiEE10hipError_tPvRmT2_T3_T4_T5_mT6_T7_P12ihipStream_tbENKUlT_T0_E_clISt17integral_constantIbLb0EESZ_IbLb1EEEEDaSV_SW_EUlSV_E_NS1_11comp_targetILNS1_3genE8ELNS1_11target_archE1030ELNS1_3gpuE2ELNS1_3repE0EEENS1_30default_config_static_selectorELNS0_4arch9wavefront6targetE1EEEvT1_
		.amdhsa_group_segment_fixed_size 0
		.amdhsa_private_segment_fixed_size 0
		.amdhsa_kernarg_size 112
		.amdhsa_user_sgpr_count 2
		.amdhsa_user_sgpr_dispatch_ptr 0
		.amdhsa_user_sgpr_queue_ptr 0
		.amdhsa_user_sgpr_kernarg_segment_ptr 1
		.amdhsa_user_sgpr_dispatch_id 0
		.amdhsa_user_sgpr_kernarg_preload_length 0
		.amdhsa_user_sgpr_kernarg_preload_offset 0
		.amdhsa_user_sgpr_private_segment_size 0
		.amdhsa_uses_dynamic_stack 0
		.amdhsa_enable_private_segment 0
		.amdhsa_system_sgpr_workgroup_id_x 1
		.amdhsa_system_sgpr_workgroup_id_y 0
		.amdhsa_system_sgpr_workgroup_id_z 0
		.amdhsa_system_sgpr_workgroup_info 0
		.amdhsa_system_vgpr_workitem_id 0
		.amdhsa_next_free_vgpr 1
		.amdhsa_next_free_sgpr 0
		.amdhsa_accum_offset 4
		.amdhsa_reserve_vcc 0
		.amdhsa_float_round_mode_32 0
		.amdhsa_float_round_mode_16_64 0
		.amdhsa_float_denorm_mode_32 3
		.amdhsa_float_denorm_mode_16_64 3
		.amdhsa_dx10_clamp 1
		.amdhsa_ieee_mode 1
		.amdhsa_fp16_overflow 0
		.amdhsa_tg_split 0
		.amdhsa_exception_fp_ieee_invalid_op 0
		.amdhsa_exception_fp_denorm_src 0
		.amdhsa_exception_fp_ieee_div_zero 0
		.amdhsa_exception_fp_ieee_overflow 0
		.amdhsa_exception_fp_ieee_underflow 0
		.amdhsa_exception_fp_ieee_inexact 0
		.amdhsa_exception_int_div_zero 0
	.end_amdhsa_kernel
	.section	.text._ZN7rocprim17ROCPRIM_400000_NS6detail17trampoline_kernelINS0_14default_configENS1_27scan_by_key_config_selectorIiiEEZZNS1_16scan_by_key_implILNS1_25lookback_scan_determinismE0ELb0ES3_N6thrust23THRUST_200600_302600_NS16reverse_iteratorIPKiEESD_NSA_IPiEEiN6hipcub16HIPCUB_304000_NS3MaxENSH_8EqualityEiEE10hipError_tPvRmT2_T3_T4_T5_mT6_T7_P12ihipStream_tbENKUlT_T0_E_clISt17integral_constantIbLb0EESZ_IbLb1EEEEDaSV_SW_EUlSV_E_NS1_11comp_targetILNS1_3genE8ELNS1_11target_archE1030ELNS1_3gpuE2ELNS1_3repE0EEENS1_30default_config_static_selectorELNS0_4arch9wavefront6targetE1EEEvT1_,"axG",@progbits,_ZN7rocprim17ROCPRIM_400000_NS6detail17trampoline_kernelINS0_14default_configENS1_27scan_by_key_config_selectorIiiEEZZNS1_16scan_by_key_implILNS1_25lookback_scan_determinismE0ELb0ES3_N6thrust23THRUST_200600_302600_NS16reverse_iteratorIPKiEESD_NSA_IPiEEiN6hipcub16HIPCUB_304000_NS3MaxENSH_8EqualityEiEE10hipError_tPvRmT2_T3_T4_T5_mT6_T7_P12ihipStream_tbENKUlT_T0_E_clISt17integral_constantIbLb0EESZ_IbLb1EEEEDaSV_SW_EUlSV_E_NS1_11comp_targetILNS1_3genE8ELNS1_11target_archE1030ELNS1_3gpuE2ELNS1_3repE0EEENS1_30default_config_static_selectorELNS0_4arch9wavefront6targetE1EEEvT1_,comdat
.Lfunc_end91:
	.size	_ZN7rocprim17ROCPRIM_400000_NS6detail17trampoline_kernelINS0_14default_configENS1_27scan_by_key_config_selectorIiiEEZZNS1_16scan_by_key_implILNS1_25lookback_scan_determinismE0ELb0ES3_N6thrust23THRUST_200600_302600_NS16reverse_iteratorIPKiEESD_NSA_IPiEEiN6hipcub16HIPCUB_304000_NS3MaxENSH_8EqualityEiEE10hipError_tPvRmT2_T3_T4_T5_mT6_T7_P12ihipStream_tbENKUlT_T0_E_clISt17integral_constantIbLb0EESZ_IbLb1EEEEDaSV_SW_EUlSV_E_NS1_11comp_targetILNS1_3genE8ELNS1_11target_archE1030ELNS1_3gpuE2ELNS1_3repE0EEENS1_30default_config_static_selectorELNS0_4arch9wavefront6targetE1EEEvT1_, .Lfunc_end91-_ZN7rocprim17ROCPRIM_400000_NS6detail17trampoline_kernelINS0_14default_configENS1_27scan_by_key_config_selectorIiiEEZZNS1_16scan_by_key_implILNS1_25lookback_scan_determinismE0ELb0ES3_N6thrust23THRUST_200600_302600_NS16reverse_iteratorIPKiEESD_NSA_IPiEEiN6hipcub16HIPCUB_304000_NS3MaxENSH_8EqualityEiEE10hipError_tPvRmT2_T3_T4_T5_mT6_T7_P12ihipStream_tbENKUlT_T0_E_clISt17integral_constantIbLb0EESZ_IbLb1EEEEDaSV_SW_EUlSV_E_NS1_11comp_targetILNS1_3genE8ELNS1_11target_archE1030ELNS1_3gpuE2ELNS1_3repE0EEENS1_30default_config_static_selectorELNS0_4arch9wavefront6targetE1EEEvT1_
                                        ; -- End function
	.set _ZN7rocprim17ROCPRIM_400000_NS6detail17trampoline_kernelINS0_14default_configENS1_27scan_by_key_config_selectorIiiEEZZNS1_16scan_by_key_implILNS1_25lookback_scan_determinismE0ELb0ES3_N6thrust23THRUST_200600_302600_NS16reverse_iteratorIPKiEESD_NSA_IPiEEiN6hipcub16HIPCUB_304000_NS3MaxENSH_8EqualityEiEE10hipError_tPvRmT2_T3_T4_T5_mT6_T7_P12ihipStream_tbENKUlT_T0_E_clISt17integral_constantIbLb0EESZ_IbLb1EEEEDaSV_SW_EUlSV_E_NS1_11comp_targetILNS1_3genE8ELNS1_11target_archE1030ELNS1_3gpuE2ELNS1_3repE0EEENS1_30default_config_static_selectorELNS0_4arch9wavefront6targetE1EEEvT1_.num_vgpr, 0
	.set _ZN7rocprim17ROCPRIM_400000_NS6detail17trampoline_kernelINS0_14default_configENS1_27scan_by_key_config_selectorIiiEEZZNS1_16scan_by_key_implILNS1_25lookback_scan_determinismE0ELb0ES3_N6thrust23THRUST_200600_302600_NS16reverse_iteratorIPKiEESD_NSA_IPiEEiN6hipcub16HIPCUB_304000_NS3MaxENSH_8EqualityEiEE10hipError_tPvRmT2_T3_T4_T5_mT6_T7_P12ihipStream_tbENKUlT_T0_E_clISt17integral_constantIbLb0EESZ_IbLb1EEEEDaSV_SW_EUlSV_E_NS1_11comp_targetILNS1_3genE8ELNS1_11target_archE1030ELNS1_3gpuE2ELNS1_3repE0EEENS1_30default_config_static_selectorELNS0_4arch9wavefront6targetE1EEEvT1_.num_agpr, 0
	.set _ZN7rocprim17ROCPRIM_400000_NS6detail17trampoline_kernelINS0_14default_configENS1_27scan_by_key_config_selectorIiiEEZZNS1_16scan_by_key_implILNS1_25lookback_scan_determinismE0ELb0ES3_N6thrust23THRUST_200600_302600_NS16reverse_iteratorIPKiEESD_NSA_IPiEEiN6hipcub16HIPCUB_304000_NS3MaxENSH_8EqualityEiEE10hipError_tPvRmT2_T3_T4_T5_mT6_T7_P12ihipStream_tbENKUlT_T0_E_clISt17integral_constantIbLb0EESZ_IbLb1EEEEDaSV_SW_EUlSV_E_NS1_11comp_targetILNS1_3genE8ELNS1_11target_archE1030ELNS1_3gpuE2ELNS1_3repE0EEENS1_30default_config_static_selectorELNS0_4arch9wavefront6targetE1EEEvT1_.numbered_sgpr, 0
	.set _ZN7rocprim17ROCPRIM_400000_NS6detail17trampoline_kernelINS0_14default_configENS1_27scan_by_key_config_selectorIiiEEZZNS1_16scan_by_key_implILNS1_25lookback_scan_determinismE0ELb0ES3_N6thrust23THRUST_200600_302600_NS16reverse_iteratorIPKiEESD_NSA_IPiEEiN6hipcub16HIPCUB_304000_NS3MaxENSH_8EqualityEiEE10hipError_tPvRmT2_T3_T4_T5_mT6_T7_P12ihipStream_tbENKUlT_T0_E_clISt17integral_constantIbLb0EESZ_IbLb1EEEEDaSV_SW_EUlSV_E_NS1_11comp_targetILNS1_3genE8ELNS1_11target_archE1030ELNS1_3gpuE2ELNS1_3repE0EEENS1_30default_config_static_selectorELNS0_4arch9wavefront6targetE1EEEvT1_.num_named_barrier, 0
	.set _ZN7rocprim17ROCPRIM_400000_NS6detail17trampoline_kernelINS0_14default_configENS1_27scan_by_key_config_selectorIiiEEZZNS1_16scan_by_key_implILNS1_25lookback_scan_determinismE0ELb0ES3_N6thrust23THRUST_200600_302600_NS16reverse_iteratorIPKiEESD_NSA_IPiEEiN6hipcub16HIPCUB_304000_NS3MaxENSH_8EqualityEiEE10hipError_tPvRmT2_T3_T4_T5_mT6_T7_P12ihipStream_tbENKUlT_T0_E_clISt17integral_constantIbLb0EESZ_IbLb1EEEEDaSV_SW_EUlSV_E_NS1_11comp_targetILNS1_3genE8ELNS1_11target_archE1030ELNS1_3gpuE2ELNS1_3repE0EEENS1_30default_config_static_selectorELNS0_4arch9wavefront6targetE1EEEvT1_.private_seg_size, 0
	.set _ZN7rocprim17ROCPRIM_400000_NS6detail17trampoline_kernelINS0_14default_configENS1_27scan_by_key_config_selectorIiiEEZZNS1_16scan_by_key_implILNS1_25lookback_scan_determinismE0ELb0ES3_N6thrust23THRUST_200600_302600_NS16reverse_iteratorIPKiEESD_NSA_IPiEEiN6hipcub16HIPCUB_304000_NS3MaxENSH_8EqualityEiEE10hipError_tPvRmT2_T3_T4_T5_mT6_T7_P12ihipStream_tbENKUlT_T0_E_clISt17integral_constantIbLb0EESZ_IbLb1EEEEDaSV_SW_EUlSV_E_NS1_11comp_targetILNS1_3genE8ELNS1_11target_archE1030ELNS1_3gpuE2ELNS1_3repE0EEENS1_30default_config_static_selectorELNS0_4arch9wavefront6targetE1EEEvT1_.uses_vcc, 0
	.set _ZN7rocprim17ROCPRIM_400000_NS6detail17trampoline_kernelINS0_14default_configENS1_27scan_by_key_config_selectorIiiEEZZNS1_16scan_by_key_implILNS1_25lookback_scan_determinismE0ELb0ES3_N6thrust23THRUST_200600_302600_NS16reverse_iteratorIPKiEESD_NSA_IPiEEiN6hipcub16HIPCUB_304000_NS3MaxENSH_8EqualityEiEE10hipError_tPvRmT2_T3_T4_T5_mT6_T7_P12ihipStream_tbENKUlT_T0_E_clISt17integral_constantIbLb0EESZ_IbLb1EEEEDaSV_SW_EUlSV_E_NS1_11comp_targetILNS1_3genE8ELNS1_11target_archE1030ELNS1_3gpuE2ELNS1_3repE0EEENS1_30default_config_static_selectorELNS0_4arch9wavefront6targetE1EEEvT1_.uses_flat_scratch, 0
	.set _ZN7rocprim17ROCPRIM_400000_NS6detail17trampoline_kernelINS0_14default_configENS1_27scan_by_key_config_selectorIiiEEZZNS1_16scan_by_key_implILNS1_25lookback_scan_determinismE0ELb0ES3_N6thrust23THRUST_200600_302600_NS16reverse_iteratorIPKiEESD_NSA_IPiEEiN6hipcub16HIPCUB_304000_NS3MaxENSH_8EqualityEiEE10hipError_tPvRmT2_T3_T4_T5_mT6_T7_P12ihipStream_tbENKUlT_T0_E_clISt17integral_constantIbLb0EESZ_IbLb1EEEEDaSV_SW_EUlSV_E_NS1_11comp_targetILNS1_3genE8ELNS1_11target_archE1030ELNS1_3gpuE2ELNS1_3repE0EEENS1_30default_config_static_selectorELNS0_4arch9wavefront6targetE1EEEvT1_.has_dyn_sized_stack, 0
	.set _ZN7rocprim17ROCPRIM_400000_NS6detail17trampoline_kernelINS0_14default_configENS1_27scan_by_key_config_selectorIiiEEZZNS1_16scan_by_key_implILNS1_25lookback_scan_determinismE0ELb0ES3_N6thrust23THRUST_200600_302600_NS16reverse_iteratorIPKiEESD_NSA_IPiEEiN6hipcub16HIPCUB_304000_NS3MaxENSH_8EqualityEiEE10hipError_tPvRmT2_T3_T4_T5_mT6_T7_P12ihipStream_tbENKUlT_T0_E_clISt17integral_constantIbLb0EESZ_IbLb1EEEEDaSV_SW_EUlSV_E_NS1_11comp_targetILNS1_3genE8ELNS1_11target_archE1030ELNS1_3gpuE2ELNS1_3repE0EEENS1_30default_config_static_selectorELNS0_4arch9wavefront6targetE1EEEvT1_.has_recursion, 0
	.set _ZN7rocprim17ROCPRIM_400000_NS6detail17trampoline_kernelINS0_14default_configENS1_27scan_by_key_config_selectorIiiEEZZNS1_16scan_by_key_implILNS1_25lookback_scan_determinismE0ELb0ES3_N6thrust23THRUST_200600_302600_NS16reverse_iteratorIPKiEESD_NSA_IPiEEiN6hipcub16HIPCUB_304000_NS3MaxENSH_8EqualityEiEE10hipError_tPvRmT2_T3_T4_T5_mT6_T7_P12ihipStream_tbENKUlT_T0_E_clISt17integral_constantIbLb0EESZ_IbLb1EEEEDaSV_SW_EUlSV_E_NS1_11comp_targetILNS1_3genE8ELNS1_11target_archE1030ELNS1_3gpuE2ELNS1_3repE0EEENS1_30default_config_static_selectorELNS0_4arch9wavefront6targetE1EEEvT1_.has_indirect_call, 0
	.section	.AMDGPU.csdata,"",@progbits
; Kernel info:
; codeLenInByte = 0
; TotalNumSgprs: 6
; NumVgprs: 0
; NumAgprs: 0
; TotalNumVgprs: 0
; ScratchSize: 0
; MemoryBound: 0
; FloatMode: 240
; IeeeMode: 1
; LDSByteSize: 0 bytes/workgroup (compile time only)
; SGPRBlocks: 0
; VGPRBlocks: 0
; NumSGPRsForWavesPerEU: 6
; NumVGPRsForWavesPerEU: 1
; AccumOffset: 4
; Occupancy: 8
; WaveLimiterHint : 0
; COMPUTE_PGM_RSRC2:SCRATCH_EN: 0
; COMPUTE_PGM_RSRC2:USER_SGPR: 2
; COMPUTE_PGM_RSRC2:TRAP_HANDLER: 0
; COMPUTE_PGM_RSRC2:TGID_X_EN: 1
; COMPUTE_PGM_RSRC2:TGID_Y_EN: 0
; COMPUTE_PGM_RSRC2:TGID_Z_EN: 0
; COMPUTE_PGM_RSRC2:TIDIG_COMP_CNT: 0
; COMPUTE_PGM_RSRC3_GFX90A:ACCUM_OFFSET: 0
; COMPUTE_PGM_RSRC3_GFX90A:TG_SPLIT: 0
	.section	.text._ZN7rocprim17ROCPRIM_400000_NS6detail30init_device_scan_by_key_kernelINS1_19lookback_scan_stateINS0_5tupleIJlbEEELb0ELb0EEEPKljNS1_16block_id_wrapperIjLb0EEEEEvT_jjPNSB_10value_typeET0_PNSt15iterator_traitsISE_E10value_typeEmT1_T2_,"axG",@progbits,_ZN7rocprim17ROCPRIM_400000_NS6detail30init_device_scan_by_key_kernelINS1_19lookback_scan_stateINS0_5tupleIJlbEEELb0ELb0EEEPKljNS1_16block_id_wrapperIjLb0EEEEEvT_jjPNSB_10value_typeET0_PNSt15iterator_traitsISE_E10value_typeEmT1_T2_,comdat
	.protected	_ZN7rocprim17ROCPRIM_400000_NS6detail30init_device_scan_by_key_kernelINS1_19lookback_scan_stateINS0_5tupleIJlbEEELb0ELb0EEEPKljNS1_16block_id_wrapperIjLb0EEEEEvT_jjPNSB_10value_typeET0_PNSt15iterator_traitsISE_E10value_typeEmT1_T2_ ; -- Begin function _ZN7rocprim17ROCPRIM_400000_NS6detail30init_device_scan_by_key_kernelINS1_19lookback_scan_stateINS0_5tupleIJlbEEELb0ELb0EEEPKljNS1_16block_id_wrapperIjLb0EEEEEvT_jjPNSB_10value_typeET0_PNSt15iterator_traitsISE_E10value_typeEmT1_T2_
	.globl	_ZN7rocprim17ROCPRIM_400000_NS6detail30init_device_scan_by_key_kernelINS1_19lookback_scan_stateINS0_5tupleIJlbEEELb0ELb0EEEPKljNS1_16block_id_wrapperIjLb0EEEEEvT_jjPNSB_10value_typeET0_PNSt15iterator_traitsISE_E10value_typeEmT1_T2_
	.p2align	8
	.type	_ZN7rocprim17ROCPRIM_400000_NS6detail30init_device_scan_by_key_kernelINS1_19lookback_scan_stateINS0_5tupleIJlbEEELb0ELb0EEEPKljNS1_16block_id_wrapperIjLb0EEEEEvT_jjPNSB_10value_typeET0_PNSt15iterator_traitsISE_E10value_typeEmT1_T2_,@function
_ZN7rocprim17ROCPRIM_400000_NS6detail30init_device_scan_by_key_kernelINS1_19lookback_scan_stateINS0_5tupleIJlbEEELb0ELb0EEEPKljNS1_16block_id_wrapperIjLb0EEEEEvT_jjPNSB_10value_typeET0_PNSt15iterator_traitsISE_E10value_typeEmT1_T2_: ; @_ZN7rocprim17ROCPRIM_400000_NS6detail30init_device_scan_by_key_kernelINS1_19lookback_scan_stateINS0_5tupleIJlbEEELb0ELb0EEEPKljNS1_16block_id_wrapperIjLb0EEEEEvT_jjPNSB_10value_typeET0_PNSt15iterator_traitsISE_E10value_typeEmT1_T2_
; %bb.0:
	s_load_dword s3, s[0:1], 0x54
	s_load_dwordx8 s[4:11], s[0:1], 0x10
	s_load_dword s20, s[0:1], 0x48
	s_waitcnt lgkmcnt(0)
	s_and_b32 s21, s3, 0xffff
	s_mul_i32 s2, s2, s21
	s_cmp_eq_u64 s[8:9], 0
	v_add_u32_e32 v0, s2, v0
	s_cbranch_scc1 .LBB92_6
; %bb.1:
	s_cmp_lt_u32 s7, s6
	s_cselect_b32 s2, s7, 0
	s_mov_b32 s17, 0
	v_cmp_eq_u32_e32 vcc, s2, v0
	s_and_saveexec_b64 s[2:3], vcc
	s_cbranch_execz .LBB92_5
; %bb.2:
	s_add_i32 s16, s7, 64
	v_mov_b32_e32 v1, s16
	global_load_ubyte v2, v1, s[4:5] sc1
	s_load_dwordx4 s[12:15], s[0:1], 0x0
	v_mov_b32_e32 v1, 0
	s_add_u32 s18, s4, s16
	s_addc_u32 s19, s5, 0
	s_waitcnt vmcnt(0)
	v_cmp_ne_u32_sdwa s[22:23], v2, v1 src0_sel:WORD_0 src1_sel:DWORD
	s_and_b64 vcc, exec, s[22:23]
	v_readfirstlane_b32 s7, v2
	s_cbranch_vccnz .LBB92_4
.LBB92_3:                               ; =>This Inner Loop Header: Depth=1
	global_load_ubyte v2, v1, s[18:19] sc1
	s_waitcnt vmcnt(0)
	v_cmp_eq_u32_sdwa s[22:23], v2, v1 src0_sel:WORD_0 src1_sel:DWORD
	s_and_b64 vcc, exec, s[22:23]
	v_readfirstlane_b32 s7, v2
	s_cbranch_vccnz .LBB92_3
.LBB92_4:
	s_and_b32 s7, 0xffff, s7
	s_cmp_eq_u32 s7, 1
	s_waitcnt lgkmcnt(0)
	s_cselect_b32 s7, s13, s15
	s_cselect_b32 s14, s12, s14
	s_lshl_b64 s[12:13], s[16:17], 4
	s_add_u32 s12, s14, s12
	s_addc_u32 s13, s7, s13
	v_mov_b32_e32 v1, 0
	s_waitcnt vmcnt(0)
	global_load_dword v4, v1, s[12:13] sc1
	global_load_dword v5, v1, s[12:13] offset:4 sc1
	global_load_dword v2, v1, s[12:13] offset:8 sc1
	;; [unrolled: 1-line block ×3, first 2 shown]
	s_waitcnt vmcnt(2)
	global_store_dwordx2 v1, v[4:5], s[8:9]
	s_waitcnt vmcnt(2)
	global_store_byte v1, v2, s[8:9] offset:8
.LBB92_5:
	s_or_b64 exec, exec, s[2:3]
.LBB92_6:
	v_cmp_gt_u32_e32 vcc, s6, v0
	s_and_saveexec_b64 s[2:3], vcc
	s_cbranch_execz .LBB92_8
; %bb.7:
	v_add_u32_e32 v1, 64, v0
	v_mov_b32_e32 v2, 0
	global_store_byte v1, v2, s[4:5]
.LBB92_8:
	s_or_b64 exec, exec, s[2:3]
	v_cmp_gt_u32_e32 vcc, 64, v0
	v_mov_b32_e32 v1, 0
	s_and_saveexec_b64 s[2:3], vcc
	s_cbranch_execz .LBB92_10
; %bb.9:
	s_waitcnt vmcnt(2)
	v_lshl_add_u64 v[2:3], s[4:5], 0, v[0:1]
	v_mov_b32_e32 v4, 0xff
	global_store_byte v[2:3], v4, off
.LBB92_10:
	s_or_b64 exec, exec, s[2:3]
	s_load_dwordx2 s[2:3], s[0:1], 0x38
	s_waitcnt lgkmcnt(0)
	v_cmp_gt_u64_e32 vcc, s[2:3], v[0:1]
	s_and_saveexec_b64 s[4:5], vcc
	s_cbranch_execz .LBB92_13
; %bb.11:
	s_load_dword s12, s[0:1], 0x40
	s_load_dwordx2 s[6:7], s[0:1], 0x30
	s_mov_b32 s5, 0
	s_mov_b32 s1, s5
	s_mul_i32 s0, s20, s21
	s_waitcnt lgkmcnt(0)
	s_add_i32 s4, s12, -1
	s_lshl_b64 s[4:5], s[4:5], 3
	s_add_u32 s4, s10, s4
	s_waitcnt vmcnt(2)
	v_mad_u64_u32 v[2:3], s[8:9], s12, v0, 0
	s_addc_u32 s5, s11, s5
	v_lshl_add_u64 v[2:3], v[2:3], 3, s[4:5]
	s_mul_hi_u32 s5, s12, s0
	s_mul_i32 s4, s12, s0
	s_lshl_b64 s[4:5], s[4:5], 3
	v_lshl_add_u64 v[4:5], v[0:1], 3, s[6:7]
	s_lshl_b64 s[6:7], s[0:1], 3
	s_mov_b64 s[8:9], 0
.LBB92_12:                              ; =>This Inner Loop Header: Depth=1
	global_load_dwordx2 v[6:7], v[2:3], off
	v_lshl_add_u64 v[0:1], v[0:1], 0, s[0:1]
	v_cmp_le_u64_e32 vcc, s[2:3], v[0:1]
	v_lshl_add_u64 v[2:3], v[2:3], 0, s[4:5]
	s_or_b64 s[8:9], vcc, s[8:9]
	s_waitcnt vmcnt(0)
	global_store_dwordx2 v[4:5], v[6:7], off
	v_lshl_add_u64 v[4:5], v[4:5], 0, s[6:7]
	s_andn2_b64 exec, exec, s[8:9]
	s_cbranch_execnz .LBB92_12
.LBB92_13:
	s_endpgm
	.section	.rodata,"a",@progbits
	.p2align	6, 0x0
	.amdhsa_kernel _ZN7rocprim17ROCPRIM_400000_NS6detail30init_device_scan_by_key_kernelINS1_19lookback_scan_stateINS0_5tupleIJlbEEELb0ELb0EEEPKljNS1_16block_id_wrapperIjLb0EEEEEvT_jjPNSB_10value_typeET0_PNSt15iterator_traitsISE_E10value_typeEmT1_T2_
		.amdhsa_group_segment_fixed_size 0
		.amdhsa_private_segment_fixed_size 0
		.amdhsa_kernarg_size 328
		.amdhsa_user_sgpr_count 2
		.amdhsa_user_sgpr_dispatch_ptr 0
		.amdhsa_user_sgpr_queue_ptr 0
		.amdhsa_user_sgpr_kernarg_segment_ptr 1
		.amdhsa_user_sgpr_dispatch_id 0
		.amdhsa_user_sgpr_kernarg_preload_length 0
		.amdhsa_user_sgpr_kernarg_preload_offset 0
		.amdhsa_user_sgpr_private_segment_size 0
		.amdhsa_uses_dynamic_stack 0
		.amdhsa_enable_private_segment 0
		.amdhsa_system_sgpr_workgroup_id_x 1
		.amdhsa_system_sgpr_workgroup_id_y 0
		.amdhsa_system_sgpr_workgroup_id_z 0
		.amdhsa_system_sgpr_workgroup_info 0
		.amdhsa_system_vgpr_workitem_id 0
		.amdhsa_next_free_vgpr 8
		.amdhsa_next_free_sgpr 24
		.amdhsa_accum_offset 8
		.amdhsa_reserve_vcc 1
		.amdhsa_float_round_mode_32 0
		.amdhsa_float_round_mode_16_64 0
		.amdhsa_float_denorm_mode_32 3
		.amdhsa_float_denorm_mode_16_64 3
		.amdhsa_dx10_clamp 1
		.amdhsa_ieee_mode 1
		.amdhsa_fp16_overflow 0
		.amdhsa_tg_split 0
		.amdhsa_exception_fp_ieee_invalid_op 0
		.amdhsa_exception_fp_denorm_src 0
		.amdhsa_exception_fp_ieee_div_zero 0
		.amdhsa_exception_fp_ieee_overflow 0
		.amdhsa_exception_fp_ieee_underflow 0
		.amdhsa_exception_fp_ieee_inexact 0
		.amdhsa_exception_int_div_zero 0
	.end_amdhsa_kernel
	.section	.text._ZN7rocprim17ROCPRIM_400000_NS6detail30init_device_scan_by_key_kernelINS1_19lookback_scan_stateINS0_5tupleIJlbEEELb0ELb0EEEPKljNS1_16block_id_wrapperIjLb0EEEEEvT_jjPNSB_10value_typeET0_PNSt15iterator_traitsISE_E10value_typeEmT1_T2_,"axG",@progbits,_ZN7rocprim17ROCPRIM_400000_NS6detail30init_device_scan_by_key_kernelINS1_19lookback_scan_stateINS0_5tupleIJlbEEELb0ELb0EEEPKljNS1_16block_id_wrapperIjLb0EEEEEvT_jjPNSB_10value_typeET0_PNSt15iterator_traitsISE_E10value_typeEmT1_T2_,comdat
.Lfunc_end92:
	.size	_ZN7rocprim17ROCPRIM_400000_NS6detail30init_device_scan_by_key_kernelINS1_19lookback_scan_stateINS0_5tupleIJlbEEELb0ELb0EEEPKljNS1_16block_id_wrapperIjLb0EEEEEvT_jjPNSB_10value_typeET0_PNSt15iterator_traitsISE_E10value_typeEmT1_T2_, .Lfunc_end92-_ZN7rocprim17ROCPRIM_400000_NS6detail30init_device_scan_by_key_kernelINS1_19lookback_scan_stateINS0_5tupleIJlbEEELb0ELb0EEEPKljNS1_16block_id_wrapperIjLb0EEEEEvT_jjPNSB_10value_typeET0_PNSt15iterator_traitsISE_E10value_typeEmT1_T2_
                                        ; -- End function
	.set _ZN7rocprim17ROCPRIM_400000_NS6detail30init_device_scan_by_key_kernelINS1_19lookback_scan_stateINS0_5tupleIJlbEEELb0ELb0EEEPKljNS1_16block_id_wrapperIjLb0EEEEEvT_jjPNSB_10value_typeET0_PNSt15iterator_traitsISE_E10value_typeEmT1_T2_.num_vgpr, 8
	.set _ZN7rocprim17ROCPRIM_400000_NS6detail30init_device_scan_by_key_kernelINS1_19lookback_scan_stateINS0_5tupleIJlbEEELb0ELb0EEEPKljNS1_16block_id_wrapperIjLb0EEEEEvT_jjPNSB_10value_typeET0_PNSt15iterator_traitsISE_E10value_typeEmT1_T2_.num_agpr, 0
	.set _ZN7rocprim17ROCPRIM_400000_NS6detail30init_device_scan_by_key_kernelINS1_19lookback_scan_stateINS0_5tupleIJlbEEELb0ELb0EEEPKljNS1_16block_id_wrapperIjLb0EEEEEvT_jjPNSB_10value_typeET0_PNSt15iterator_traitsISE_E10value_typeEmT1_T2_.numbered_sgpr, 24
	.set _ZN7rocprim17ROCPRIM_400000_NS6detail30init_device_scan_by_key_kernelINS1_19lookback_scan_stateINS0_5tupleIJlbEEELb0ELb0EEEPKljNS1_16block_id_wrapperIjLb0EEEEEvT_jjPNSB_10value_typeET0_PNSt15iterator_traitsISE_E10value_typeEmT1_T2_.num_named_barrier, 0
	.set _ZN7rocprim17ROCPRIM_400000_NS6detail30init_device_scan_by_key_kernelINS1_19lookback_scan_stateINS0_5tupleIJlbEEELb0ELb0EEEPKljNS1_16block_id_wrapperIjLb0EEEEEvT_jjPNSB_10value_typeET0_PNSt15iterator_traitsISE_E10value_typeEmT1_T2_.private_seg_size, 0
	.set _ZN7rocprim17ROCPRIM_400000_NS6detail30init_device_scan_by_key_kernelINS1_19lookback_scan_stateINS0_5tupleIJlbEEELb0ELb0EEEPKljNS1_16block_id_wrapperIjLb0EEEEEvT_jjPNSB_10value_typeET0_PNSt15iterator_traitsISE_E10value_typeEmT1_T2_.uses_vcc, 1
	.set _ZN7rocprim17ROCPRIM_400000_NS6detail30init_device_scan_by_key_kernelINS1_19lookback_scan_stateINS0_5tupleIJlbEEELb0ELb0EEEPKljNS1_16block_id_wrapperIjLb0EEEEEvT_jjPNSB_10value_typeET0_PNSt15iterator_traitsISE_E10value_typeEmT1_T2_.uses_flat_scratch, 0
	.set _ZN7rocprim17ROCPRIM_400000_NS6detail30init_device_scan_by_key_kernelINS1_19lookback_scan_stateINS0_5tupleIJlbEEELb0ELb0EEEPKljNS1_16block_id_wrapperIjLb0EEEEEvT_jjPNSB_10value_typeET0_PNSt15iterator_traitsISE_E10value_typeEmT1_T2_.has_dyn_sized_stack, 0
	.set _ZN7rocprim17ROCPRIM_400000_NS6detail30init_device_scan_by_key_kernelINS1_19lookback_scan_stateINS0_5tupleIJlbEEELb0ELb0EEEPKljNS1_16block_id_wrapperIjLb0EEEEEvT_jjPNSB_10value_typeET0_PNSt15iterator_traitsISE_E10value_typeEmT1_T2_.has_recursion, 0
	.set _ZN7rocprim17ROCPRIM_400000_NS6detail30init_device_scan_by_key_kernelINS1_19lookback_scan_stateINS0_5tupleIJlbEEELb0ELb0EEEPKljNS1_16block_id_wrapperIjLb0EEEEEvT_jjPNSB_10value_typeET0_PNSt15iterator_traitsISE_E10value_typeEmT1_T2_.has_indirect_call, 0
	.section	.AMDGPU.csdata,"",@progbits
; Kernel info:
; codeLenInByte = 536
; TotalNumSgprs: 30
; NumVgprs: 8
; NumAgprs: 0
; TotalNumVgprs: 8
; ScratchSize: 0
; MemoryBound: 0
; FloatMode: 240
; IeeeMode: 1
; LDSByteSize: 0 bytes/workgroup (compile time only)
; SGPRBlocks: 3
; VGPRBlocks: 0
; NumSGPRsForWavesPerEU: 30
; NumVGPRsForWavesPerEU: 8
; AccumOffset: 8
; Occupancy: 8
; WaveLimiterHint : 0
; COMPUTE_PGM_RSRC2:SCRATCH_EN: 0
; COMPUTE_PGM_RSRC2:USER_SGPR: 2
; COMPUTE_PGM_RSRC2:TRAP_HANDLER: 0
; COMPUTE_PGM_RSRC2:TGID_X_EN: 1
; COMPUTE_PGM_RSRC2:TGID_Y_EN: 0
; COMPUTE_PGM_RSRC2:TGID_Z_EN: 0
; COMPUTE_PGM_RSRC2:TIDIG_COMP_CNT: 0
; COMPUTE_PGM_RSRC3_GFX90A:ACCUM_OFFSET: 1
; COMPUTE_PGM_RSRC3_GFX90A:TG_SPLIT: 0
	.section	.text._ZN7rocprim17ROCPRIM_400000_NS6detail30init_device_scan_by_key_kernelINS1_19lookback_scan_stateINS0_5tupleIJlbEEELb0ELb0EEENS1_16block_id_wrapperIjLb0EEEEEvT_jjPNS9_10value_typeET0_,"axG",@progbits,_ZN7rocprim17ROCPRIM_400000_NS6detail30init_device_scan_by_key_kernelINS1_19lookback_scan_stateINS0_5tupleIJlbEEELb0ELb0EEENS1_16block_id_wrapperIjLb0EEEEEvT_jjPNS9_10value_typeET0_,comdat
	.protected	_ZN7rocprim17ROCPRIM_400000_NS6detail30init_device_scan_by_key_kernelINS1_19lookback_scan_stateINS0_5tupleIJlbEEELb0ELb0EEENS1_16block_id_wrapperIjLb0EEEEEvT_jjPNS9_10value_typeET0_ ; -- Begin function _ZN7rocprim17ROCPRIM_400000_NS6detail30init_device_scan_by_key_kernelINS1_19lookback_scan_stateINS0_5tupleIJlbEEELb0ELb0EEENS1_16block_id_wrapperIjLb0EEEEEvT_jjPNS9_10value_typeET0_
	.globl	_ZN7rocprim17ROCPRIM_400000_NS6detail30init_device_scan_by_key_kernelINS1_19lookback_scan_stateINS0_5tupleIJlbEEELb0ELb0EEENS1_16block_id_wrapperIjLb0EEEEEvT_jjPNS9_10value_typeET0_
	.p2align	8
	.type	_ZN7rocprim17ROCPRIM_400000_NS6detail30init_device_scan_by_key_kernelINS1_19lookback_scan_stateINS0_5tupleIJlbEEELb0ELb0EEENS1_16block_id_wrapperIjLb0EEEEEvT_jjPNS9_10value_typeET0_,@function
_ZN7rocprim17ROCPRIM_400000_NS6detail30init_device_scan_by_key_kernelINS1_19lookback_scan_stateINS0_5tupleIJlbEEELb0ELb0EEENS1_16block_id_wrapperIjLb0EEEEEvT_jjPNS9_10value_typeET0_: ; @_ZN7rocprim17ROCPRIM_400000_NS6detail30init_device_scan_by_key_kernelINS1_19lookback_scan_stateINS0_5tupleIJlbEEELb0ELb0EEENS1_16block_id_wrapperIjLb0EEEEEvT_jjPNS9_10value_typeET0_
; %bb.0:
	s_load_dword s3, s[0:1], 0x3c
	s_load_dwordx2 s[12:13], s[0:1], 0x20
	s_load_dwordx4 s[4:7], s[0:1], 0x10
	s_waitcnt lgkmcnt(0)
	s_and_b32 s3, s3, 0xffff
	s_mul_i32 s2, s2, s3
	s_cmp_eq_u64 s[12:13], 0
	v_add_u32_e32 v0, s2, v0
	s_cbranch_scc1 .LBB93_6
; %bb.1:
	s_cmp_lt_u32 s7, s6
	s_cselect_b32 s2, s7, 0
	s_mov_b32 s15, 0
	v_cmp_eq_u32_e32 vcc, s2, v0
	s_and_saveexec_b64 s[2:3], vcc
	s_cbranch_execz .LBB93_5
; %bb.2:
	s_add_i32 s14, s7, 64
	v_mov_b32_e32 v1, s14
	global_load_ubyte v2, v1, s[4:5] sc1
	s_load_dwordx4 s[8:11], s[0:1], 0x0
	v_mov_b32_e32 v1, 0
	s_add_u32 s0, s4, s14
	s_addc_u32 s1, s5, 0
	s_waitcnt vmcnt(0)
	v_cmp_ne_u32_sdwa s[16:17], v2, v1 src0_sel:WORD_0 src1_sel:DWORD
	s_and_b64 vcc, exec, s[16:17]
	v_readfirstlane_b32 s7, v2
	s_cbranch_vccnz .LBB93_4
.LBB93_3:                               ; =>This Inner Loop Header: Depth=1
	global_load_ubyte v2, v1, s[0:1] sc1
	s_waitcnt vmcnt(0)
	v_cmp_eq_u32_sdwa s[16:17], v2, v1 src0_sel:WORD_0 src1_sel:DWORD
	s_and_b64 vcc, exec, s[16:17]
	v_readfirstlane_b32 s7, v2
	s_cbranch_vccnz .LBB93_3
.LBB93_4:
	s_and_b32 s0, 0xffff, s7
	s_cmp_eq_u32 s0, 1
	s_waitcnt lgkmcnt(0)
	s_cselect_b32 s7, s9, s11
	s_cselect_b32 s8, s8, s10
	s_lshl_b64 s[0:1], s[14:15], 4
	s_add_u32 s0, s8, s0
	s_addc_u32 s1, s7, s1
	v_mov_b32_e32 v1, 0
	s_waitcnt vmcnt(0)
	global_load_dword v4, v1, s[0:1] sc1
	global_load_dword v5, v1, s[0:1] offset:4 sc1
	global_load_dword v2, v1, s[0:1] offset:8 sc1
	;; [unrolled: 1-line block ×3, first 2 shown]
	s_waitcnt vmcnt(2)
	global_store_dwordx2 v1, v[4:5], s[12:13]
	s_waitcnt vmcnt(2)
	global_store_byte v1, v2, s[12:13] offset:8
.LBB93_5:
	s_or_b64 exec, exec, s[2:3]
.LBB93_6:
	v_cmp_gt_u32_e32 vcc, s6, v0
	s_and_saveexec_b64 s[0:1], vcc
	s_cbranch_execnz .LBB93_9
; %bb.7:
	s_or_b64 exec, exec, s[0:1]
	v_cmp_gt_u32_e32 vcc, 64, v0
	s_and_saveexec_b64 s[0:1], vcc
	s_cbranch_execnz .LBB93_10
.LBB93_8:
	s_endpgm
.LBB93_9:
	v_add_u32_e32 v1, 64, v0
	v_mov_b32_e32 v2, 0
	global_store_byte v1, v2, s[4:5]
	s_or_b64 exec, exec, s[0:1]
	v_cmp_gt_u32_e32 vcc, 64, v0
	s_and_saveexec_b64 s[0:1], vcc
	s_cbranch_execz .LBB93_8
.LBB93_10:
	v_mov_b32_e32 v1, 0xff
	global_store_byte v0, v1, s[4:5]
	s_endpgm
	.section	.rodata,"a",@progbits
	.p2align	6, 0x0
	.amdhsa_kernel _ZN7rocprim17ROCPRIM_400000_NS6detail30init_device_scan_by_key_kernelINS1_19lookback_scan_stateINS0_5tupleIJlbEEELb0ELb0EEENS1_16block_id_wrapperIjLb0EEEEEvT_jjPNS9_10value_typeET0_
		.amdhsa_group_segment_fixed_size 0
		.amdhsa_private_segment_fixed_size 0
		.amdhsa_kernarg_size 304
		.amdhsa_user_sgpr_count 2
		.amdhsa_user_sgpr_dispatch_ptr 0
		.amdhsa_user_sgpr_queue_ptr 0
		.amdhsa_user_sgpr_kernarg_segment_ptr 1
		.amdhsa_user_sgpr_dispatch_id 0
		.amdhsa_user_sgpr_kernarg_preload_length 0
		.amdhsa_user_sgpr_kernarg_preload_offset 0
		.amdhsa_user_sgpr_private_segment_size 0
		.amdhsa_uses_dynamic_stack 0
		.amdhsa_enable_private_segment 0
		.amdhsa_system_sgpr_workgroup_id_x 1
		.amdhsa_system_sgpr_workgroup_id_y 0
		.amdhsa_system_sgpr_workgroup_id_z 0
		.amdhsa_system_sgpr_workgroup_info 0
		.amdhsa_system_vgpr_workitem_id 0
		.amdhsa_next_free_vgpr 6
		.amdhsa_next_free_sgpr 18
		.amdhsa_accum_offset 8
		.amdhsa_reserve_vcc 1
		.amdhsa_float_round_mode_32 0
		.amdhsa_float_round_mode_16_64 0
		.amdhsa_float_denorm_mode_32 3
		.amdhsa_float_denorm_mode_16_64 3
		.amdhsa_dx10_clamp 1
		.amdhsa_ieee_mode 1
		.amdhsa_fp16_overflow 0
		.amdhsa_tg_split 0
		.amdhsa_exception_fp_ieee_invalid_op 0
		.amdhsa_exception_fp_denorm_src 0
		.amdhsa_exception_fp_ieee_div_zero 0
		.amdhsa_exception_fp_ieee_overflow 0
		.amdhsa_exception_fp_ieee_underflow 0
		.amdhsa_exception_fp_ieee_inexact 0
		.amdhsa_exception_int_div_zero 0
	.end_amdhsa_kernel
	.section	.text._ZN7rocprim17ROCPRIM_400000_NS6detail30init_device_scan_by_key_kernelINS1_19lookback_scan_stateINS0_5tupleIJlbEEELb0ELb0EEENS1_16block_id_wrapperIjLb0EEEEEvT_jjPNS9_10value_typeET0_,"axG",@progbits,_ZN7rocprim17ROCPRIM_400000_NS6detail30init_device_scan_by_key_kernelINS1_19lookback_scan_stateINS0_5tupleIJlbEEELb0ELb0EEENS1_16block_id_wrapperIjLb0EEEEEvT_jjPNS9_10value_typeET0_,comdat
.Lfunc_end93:
	.size	_ZN7rocprim17ROCPRIM_400000_NS6detail30init_device_scan_by_key_kernelINS1_19lookback_scan_stateINS0_5tupleIJlbEEELb0ELb0EEENS1_16block_id_wrapperIjLb0EEEEEvT_jjPNS9_10value_typeET0_, .Lfunc_end93-_ZN7rocprim17ROCPRIM_400000_NS6detail30init_device_scan_by_key_kernelINS1_19lookback_scan_stateINS0_5tupleIJlbEEELb0ELb0EEENS1_16block_id_wrapperIjLb0EEEEEvT_jjPNS9_10value_typeET0_
                                        ; -- End function
	.set _ZN7rocprim17ROCPRIM_400000_NS6detail30init_device_scan_by_key_kernelINS1_19lookback_scan_stateINS0_5tupleIJlbEEELb0ELb0EEENS1_16block_id_wrapperIjLb0EEEEEvT_jjPNS9_10value_typeET0_.num_vgpr, 6
	.set _ZN7rocprim17ROCPRIM_400000_NS6detail30init_device_scan_by_key_kernelINS1_19lookback_scan_stateINS0_5tupleIJlbEEELb0ELb0EEENS1_16block_id_wrapperIjLb0EEEEEvT_jjPNS9_10value_typeET0_.num_agpr, 0
	.set _ZN7rocprim17ROCPRIM_400000_NS6detail30init_device_scan_by_key_kernelINS1_19lookback_scan_stateINS0_5tupleIJlbEEELb0ELb0EEENS1_16block_id_wrapperIjLb0EEEEEvT_jjPNS9_10value_typeET0_.numbered_sgpr, 18
	.set _ZN7rocprim17ROCPRIM_400000_NS6detail30init_device_scan_by_key_kernelINS1_19lookback_scan_stateINS0_5tupleIJlbEEELb0ELb0EEENS1_16block_id_wrapperIjLb0EEEEEvT_jjPNS9_10value_typeET0_.num_named_barrier, 0
	.set _ZN7rocprim17ROCPRIM_400000_NS6detail30init_device_scan_by_key_kernelINS1_19lookback_scan_stateINS0_5tupleIJlbEEELb0ELb0EEENS1_16block_id_wrapperIjLb0EEEEEvT_jjPNS9_10value_typeET0_.private_seg_size, 0
	.set _ZN7rocprim17ROCPRIM_400000_NS6detail30init_device_scan_by_key_kernelINS1_19lookback_scan_stateINS0_5tupleIJlbEEELb0ELb0EEENS1_16block_id_wrapperIjLb0EEEEEvT_jjPNS9_10value_typeET0_.uses_vcc, 1
	.set _ZN7rocprim17ROCPRIM_400000_NS6detail30init_device_scan_by_key_kernelINS1_19lookback_scan_stateINS0_5tupleIJlbEEELb0ELb0EEENS1_16block_id_wrapperIjLb0EEEEEvT_jjPNS9_10value_typeET0_.uses_flat_scratch, 0
	.set _ZN7rocprim17ROCPRIM_400000_NS6detail30init_device_scan_by_key_kernelINS1_19lookback_scan_stateINS0_5tupleIJlbEEELb0ELb0EEENS1_16block_id_wrapperIjLb0EEEEEvT_jjPNS9_10value_typeET0_.has_dyn_sized_stack, 0
	.set _ZN7rocprim17ROCPRIM_400000_NS6detail30init_device_scan_by_key_kernelINS1_19lookback_scan_stateINS0_5tupleIJlbEEELb0ELb0EEENS1_16block_id_wrapperIjLb0EEEEEvT_jjPNS9_10value_typeET0_.has_recursion, 0
	.set _ZN7rocprim17ROCPRIM_400000_NS6detail30init_device_scan_by_key_kernelINS1_19lookback_scan_stateINS0_5tupleIJlbEEELb0ELb0EEENS1_16block_id_wrapperIjLb0EEEEEvT_jjPNS9_10value_typeET0_.has_indirect_call, 0
	.section	.AMDGPU.csdata,"",@progbits
; Kernel info:
; codeLenInByte = 356
; TotalNumSgprs: 24
; NumVgprs: 6
; NumAgprs: 0
; TotalNumVgprs: 6
; ScratchSize: 0
; MemoryBound: 0
; FloatMode: 240
; IeeeMode: 1
; LDSByteSize: 0 bytes/workgroup (compile time only)
; SGPRBlocks: 2
; VGPRBlocks: 0
; NumSGPRsForWavesPerEU: 24
; NumVGPRsForWavesPerEU: 6
; AccumOffset: 8
; Occupancy: 8
; WaveLimiterHint : 0
; COMPUTE_PGM_RSRC2:SCRATCH_EN: 0
; COMPUTE_PGM_RSRC2:USER_SGPR: 2
; COMPUTE_PGM_RSRC2:TRAP_HANDLER: 0
; COMPUTE_PGM_RSRC2:TGID_X_EN: 1
; COMPUTE_PGM_RSRC2:TGID_Y_EN: 0
; COMPUTE_PGM_RSRC2:TGID_Z_EN: 0
; COMPUTE_PGM_RSRC2:TIDIG_COMP_CNT: 0
; COMPUTE_PGM_RSRC3_GFX90A:ACCUM_OFFSET: 1
; COMPUTE_PGM_RSRC3_GFX90A:TG_SPLIT: 0
	.section	.text._ZN7rocprim17ROCPRIM_400000_NS6detail17trampoline_kernelINS0_14default_configENS1_27scan_by_key_config_selectorIllEEZZNS1_16scan_by_key_implILNS1_25lookback_scan_determinismE0ELb0ES3_PKlN6hipcub16HIPCUB_304000_NS21ConstantInputIteratorIllEEPllNSB_3SumENSB_8EqualityElEE10hipError_tPvRmT2_T3_T4_T5_mT6_T7_P12ihipStream_tbENKUlT_T0_E_clISt17integral_constantIbLb0EESX_EEDaSS_ST_EUlSS_E_NS1_11comp_targetILNS1_3genE0ELNS1_11target_archE4294967295ELNS1_3gpuE0ELNS1_3repE0EEENS1_30default_config_static_selectorELNS0_4arch9wavefront6targetE1EEEvT1_,"axG",@progbits,_ZN7rocprim17ROCPRIM_400000_NS6detail17trampoline_kernelINS0_14default_configENS1_27scan_by_key_config_selectorIllEEZZNS1_16scan_by_key_implILNS1_25lookback_scan_determinismE0ELb0ES3_PKlN6hipcub16HIPCUB_304000_NS21ConstantInputIteratorIllEEPllNSB_3SumENSB_8EqualityElEE10hipError_tPvRmT2_T3_T4_T5_mT6_T7_P12ihipStream_tbENKUlT_T0_E_clISt17integral_constantIbLb0EESX_EEDaSS_ST_EUlSS_E_NS1_11comp_targetILNS1_3genE0ELNS1_11target_archE4294967295ELNS1_3gpuE0ELNS1_3repE0EEENS1_30default_config_static_selectorELNS0_4arch9wavefront6targetE1EEEvT1_,comdat
	.protected	_ZN7rocprim17ROCPRIM_400000_NS6detail17trampoline_kernelINS0_14default_configENS1_27scan_by_key_config_selectorIllEEZZNS1_16scan_by_key_implILNS1_25lookback_scan_determinismE0ELb0ES3_PKlN6hipcub16HIPCUB_304000_NS21ConstantInputIteratorIllEEPllNSB_3SumENSB_8EqualityElEE10hipError_tPvRmT2_T3_T4_T5_mT6_T7_P12ihipStream_tbENKUlT_T0_E_clISt17integral_constantIbLb0EESX_EEDaSS_ST_EUlSS_E_NS1_11comp_targetILNS1_3genE0ELNS1_11target_archE4294967295ELNS1_3gpuE0ELNS1_3repE0EEENS1_30default_config_static_selectorELNS0_4arch9wavefront6targetE1EEEvT1_ ; -- Begin function _ZN7rocprim17ROCPRIM_400000_NS6detail17trampoline_kernelINS0_14default_configENS1_27scan_by_key_config_selectorIllEEZZNS1_16scan_by_key_implILNS1_25lookback_scan_determinismE0ELb0ES3_PKlN6hipcub16HIPCUB_304000_NS21ConstantInputIteratorIllEEPllNSB_3SumENSB_8EqualityElEE10hipError_tPvRmT2_T3_T4_T5_mT6_T7_P12ihipStream_tbENKUlT_T0_E_clISt17integral_constantIbLb0EESX_EEDaSS_ST_EUlSS_E_NS1_11comp_targetILNS1_3genE0ELNS1_11target_archE4294967295ELNS1_3gpuE0ELNS1_3repE0EEENS1_30default_config_static_selectorELNS0_4arch9wavefront6targetE1EEEvT1_
	.globl	_ZN7rocprim17ROCPRIM_400000_NS6detail17trampoline_kernelINS0_14default_configENS1_27scan_by_key_config_selectorIllEEZZNS1_16scan_by_key_implILNS1_25lookback_scan_determinismE0ELb0ES3_PKlN6hipcub16HIPCUB_304000_NS21ConstantInputIteratorIllEEPllNSB_3SumENSB_8EqualityElEE10hipError_tPvRmT2_T3_T4_T5_mT6_T7_P12ihipStream_tbENKUlT_T0_E_clISt17integral_constantIbLb0EESX_EEDaSS_ST_EUlSS_E_NS1_11comp_targetILNS1_3genE0ELNS1_11target_archE4294967295ELNS1_3gpuE0ELNS1_3repE0EEENS1_30default_config_static_selectorELNS0_4arch9wavefront6targetE1EEEvT1_
	.p2align	8
	.type	_ZN7rocprim17ROCPRIM_400000_NS6detail17trampoline_kernelINS0_14default_configENS1_27scan_by_key_config_selectorIllEEZZNS1_16scan_by_key_implILNS1_25lookback_scan_determinismE0ELb0ES3_PKlN6hipcub16HIPCUB_304000_NS21ConstantInputIteratorIllEEPllNSB_3SumENSB_8EqualityElEE10hipError_tPvRmT2_T3_T4_T5_mT6_T7_P12ihipStream_tbENKUlT_T0_E_clISt17integral_constantIbLb0EESX_EEDaSS_ST_EUlSS_E_NS1_11comp_targetILNS1_3genE0ELNS1_11target_archE4294967295ELNS1_3gpuE0ELNS1_3repE0EEENS1_30default_config_static_selectorELNS0_4arch9wavefront6targetE1EEEvT1_,@function
_ZN7rocprim17ROCPRIM_400000_NS6detail17trampoline_kernelINS0_14default_configENS1_27scan_by_key_config_selectorIllEEZZNS1_16scan_by_key_implILNS1_25lookback_scan_determinismE0ELb0ES3_PKlN6hipcub16HIPCUB_304000_NS21ConstantInputIteratorIllEEPllNSB_3SumENSB_8EqualityElEE10hipError_tPvRmT2_T3_T4_T5_mT6_T7_P12ihipStream_tbENKUlT_T0_E_clISt17integral_constantIbLb0EESX_EEDaSS_ST_EUlSS_E_NS1_11comp_targetILNS1_3genE0ELNS1_11target_archE4294967295ELNS1_3gpuE0ELNS1_3repE0EEENS1_30default_config_static_selectorELNS0_4arch9wavefront6targetE1EEEvT1_: ; @_ZN7rocprim17ROCPRIM_400000_NS6detail17trampoline_kernelINS0_14default_configENS1_27scan_by_key_config_selectorIllEEZZNS1_16scan_by_key_implILNS1_25lookback_scan_determinismE0ELb0ES3_PKlN6hipcub16HIPCUB_304000_NS21ConstantInputIteratorIllEEPllNSB_3SumENSB_8EqualityElEE10hipError_tPvRmT2_T3_T4_T5_mT6_T7_P12ihipStream_tbENKUlT_T0_E_clISt17integral_constantIbLb0EESX_EEDaSS_ST_EUlSS_E_NS1_11comp_targetILNS1_3genE0ELNS1_11target_archE4294967295ELNS1_3gpuE0ELNS1_3repE0EEENS1_30default_config_static_selectorELNS0_4arch9wavefront6targetE1EEEvT1_
; %bb.0:
	s_load_dwordx2 s[58:59], s[0:1], 0x58
	s_load_dword s3, s[0:1], 0x60
	s_load_dwordx4 s[4:7], s[0:1], 0x0
	s_load_dwordx2 s[10:11], s[0:1], 0x10
	s_load_dwordx8 s[40:47], s[0:1], 0x38
	s_load_dwordx8 s[48:55], s[0:1], 0x68
	s_waitcnt lgkmcnt(0)
	s_mul_i32 s8, s59, s3
	s_mul_hi_u32 s9, s58, s3
	s_add_i32 s9, s9, s8
	s_lshl_b64 s[56:57], s[6:7], 3
	s_add_u32 s8, s4, s56
	s_addc_u32 s13, s5, s57
	s_cmp_lg_u64 s[52:53], 0
	s_mul_i32 s6, s2, 0xe00
	s_mov_b32 s7, 0
	s_cselect_b64 s[14:15], -1, 0
	s_lshl_b64 s[52:53], s[6:7], 3
	s_add_u32 s12, s8, s52
	s_mul_i32 s3, s58, s3
	s_addc_u32 s13, s13, s53
	s_add_u32 s16, s3, s2
	s_addc_u32 s17, s9, 0
	s_add_u32 s6, s48, -1
	s_addc_u32 s7, s49, -1
	v_mov_b64_e32 v[2:3], s[6:7]
	v_cmp_ge_u64_e64 s[36:37], s[16:17], v[2:3]
	s_mov_b64 s[4:5], 0
	s_mov_b64 s[20:21], -1
	s_and_b64 vcc, exec, s[36:37]
	s_mul_i32 s33, s6, 0xfffff200
	s_barrier
	s_cbranch_vccz .LBB94_32
; %bb.1:
	s_load_dwordx2 s[4:5], s[12:13], 0x0
	s_add_i32 s3, s33, s46
	v_cmp_gt_u32_e32 vcc, s3, v0
	s_waitcnt lgkmcnt(0)
	v_mov_b64_e32 v[2:3], s[4:5]
	s_and_saveexec_b64 s[6:7], vcc
	s_cbranch_execz .LBB94_3
; %bb.2:
	v_lshlrev_b32_e32 v1, 3, v0
	global_load_dwordx2 v[2:3], v1, s[12:13]
.LBB94_3:
	s_or_b64 exec, exec, s[6:7]
	v_or_b32_e32 v1, 0x100, v0
	v_cmp_gt_u32_e32 vcc, s3, v1
	v_mov_b64_e32 v[4:5], s[4:5]
	s_and_saveexec_b64 s[6:7], vcc
	s_cbranch_execz .LBB94_5
; %bb.4:
	v_lshlrev_b32_e32 v1, 3, v0
	global_load_dwordx2 v[4:5], v1, s[12:13] offset:2048
.LBB94_5:
	s_or_b64 exec, exec, s[6:7]
	v_or_b32_e32 v1, 0x200, v0
	v_cmp_gt_u32_e32 vcc, s3, v1
	v_mov_b64_e32 v[6:7], s[4:5]
	s_and_saveexec_b64 s[6:7], vcc
	s_cbranch_execz .LBB94_7
; %bb.6:
	v_lshlrev_b32_e32 v1, 3, v1
	global_load_dwordx2 v[6:7], v1, s[12:13]
.LBB94_7:
	s_or_b64 exec, exec, s[6:7]
	v_or_b32_e32 v1, 0x300, v0
	v_cmp_gt_u32_e32 vcc, s3, v1
	v_mov_b64_e32 v[8:9], s[4:5]
	s_and_saveexec_b64 s[6:7], vcc
	s_cbranch_execz .LBB94_9
; %bb.8:
	v_lshlrev_b32_e32 v1, 3, v1
	global_load_dwordx2 v[8:9], v1, s[12:13]
.LBB94_9:
	;; [unrolled: 10-line block ×12, first 2 shown]
	s_or_b64 exec, exec, s[4:5]
	v_lshlrev_b32_e32 v1, 3, v0
	s_movk_i32 s4, 0x68
	s_waitcnt vmcnt(0)
	ds_write2st64_b64 v1, v[2:3], v[4:5] offset1:4
	ds_write2st64_b64 v1, v[6:7], v[8:9] offset0:8 offset1:12
	ds_write2st64_b64 v1, v[10:11], v[12:13] offset0:16 offset1:20
	ds_write2st64_b64 v1, v[14:15], v[16:17] offset0:24 offset1:28
	ds_write2st64_b64 v1, v[18:19], v[20:21] offset0:32 offset1:36
	ds_write2st64_b64 v1, v[22:23], v[24:25] offset0:40 offset1:44
	ds_write2st64_b64 v1, v[26:27], v[28:29] offset0:48 offset1:52
	v_mad_u32_u24 v20, v0, s4, v1
	s_waitcnt lgkmcnt(0)
	s_barrier
	ds_read_b128 v[60:63], v20 offset:16
	ds_read2_b64 v[44:47], v20 offset0:3 offset1:4
	ds_read_b128 v[52:55], v20
	ds_read2_b64 v[56:59], v20 offset0:1 offset1:2
	ds_read2_b64 v[36:39], v20 offset0:7 offset1:8
	;; [unrolled: 1-line block ×5, first 2 shown]
	ds_read_b64 v[66:67], v20 offset:104
	s_cmp_eq_u64 s[16:17], 0
	s_mov_b64 s[4:5], s[12:13]
	s_cbranch_scc1 .LBB94_35
; %bb.30:
	s_add_u32 s4, s12, -8
	s_addc_u32 s5, s13, -1
	s_andn2_b64 vcc, exec, s[14:15]
	s_cbranch_vccnz .LBB94_33
; %bb.31:
	s_lshl_b64 s[4:5], s[16:17], 3
	s_add_u32 s4, s54, s4
	s_addc_u32 s5, s55, s5
	s_add_u32 s4, s4, -8
	s_addc_u32 s5, s5, -1
	s_mov_b64 s[6:7], 0
	s_branch .LBB94_34
.LBB94_32:
                                        ; implicit-def: $sgpr18_sgpr19
                                        ; implicit-def: $vgpr84
                                        ; implicit-def: $vgpr81
                                        ; implicit-def: $vgpr83
                                        ; implicit-def: $vgpr82
                                        ; implicit-def: $vgpr87
                                        ; implicit-def: $vgpr80
                                        ; implicit-def: $vgpr86
                                        ; implicit-def: $vgpr85
                                        ; implicit-def: $vgpr20_vgpr21
                                        ; implicit-def: $vgpr92_vgpr93
                                        ; implicit-def: $vgpr96_vgpr97
                                        ; implicit-def: $vgpr100_vgpr101
                                        ; implicit-def: $vgpr104_vgpr105
                                        ; implicit-def: $vgpr108_vgpr109
                                        ; implicit-def: $vgpr4_vgpr5
                                        ; implicit-def: $vgpr89
                                        ; implicit-def: $vgpr70
                                        ; implicit-def: $vgpr1
                                        ; implicit-def: $vgpr69
                                        ; implicit-def: $vgpr68
                                        ; implicit-def: $vgpr74
                                        ; implicit-def: $vgpr72
                                        ; implicit-def: $vgpr73
                                        ; implicit-def: $vgpr71
                                        ; implicit-def: $vgpr79
                                        ; implicit-def: $vgpr78
                                        ; implicit-def: $vgpr77
                                        ; implicit-def: $vgpr76
                                        ; implicit-def: $vgpr30_vgpr31
                                        ; implicit-def: $vgpr64_vgpr65
                                        ; implicit-def: $vgpr26_vgpr27
                                        ; implicit-def: $vgpr28_vgpr29
                                        ; implicit-def: $vgpr22_vgpr23
                                        ; implicit-def: $vgpr24_vgpr25
                                        ; implicit-def: $vgpr14_vgpr15
                                        ; implicit-def: $vgpr16_vgpr17
                                        ; implicit-def: $vgpr10_vgpr11
                                        ; implicit-def: $vgpr12_vgpr13
                                        ; implicit-def: $vgpr6_vgpr7
                                        ; implicit-def: $vgpr75
	s_and_b64 vcc, exec, s[20:21]
	v_lshlrev_b32_e32 v60, 3, v0
	s_cbranch_vccnz .LBB94_64
	s_branch .LBB94_72
.LBB94_33:
	s_mov_b64 s[6:7], -1
.LBB94_34:
	s_andn2_b64 vcc, exec, s[6:7]
.LBB94_35:
	s_load_dwordx2 s[4:5], s[4:5], 0x0
	s_movk_i32 s6, 0xff98
	v_mad_i32_i24 v2, v0, s6, v20
	v_cmp_ne_u32_e32 vcc, 0, v0
	s_waitcnt lgkmcnt(0)
	ds_write_b64 v2, v[66:67] offset:28672
	v_mov_b64_e32 v[8:9], s[4:5]
	s_waitcnt lgkmcnt(0)
	s_barrier
	s_and_saveexec_b64 s[4:5], vcc
; %bb.36:
	v_mul_i32_i24_e32 v2, 0xffffff98, v0
	v_add_u32_e32 v2, v20, v2
	ds_read_b64 v[8:9], v2 offset:28664
; %bb.37:
	s_or_b64 exec, exec, s[4:5]
	v_mul_u32_u24_e32 v88, 14, v0
	v_mov_b64_e32 v[2:3], s[10:11]
	s_waitcnt lgkmcnt(0)
	s_barrier
	ds_write2st64_b64 v1, v[2:3], v[2:3] offset1:4
	ds_write2st64_b64 v1, v[2:3], v[2:3] offset0:8 offset1:12
	ds_write2st64_b64 v1, v[2:3], v[2:3] offset0:16 offset1:20
	;; [unrolled: 1-line block ×6, first 2 shown]
	v_cmp_gt_u32_e32 vcc, s3, v88
	v_mov_b32_e32 v84, 0
	s_mov_b64 s[20:21], 0
	v_mov_b64_e32 v[92:93], 0
	s_mov_b64 s[4:5], 0
	v_mov_b32_e32 v81, 0
	v_mov_b32_e32 v83, 0
	;; [unrolled: 1-line block ×7, first 2 shown]
	v_mov_b64_e32 v[90:91], 0
	v_mov_b64_e32 v[96:97], 0
	;; [unrolled: 1-line block ×10, first 2 shown]
	v_mov_b32_e32 v89, 0
	v_mov_b64_e32 v[2:3], 0
	v_mov_b32_e32 v70, 0
	v_mov_b32_e32 v1, 0
	;; [unrolled: 1-line block ×12, first 2 shown]
	v_mov_b64_e32 v[18:19], 0
	v_mov_b64_e32 v[30:31], 0
	;; [unrolled: 1-line block ×12, first 2 shown]
	v_mov_b32_e32 v75, 0
	s_waitcnt lgkmcnt(0)
	s_barrier
                                        ; implicit-def: $sgpr18_sgpr19
	s_and_saveexec_b64 s[22:23], vcc
	s_cbranch_execz .LBB94_63
; %bb.38:
	ds_read_b64 v[2:3], v20
	v_or_b32_e32 v1, 1, v88
	v_cmp_ne_u64_e32 vcc, v[8:9], v[52:53]
	v_cmp_gt_u32_e64 s[4:5], s3, v1
	v_mov_b32_e32 v84, 0
	s_mov_b64 s[6:7], 0
	v_mov_b64_e32 v[92:93], 0
	v_mov_b32_e32 v81, 0
	v_mov_b32_e32 v83, 0
	;; [unrolled: 1-line block ×7, first 2 shown]
	v_mov_b64_e32 v[90:91], 0
	v_mov_b64_e32 v[96:97], 0
	;; [unrolled: 1-line block ×10, first 2 shown]
	v_mov_b32_e32 v70, 0
	v_mov_b32_e32 v1, 0
	;; [unrolled: 1-line block ×12, first 2 shown]
	v_mov_b64_e32 v[18:19], 0
	v_mov_b64_e32 v[30:31], 0
	;; [unrolled: 1-line block ×12, first 2 shown]
                                        ; implicit-def: $sgpr18_sgpr19
	s_and_saveexec_b64 s[24:25], s[4:5]
	s_cbranch_execz .LBB94_62
; %bb.39:
	ds_read2_b64 v[6:9], v20 offset0:1 offset1:2
	v_cmp_ne_u64_e64 s[8:9], v[54:55], v[58:59]
	v_cmp_ne_u64_e64 s[4:5], v[60:61], v[44:45]
	;; [unrolled: 1-line block ×3, first 2 shown]
	v_cndmask_b32_e64 v1, 0, 1, s[8:9]
	v_lshlrev_b16_e32 v4, 8, v1
	v_cmp_ne_u64_e64 s[8:9], v[52:53], v[56:57]
	v_add_u32_e32 v1, 2, v88
	v_mov_b32_e32 v84, 0
	v_cndmask_b32_e64 v5, 0, 1, s[8:9]
	v_cmp_gt_u32_e64 s[8:9], s3, v1
	s_mov_b64 s[28:29], 0
	v_mov_b64_e32 v[92:93], 0
	v_mov_b32_e32 v81, 0
	v_mov_b32_e32 v83, 0
	;; [unrolled: 1-line block ×6, first 2 shown]
	v_mov_b64_e32 v[90:91], 0
	v_mov_b64_e32 v[96:97], 0
	;; [unrolled: 1-line block ×9, first 2 shown]
	v_mov_b32_e32 v70, 0
	v_mov_b32_e32 v1, 0
	;; [unrolled: 1-line block ×11, first 2 shown]
	v_mov_b64_e32 v[18:19], 0
	v_mov_b64_e32 v[30:31], 0
	;; [unrolled: 1-line block ×11, first 2 shown]
                                        ; implicit-def: $sgpr18_sgpr19
	s_and_saveexec_b64 s[26:27], s[8:9]
	s_cbranch_execz .LBB94_61
; %bb.40:
	v_cndmask_b32_e64 v1, 0, 1, s[6:7]
	v_lshlrev_b16_e32 v1, 8, v1
	v_cndmask_b32_e64 v10, 0, 1, s[4:5]
	v_or_b32_e32 v44, v10, v1
	v_lshlrev_b32_e32 v45, 16, v44
	v_or_b32_e32 v1, v4, v45
	v_lshrrev_b32_e32 v80, 8, v1
	v_add_u32_e32 v1, 3, v88
	v_cmp_gt_u32_e64 s[4:5], s3, v1
	v_mov_b32_e32 v84, 0
	s_mov_b64 s[6:7], 0
	v_mov_b64_e32 v[92:93], 0
	v_mov_b32_e32 v81, 0
	v_mov_b32_e32 v83, 0
	;; [unrolled: 1-line block ×5, first 2 shown]
	v_mov_b64_e32 v[90:91], 0
	v_mov_b64_e32 v[96:97], 0
	;; [unrolled: 1-line block ×8, first 2 shown]
	v_mov_b32_e32 v70, 0
	v_mov_b32_e32 v1, 0
	;; [unrolled: 1-line block ×10, first 2 shown]
	v_mov_b64_e32 v[18:19], 0
	v_mov_b64_e32 v[30:31], 0
	v_mov_b64_e32 v[64:65], 0
	v_mov_b64_e32 v[26:27], 0
	v_mov_b64_e32 v[28:29], 0
	v_mov_b64_e32 v[22:23], 0
	v_mov_b64_e32 v[24:25], 0
	v_mov_b64_e32 v[14:15], 0
	v_mov_b64_e32 v[16:17], 0
	v_mov_b64_e32 v[10:11], 0
                                        ; implicit-def: $sgpr18_sgpr19
	s_and_saveexec_b64 s[28:29], s[4:5]
	s_cbranch_execz .LBB94_60
; %bb.41:
	ds_read2_b64 v[10:13], v20 offset0:3 offset1:4
	v_add_u32_e32 v1, 4, v88
	v_cmp_gt_u32_e64 s[4:5], s3, v1
	v_mov_b32_e32 v84, 0
	v_mov_b64_e32 v[92:93], 0
	v_mov_b32_e32 v81, 0
	v_mov_b32_e32 v83, 0
	v_mov_b32_e32 v82, 0
	v_mov_b32_e32 v85, 0
	v_mov_b64_e32 v[90:91], 0
	v_mov_b64_e32 v[96:97], 0
	;; [unrolled: 1-line block ×7, first 2 shown]
	v_mov_b32_e32 v70, 0
	v_mov_b32_e32 v1, 0
	;; [unrolled: 1-line block ×9, first 2 shown]
	v_mov_b64_e32 v[18:19], 0
	v_mov_b64_e32 v[30:31], 0
	;; [unrolled: 1-line block ×9, first 2 shown]
                                        ; implicit-def: $sgpr18_sgpr19
	s_and_saveexec_b64 s[30:31], s[4:5]
	s_cbranch_execz .LBB94_59
; %bb.42:
	v_add_u32_e32 v1, 5, v88
	v_cmp_gt_u32_e64 s[4:5], s3, v1
	v_mov_b32_e32 v84, 0
	v_mov_b64_e32 v[92:93], 0
	v_mov_b32_e32 v81, 0
	v_mov_b32_e32 v83, 0
	;; [unrolled: 1-line block ×3, first 2 shown]
	v_mov_b64_e32 v[90:91], 0
	v_mov_b64_e32 v[96:97], 0
	;; [unrolled: 1-line block ×6, first 2 shown]
	v_mov_b32_e32 v70, 0
	v_mov_b32_e32 v1, 0
	v_mov_b32_e32 v69, 0
	v_mov_b32_e32 v68, 0
	v_mov_b32_e32 v72, 0
	v_mov_b32_e32 v73, 0
	v_mov_b32_e32 v71, 0
	v_mov_b64_e32 v[18:19], 0
	v_mov_b64_e32 v[30:31], 0
	v_mov_b64_e32 v[64:65], 0
	v_mov_b64_e32 v[26:27], 0
	v_mov_b64_e32 v[28:29], 0
	v_mov_b64_e32 v[22:23], 0
	v_mov_b64_e32 v[24:25], 0
	v_mov_b64_e32 v[14:15], 0
                                        ; implicit-def: $sgpr18_sgpr19
	s_and_saveexec_b64 s[34:35], s[4:5]
	s_cbranch_execz .LBB94_58
; %bb.43:
	ds_read2_b64 v[14:17], v20 offset0:5 offset1:6
	v_cmp_ne_u64_e64 s[8:9], v[48:49], v[50:51]
	v_cmp_ne_u64_e64 s[4:5], v[50:51], v[36:37]
	;; [unrolled: 1-line block ×3, first 2 shown]
	v_cndmask_b32_e64 v1, 0, 1, s[8:9]
	v_lshlrev_b16_e32 v36, 8, v1
	v_cmp_ne_u64_e64 s[8:9], v[46:47], v[48:49]
	v_add_u32_e32 v1, 6, v88
	v_mov_b32_e32 v81, 0
	v_cndmask_b32_e64 v37, 0, 1, s[8:9]
	v_cmp_gt_u32_e64 s[8:9], s3, v1
	s_mov_b64 s[48:49], 0
	v_mov_b64_e32 v[92:93], 0
	v_mov_b32_e32 v83, 0
	v_mov_b32_e32 v82, 0
	v_mov_b64_e32 v[90:91], 0
	v_mov_b64_e32 v[96:97], 0
	;; [unrolled: 1-line block ×5, first 2 shown]
	v_mov_b32_e32 v70, 0
	v_mov_b32_e32 v1, 0
	v_mov_b32_e32 v69, 0
	v_mov_b32_e32 v68, 0
	v_mov_b32_e32 v72, 0
	v_mov_b32_e32 v73, 0
	v_mov_b32_e32 v71, 0
	v_mov_b64_e32 v[18:19], 0
	v_mov_b64_e32 v[30:31], 0
	;; [unrolled: 1-line block ×7, first 2 shown]
                                        ; implicit-def: $sgpr18_sgpr19
	s_and_saveexec_b64 s[38:39], s[8:9]
	s_cbranch_execz .LBB94_57
; %bb.44:
	v_cndmask_b32_e64 v1, 0, 1, s[6:7]
	v_lshlrev_b16_e32 v1, 8, v1
	v_cndmask_b32_e64 v18, 0, 1, s[4:5]
	v_or_b32_e32 v46, v18, v1
	v_lshlrev_b32_e32 v47, 16, v46
	v_or_b32_e32 v1, v36, v47
	v_lshrrev_b32_e32 v81, 8, v1
	v_add_u32_e32 v1, 7, v88
	v_cmp_gt_u32_e64 s[4:5], s3, v1
	v_mov_b32_e32 v83, 0
	s_mov_b64 s[6:7], 0
	v_mov_b64_e32 v[92:93], 0
	v_mov_b32_e32 v82, 0
	v_mov_b64_e32 v[90:91], 0
	v_mov_b64_e32 v[96:97], 0
	;; [unrolled: 1-line block ×4, first 2 shown]
	v_mov_b32_e32 v70, 0
	v_mov_b32_e32 v1, 0
	;; [unrolled: 1-line block ×5, first 2 shown]
	v_mov_b64_e32 v[18:19], 0
	v_mov_b64_e32 v[30:31], 0
	;; [unrolled: 1-line block ×6, first 2 shown]
                                        ; implicit-def: $sgpr18_sgpr19
	s_and_saveexec_b64 s[48:49], s[4:5]
	s_cbranch_execz .LBB94_56
; %bb.45:
	ds_read2_b64 v[22:25], v20 offset0:7 offset1:8
	v_add_u32_e32 v1, 8, v88
	v_cmp_gt_u32_e64 s[4:5], s3, v1
	v_mov_b32_e32 v82, 0
	v_mov_b64_e32 v[92:93], 0
	v_mov_b64_e32 v[90:91], 0
	;; [unrolled: 1-line block ×4, first 2 shown]
	v_mov_b32_e32 v70, 0
	v_mov_b32_e32 v1, 0
	;; [unrolled: 1-line block ×4, first 2 shown]
	v_mov_b64_e32 v[18:19], 0
	v_mov_b64_e32 v[30:31], 0
	;; [unrolled: 1-line block ×5, first 2 shown]
                                        ; implicit-def: $sgpr18_sgpr19
	s_and_saveexec_b64 s[60:61], s[4:5]
	s_cbranch_execz .LBB94_55
; %bb.46:
	v_add_u32_e32 v1, 9, v88
	v_cmp_gt_u32_e64 s[4:5], s3, v1
	v_mov_b32_e32 v70, 0
	v_mov_b64_e32 v[92:93], 0
	v_mov_b64_e32 v[90:91], 0
	;; [unrolled: 1-line block ×3, first 2 shown]
	v_mov_b32_e32 v1, 0
	v_mov_b32_e32 v69, 0
	v_mov_b32_e32 v68, 0
	v_mov_b64_e32 v[18:19], 0
	v_mov_b64_e32 v[30:31], 0
	;; [unrolled: 1-line block ×4, first 2 shown]
                                        ; implicit-def: $sgpr18_sgpr19
	s_and_saveexec_b64 s[62:63], s[4:5]
	s_cbranch_execz .LBB94_54
; %bb.47:
	ds_read2_b64 v[26:29], v20 offset0:9 offset1:10
	v_cmp_ne_u64_e64 s[8:9], v[40:41], v[42:43]
	v_cmp_ne_u64_e64 s[4:5], v[42:43], v[32:33]
	;; [unrolled: 1-line block ×3, first 2 shown]
	v_cndmask_b32_e64 v1, 0, 1, s[8:9]
	v_lshlrev_b16_e32 v42, 8, v1
	v_cmp_ne_u64_e64 s[8:9], v[38:39], v[40:41]
	v_add_u32_e32 v1, 10, v88
	s_mov_b64 s[66:67], 0
	v_cndmask_b32_e64 v38, 0, 1, s[8:9]
	v_cmp_gt_u32_e64 s[8:9], s3, v1
	v_mov_b32_e32 v1, 0
	v_mov_b64_e32 v[92:93], 0
	v_mov_b64_e32 v[90:91], 0
	v_mov_b32_e32 v69, 0
	v_mov_b32_e32 v68, 0
	v_mov_b64_e32 v[18:19], 0
	v_mov_b64_e32 v[30:31], 0
	;; [unrolled: 1-line block ×3, first 2 shown]
                                        ; implicit-def: $sgpr18_sgpr19
	s_and_saveexec_b64 s[64:65], s[8:9]
	s_cbranch_execz .LBB94_53
; %bb.48:
	v_cndmask_b32_e64 v1, 0, 1, s[6:7]
	v_lshlrev_b16_e32 v1, 8, v1
	v_cndmask_b32_e64 v18, 0, 1, s[4:5]
	v_or_b32_e32 v39, v18, v1
	v_lshlrev_b32_e32 v21, 16, v39
	v_or_b32_e32 v1, v42, v21
	v_add_u32_e32 v18, 11, v88
	v_lshrrev_b32_e32 v1, 8, v1
	v_cmp_gt_u32_e64 s[4:5], s3, v18
	v_mov_b32_e32 v69, 0
	s_mov_b64 s[8:9], 0
	v_mov_b64_e32 v[30:31], 0
	v_mov_b32_e32 v68, 0
	v_mov_b64_e32 v[18:19], 0
                                        ; implicit-def: $sgpr18_sgpr19
	s_and_saveexec_b64 s[6:7], s[4:5]
	s_cbranch_execz .LBB94_52
; %bb.49:
	ds_read2_b64 v[30:33], v20 offset0:11 offset1:12
	v_add_u32_e32 v18, 12, v88
	v_cmp_gt_u32_e64 s[4:5], s3, v18
	v_mov_b32_e32 v68, 0
	v_mov_b64_e32 v[18:19], 0
                                        ; implicit-def: $sgpr18_sgpr19
	s_and_saveexec_b64 s[66:67], s[4:5]
	s_xor_b64 s[66:67], exec, s[66:67]
	s_cbranch_execz .LBB94_51
; %bb.50:
	v_lshrrev_b32_e32 v68, 24, v21
	ds_read_b64 v[20:21], v20 offset:104
	v_add_u32_e32 v18, 13, v88
	v_cmp_gt_u32_e64 s[4:5], s3, v18
	v_cmp_ne_u64_e64 s[18:19], v[34:35], v[66:67]
	s_and_b64 s[8:9], s[4:5], exec
	s_waitcnt lgkmcnt(1)
	v_mov_b64_e32 v[18:19], v[32:33]
.LBB94_51:
	s_or_b64 exec, exec, s[66:67]
	s_and_b64 s[8:9], s[8:9], exec
	v_mov_b32_e32 v69, v39
.LBB94_52:
	s_or_b64 exec, exec, s[6:7]
	s_and_b64 s[66:67], s[8:9], exec
	s_waitcnt lgkmcnt(0)
	v_mov_b64_e32 v[92:93], v[30:31]
	v_mov_b64_e32 v[90:91], v[28:29]
	;; [unrolled: 1-line block ×3, first 2 shown]
.LBB94_53:
	s_or_b64 exec, exec, s[64:65]
	v_or_b32_e32 v70, v38, v42
	s_and_b64 s[6:7], s[66:67], exec
	s_waitcnt lgkmcnt(0)
	v_mov_b64_e32 v[96:97], v[26:27]
.LBB94_54:
	s_or_b64 exec, exec, s[62:63]
	v_lshrrev_b32_e32 v82, 24, v47
	s_and_b64 s[6:7], s[6:7], exec
	s_waitcnt lgkmcnt(0)
	v_mov_b64_e32 v[94:95], v[24:25]
	v_mov_b64_e32 v[28:29], v[24:25]
.LBB94_55:
	s_or_b64 exec, exec, s[60:61]
	s_and_b64 s[6:7], s[6:7], exec
	v_mov_b32_e32 v83, v46
	s_waitcnt lgkmcnt(0)
	v_mov_b64_e32 v[100:101], v[22:23]
	v_mov_b32_e32 v71, v82
.LBB94_56:
	s_or_b64 exec, exec, s[48:49]
	s_and_b64 s[48:49], s[6:7], exec
	s_waitcnt lgkmcnt(0)
	v_mov_b64_e32 v[98:99], v[16:17]
	v_mov_b32_e32 v72, v81
	v_mov_b32_e32 v73, v83
	v_mov_b64_e32 v[24:25], v[16:17]
.LBB94_57:
	s_or_b64 exec, exec, s[38:39]
	v_or_b32_e32 v84, v37, v36
	s_and_b64 s[6:7], s[48:49], exec
	s_waitcnt lgkmcnt(0)
	v_mov_b64_e32 v[104:105], v[14:15]
.LBB94_58:
	s_or_b64 exec, exec, s[34:35]
	v_lshrrev_b32_e32 v85, 24, v45
	s_and_b64 s[6:7], s[6:7], exec
	s_waitcnt lgkmcnt(0)
	v_mov_b64_e32 v[102:103], v[12:13]
	v_mov_b32_e32 v74, v84
	v_mov_b32_e32 v76, v85
	v_mov_b64_e32 v[16:17], v[12:13]
.LBB94_59:
	s_or_b64 exec, exec, s[30:31]
	s_and_b64 s[6:7], s[6:7], exec
	v_mov_b32_e32 v86, v44
	s_waitcnt lgkmcnt(0)
	v_mov_b64_e32 v[108:109], v[10:11]
	v_mov_b32_e32 v77, v44
.LBB94_60:
	s_or_b64 exec, exec, s[28:29]
	s_and_b64 s[28:29], s[6:7], exec
	s_waitcnt lgkmcnt(0)
	v_mov_b64_e32 v[106:107], v[8:9]
	v_mov_b32_e32 v78, v80
	v_mov_b64_e32 v[12:13], v[8:9]
.LBB94_61:
	s_or_b64 exec, exec, s[26:27]
	v_or_b32_e32 v87, v5, v4
	s_and_b64 s[6:7], s[28:29], exec
	s_waitcnt lgkmcnt(0)
	v_mov_b64_e32 v[4:5], v[6:7]
	v_mov_b32_e32 v79, v87
.LBB94_62:
	s_or_b64 exec, exec, s[24:25]
	v_cndmask_b32_e64 v89, 0, 1, vcc
	s_and_b64 s[4:5], s[6:7], exec
	v_mov_b32_e32 v75, v89
.LBB94_63:
	s_or_b64 exec, exec, s[22:23]
	s_and_b64 vcc, exec, s[20:21]
	v_lshlrev_b32_e32 v60, 3, v0
	s_cbranch_vccz .LBB94_72
.LBB94_64:
	v_mov_b32_e32 v61, 0
	s_waitcnt lgkmcnt(0)
	v_lshl_add_u64 v[2:3], s[12:13], 0, v[60:61]
	v_add_co_u32_e32 v8, vcc, 0x1000, v2
	global_load_dwordx2 v[4:5], v60, s[12:13]
	global_load_dwordx2 v[6:7], v60, s[12:13] offset:2048
	v_addc_co_u32_e32 v9, vcc, 0, v3, vcc
	v_add_co_u32_e32 v10, vcc, 0x2000, v2
	s_movk_i32 s3, 0x68
	s_nop 0
	v_addc_co_u32_e32 v11, vcc, 0, v3, vcc
	global_load_dwordx2 v[12:13], v[8:9], off
	global_load_dwordx2 v[14:15], v[8:9], off offset:2048
	global_load_dwordx2 v[16:17], v[10:11], off
	global_load_dwordx2 v[18:19], v[10:11], off offset:2048
	v_add_co_u32_e32 v8, vcc, 0x3000, v2
	v_mad_u32_u24 v38, v0, s3, v60
	s_nop 0
	v_addc_co_u32_e32 v9, vcc, 0, v3, vcc
	v_add_co_u32_e32 v10, vcc, 0x4000, v2
	s_cmp_eq_u64 s[16:17], 0
	s_nop 0
	v_addc_co_u32_e32 v11, vcc, 0, v3, vcc
	global_load_dwordx2 v[20:21], v[8:9], off
	global_load_dwordx2 v[22:23], v[8:9], off offset:2048
	global_load_dwordx2 v[24:25], v[10:11], off
	global_load_dwordx2 v[26:27], v[10:11], off offset:2048
	v_add_co_u32_e32 v8, vcc, 0x5000, v2
	s_nop 1
	v_addc_co_u32_e32 v9, vcc, 0, v3, vcc
	v_add_co_u32_e32 v2, vcc, 0x6000, v2
	s_nop 1
	v_addc_co_u32_e32 v3, vcc, 0, v3, vcc
	global_load_dwordx2 v[10:11], v[8:9], off
	global_load_dwordx2 v[28:29], v[8:9], off offset:2048
	global_load_dwordx2 v[30:31], v[2:3], off
	global_load_dwordx2 v[32:33], v[2:3], off offset:2048
	s_waitcnt vmcnt(12)
	ds_write2st64_b64 v60, v[4:5], v[6:7] offset1:4
	s_waitcnt vmcnt(10)
	ds_write2st64_b64 v60, v[12:13], v[14:15] offset0:8 offset1:12
	s_waitcnt vmcnt(8)
	ds_write2st64_b64 v60, v[16:17], v[18:19] offset0:16 offset1:20
	;; [unrolled: 2-line block ×6, first 2 shown]
	s_waitcnt lgkmcnt(0)
	s_barrier
	ds_read_b128 v[6:9], v38 offset:16
	ds_read2_b64 v[10:13], v38 offset0:3 offset1:4
	ds_read_b128 v[2:5], v38
	ds_read2_b64 v[14:17], v38 offset0:1 offset1:2
	ds_read2_b64 v[18:21], v38 offset0:7 offset1:8
	;; [unrolled: 1-line block ×5, first 2 shown]
	ds_read_b64 v[36:37], v38 offset:104
	s_cbranch_scc1 .LBB94_69
; %bb.65:
	s_add_u32 s12, s12, -8
	s_addc_u32 s13, s13, -1
	s_andn2_b64 vcc, exec, s[14:15]
	s_cbranch_vccnz .LBB94_67
; %bb.66:
	s_lshl_b64 s[4:5], s[16:17], 3
	s_add_u32 s3, s54, s4
	s_addc_u32 s4, s55, s5
	s_add_u32 s12, s3, -8
	s_addc_u32 s13, s4, -1
	s_mov_b64 s[4:5], 0
	s_branch .LBB94_68
.LBB94_67:
	s_mov_b64 s[4:5], -1
.LBB94_68:
	s_andn2_b64 vcc, exec, s[4:5]
.LBB94_69:
	s_load_dwordx2 s[4:5], s[12:13], 0x0
	s_movk_i32 s3, 0xff98
	v_mad_i32_i24 v1, v0, s3, v38
	v_cmp_ne_u32_e32 vcc, 0, v0
	s_waitcnt lgkmcnt(0)
	ds_write_b64 v1, v[36:37] offset:28672
	v_mov_b64_e32 v[34:35], s[4:5]
	s_waitcnt lgkmcnt(0)
	s_barrier
	s_and_saveexec_b64 s[4:5], vcc
; %bb.70:
	v_mul_i32_i24_e32 v1, 0xffffff98, v0
	v_add_u32_e32 v1, v38, v1
	ds_read_b64 v[34:35], v1 offset:28664
; %bb.71:
	s_or_b64 exec, exec, s[4:5]
	v_cmp_ne_u64_e32 vcc, v[30:31], v[32:33]
	v_cmp_ne_u64_e64 s[18:19], v[28:29], v[36:37]
	s_waitcnt lgkmcnt(0)
	v_cndmask_b32_e64 v1, 0, 1, vcc
	v_cmp_ne_u64_e32 vcc, v[20:21], v[30:31]
	v_lshlrev_b16_e32 v1, 8, v1
	s_barrier
	v_cndmask_b32_e64 v30, 0, 1, vcc
	v_cmp_ne_u64_e32 vcc, v[26:27], v[28:29]
	v_or_b32_e32 v70, v30, v1
	s_nop 0
	v_cndmask_b32_e64 v28, 0, 1, vcc
	v_cmp_ne_u64_e32 vcc, v[32:33], v[26:27]
	v_lshlrev_b16_e32 v28, 8, v28
	s_mov_b64 s[4:5], -1
	v_cndmask_b32_e64 v26, 0, 1, vcc
	v_or_b32_e32 v69, v26, v28
	v_lshlrev_b32_e32 v26, 16, v69
	v_cmp_ne_u64_e32 vcc, v[22:23], v[24:25]
	v_lshrrev_b32_e32 v68, 24, v26
	v_or_b32_e32 v1, v1, v26
	v_cndmask_b32_e64 v26, 0, 1, vcc
	v_cmp_ne_u64_e32 vcc, v[12:13], v[22:23]
	v_lshlrev_b16_e32 v26, 8, v26
	v_lshrrev_b32_e32 v1, 8, v1
	v_cndmask_b32_e64 v22, 0, 1, vcc
	v_cmp_ne_u64_e32 vcc, v[18:19], v[20:21]
	v_or_b32_e32 v84, v22, v26
	v_mov_b32_e32 v74, v84
	v_cndmask_b32_e64 v20, 0, 1, vcc
	v_cmp_ne_u64_e32 vcc, v[24:25], v[18:19]
	v_lshlrev_b16_e32 v20, 8, v20
	s_nop 0
	v_cndmask_b32_e64 v18, 0, 1, vcc
	v_cmp_ne_u64_e32 vcc, v[4:5], v[16:17]
	v_or_b32_e32 v83, v18, v20
	v_lshlrev_b32_e32 v18, 16, v83
	v_cndmask_b32_e64 v4, 0, 1, vcc
	v_cmp_ne_u64_e32 vcc, v[2:3], v[14:15]
	v_lshlrev_b16_e32 v4, 8, v4
	v_lshrrev_b32_e32 v82, 24, v18
	v_cndmask_b32_e64 v5, 0, 1, vcc
	v_cmp_ne_u64_e32 vcc, v[8:9], v[12:13]
	v_or_b32_e32 v87, v5, v4
	v_or_b32_e32 v18, v26, v18
	v_cndmask_b32_e64 v5, 0, 1, vcc
	v_cmp_ne_u64_e32 vcc, v[6:7], v[10:11]
	v_lshlrev_b16_e32 v5, 8, v5
	v_lshrrev_b32_e32 v81, 8, v18
	v_cndmask_b32_e64 v6, 0, 1, vcc
	v_or_b32_e32 v86, v6, v5
	v_lshlrev_b32_e32 v5, 16, v86
	v_or_b32_e32 v4, v4, v5
	v_cmp_ne_u64_e32 vcc, v[34:35], v[2:3]
	v_mov_b64_e32 v[2:3], s[10:11]
	v_lshrrev_b32_e32 v85, 24, v5
	v_lshrrev_b32_e32 v80, 8, v4
	ds_write2st64_b64 v60, v[2:3], v[2:3] offset1:4
	ds_write2st64_b64 v60, v[2:3], v[2:3] offset0:8 offset1:12
	ds_write2st64_b64 v60, v[2:3], v[2:3] offset0:16 offset1:20
	;; [unrolled: 1-line block ×6, first 2 shown]
	s_waitcnt lgkmcnt(0)
	s_barrier
	ds_read_b128 v[2:5], v38
	ds_read_b128 v[106:109], v38 offset:16
	ds_read_b128 v[102:105], v38 offset:32
	;; [unrolled: 1-line block ×6, first 2 shown]
	v_cndmask_b32_e64 v89, 0, 1, vcc
	v_mov_b32_e32 v72, v81
	v_mov_b32_e32 v73, v83
	;; [unrolled: 1-line block ×7, first 2 shown]
	s_waitcnt lgkmcnt(1)
	v_mov_b64_e32 v[30:31], v[92:93]
	v_mov_b64_e32 v[64:65], v[90:91]
	;; [unrolled: 1-line block ×11, first 2 shown]
	v_mov_b32_e32 v75, v89
.LBB94_72:
	v_mov_b32_e32 v61, 0
	v_mov_b64_e32 v[8:9], 0
	s_and_saveexec_b64 s[6:7], s[4:5]
	s_cbranch_execz .LBB94_74
; %bb.73:
	v_cndmask_b32_e64 v61, 0, 1, s[18:19]
	v_mov_b32_e32 v75, v89
	v_mov_b64_e32 v[6:7], v[4:5]
	v_mov_b64_e32 v[12:13], v[106:107]
	;; [unrolled: 1-line block ×11, first 2 shown]
	s_waitcnt lgkmcnt(0)
	v_mov_b64_e32 v[8:9], v[20:21]
	v_mov_b32_e32 v79, v87
	v_mov_b32_e32 v78, v80
	;; [unrolled: 1-line block ×8, first 2 shown]
.LBB94_74:
	s_or_b64 exec, exec, s[6:7]
	v_and_b32_e32 v80, 1, v78
	v_and_b32_e32 v67, 1, v74
	;; [unrolled: 1-line block ×4, first 2 shown]
	s_cmp_lg_u32 s2, 0
	v_cmp_eq_u32_e64 s[10:11], 1, v80
	v_cmp_eq_u32_e64 s[16:17], 1, v67
	;; [unrolled: 1-line block ×4, first 2 shown]
	v_cmp_eq_u16_e64 s[4:5], 0, v61
	v_lshrrev_b32_e32 v62, 1, v0
	v_cmp_gt_u32_e32 vcc, 64, v0
	s_waitcnt lgkmcnt(0)
	s_barrier
	s_cbranch_scc0 .LBB94_130
; %bb.75:
	v_mov_b32_e32 v20, 0
	v_cmp_eq_u16_sdwa s[6:7], v79, v20 src0_sel:BYTE_0 src1_sel:DWORD
	s_movk_i32 s3, 0xff
	v_bitop3_b16 v21, v79, s3, v75 bitop3:0xc8
	v_cndmask_b32_e64 v5, 0, v3, s[6:7]
	v_cndmask_b32_e64 v4, 0, v2, s[6:7]
	v_lshl_add_u64 v[4:5], v[4:5], 0, v[6:7]
	v_cmp_eq_u16_sdwa s[8:9], v78, v20 src0_sel:BYTE_0 src1_sel:DWORD
	v_cmp_ne_u16_e64 s[12:13], 0, v21
	s_or_b64 s[34:35], s[12:13], s[10:11]
	v_cndmask_b32_e64 v5, 0, v5, s[8:9]
	v_cndmask_b32_e64 v4, 0, v4, s[8:9]
	v_lshl_add_u64 v[4:5], v[4:5], 0, v[12:13]
	v_cmp_eq_u16_sdwa s[10:11], v77, v20 src0_sel:BYTE_0 src1_sel:DWORD
	v_cmp_eq_u16_sdwa s[12:13], v76, v20 src0_sel:BYTE_0 src1_sel:DWORD
	v_bitop3_b16 v21, v76, s3, v77 bitop3:0xc8
	v_cndmask_b32_e64 v5, 0, v5, s[10:11]
	v_cndmask_b32_e64 v4, 0, v4, s[10:11]
	v_lshl_add_u64 v[4:5], v[4:5], 0, v[10:11]
	v_cndmask_b32_e64 v5, 0, v5, s[12:13]
	v_cndmask_b32_e64 v4, 0, v4, s[12:13]
	v_lshl_add_u64 v[4:5], v[4:5], 0, v[16:17]
	v_cmp_eq_u16_sdwa s[14:15], v74, v20 src0_sel:BYTE_0 src1_sel:DWORD
	v_cmp_ne_u16_e64 s[18:19], 0, v21
	s_or_b64 s[38:39], s[18:19], s[16:17]
	v_cndmask_b32_e64 v5, 0, v5, s[14:15]
	v_cndmask_b32_e64 v4, 0, v4, s[14:15]
	v_lshl_add_u64 v[4:5], v[4:5], 0, v[14:15]
	v_cmp_eq_u16_sdwa s[16:17], v72, v20 src0_sel:BYTE_0 src1_sel:DWORD
	v_cmp_eq_u16_sdwa s[18:19], v73, v20 src0_sel:BYTE_0 src1_sel:DWORD
	v_bitop3_b16 v21, v73, s3, v72 bitop3:0xc8
	v_cndmask_b32_e64 v5, 0, v5, s[16:17]
	v_cndmask_b32_e64 v4, 0, v4, s[16:17]
	v_lshl_add_u64 v[4:5], v[4:5], 0, v[24:25]
	;; [unrolled: 15-line block ×3, first 2 shown]
	v_cndmask_b32_e64 v5, 0, v5, s[24:25]
	v_cndmask_b32_e64 v4, 0, v4, s[24:25]
	v_cmp_ne_u16_e64 s[30:31], 0, v21
	v_lshl_add_u64 v[4:5], v[4:5], 0, v[64:65]
	v_cmp_eq_u16_sdwa s[26:27], v69, v20 src0_sel:BYTE_0 src1_sel:DWORD
	s_or_b64 s[54:55], s[30:31], s[28:29]
	v_cmp_eq_u16_sdwa s[28:29], v68, v20 src0_sel:BYTE_0 src1_sel:DWORD
	v_bitop3_b16 v20, v61, s3, v68 bitop3:0xc8
	v_cndmask_b32_e64 v5, 0, v5, s[26:27]
	v_cndmask_b32_e64 v4, 0, v4, s[26:27]
	v_cmp_ne_u16_e64 s[30:31], 0, v20
	v_lshl_add_u64 v[4:5], v[4:5], 0, v[30:31]
	s_or_b64 s[30:31], s[30:31], s[54:55]
	v_cndmask_b32_e64 v5, 0, v5, s[28:29]
	v_cndmask_b32_e64 v4, 0, v4, s[28:29]
	s_or_b64 s[30:31], s[30:31], s[48:49]
	v_lshl_add_u64 v[4:5], v[4:5], 0, v[18:19]
	s_or_b64 s[30:31], s[30:31], s[38:39]
	v_cndmask_b32_e64 v5, 0, v5, s[4:5]
	v_cndmask_b32_e64 v4, 0, v4, s[4:5]
	s_or_b64 s[48:49], s[30:31], s[34:35]
	v_and_b32_e32 v20, 0x70, v62
	v_lshl_add_u64 v[4:5], v[4:5], 0, v[8:9]
	v_cndmask_b32_e64 v35, 0, 1, s[48:49]
	v_lshl_add_u32 v20, v0, 4, v20
	ds_write_b64 v20, v[4:5]
	ds_write_b8 v20, v35 offset:8
	s_waitcnt lgkmcnt(0)
	s_barrier
	s_and_saveexec_b64 s[38:39], vcc
	s_cbranch_execz .LBB94_89
; %bb.76:
	v_lshlrev_b32_e32 v20, 1, v0
	v_and_b32_e32 v20, 0x1f0, v20
	v_lshlrev_b32_e32 v21, 6, v0
	v_add_u32_e32 v34, v20, v21
	ds_read2_b64 v[38:41], v34 offset0:2 offset1:4
	ds_read_b64 v[20:21], v34
	ds_read_b32 v36, v34 offset:8
	ds_read_u8 v37, v34 offset:24
	ds_read_u8 v44, v34 offset:40
	ds_read_b64 v[32:33], v34 offset:48
	ds_read_u8 v45, v34 offset:56
	s_waitcnt lgkmcnt(4)
	v_and_b32_e32 v42, 1, v36
	s_waitcnt lgkmcnt(3)
	v_cmp_eq_u16_e64 s[34:35], 0, v37
	v_cmp_eq_u32_e64 s[30:31], 1, v42
	s_waitcnt lgkmcnt(0)
	v_bitop3_b16 v37, v44, v45, v37 bitop3:0xfe
	v_cndmask_b32_e64 v43, 0, v21, s[34:35]
	v_cndmask_b32_e64 v42, 0, v20, s[34:35]
	v_lshl_add_u64 v[38:39], v[42:43], 0, v[38:39]
	v_cmp_eq_u16_e64 s[34:35], 0, v44
	v_and_b32_e32 v37, 1, v37
	s_nop 0
	v_cndmask_b32_e64 v39, 0, v39, s[34:35]
	v_cndmask_b32_e64 v38, 0, v38, s[34:35]
	v_lshl_add_u64 v[38:39], v[38:39], 0, v[40:41]
	v_cmp_eq_u16_e64 s[34:35], 0, v45
	s_nop 1
	v_cndmask_b32_e64 v39, 0, v39, s[34:35]
	v_cndmask_b32_e64 v38, 0, v38, s[34:35]
	v_cmp_eq_u32_e64 s[34:35], 1, v37
	s_or_b64 s[34:35], s[34:35], s[30:31]
	v_mbcnt_lo_u32_b32 v37, -1, 0
	v_lshl_add_u64 v[32:33], v[38:39], 0, v[32:33]
	v_mbcnt_hi_u32_b32 v37, -1, v37
	v_and_b32_e32 v38, 0xffffff00, v36
	v_cndmask_b32_e64 v40, 0, 1, s[34:35]
	v_and_b32_e32 v41, 15, v37
	v_or_b32_e32 v40, v38, v40
	v_cndmask_b32_e64 v39, 0, 1, s[34:35]
	v_mov_b32_dpp v42, v32 row_shr:1 row_mask:0xf bank_mask:0xf
	v_mov_b32_dpp v44, v33 row_shr:1 row_mask:0xf bank_mask:0xf
	;; [unrolled: 1-line block ×3, first 2 shown]
	v_cmp_ne_u32_e64 s[30:31], 0, v41
	s_and_saveexec_b64 s[54:55], s[30:31]
; %bb.77:
	v_cndmask_b32_e64 v45, v44, 0, s[34:35]
	v_cndmask_b32_e64 v44, v42, 0, s[34:35]
	v_bitop3_b16 v39, v43, v39, 1 bitop3:0xec
	v_lshl_add_u64 v[32:33], v[44:45], 0, v[32:33]
	v_or_b32_sdwa v40, v38, v39 dst_sel:DWORD dst_unused:UNUSED_PAD src0_sel:DWORD src1_sel:WORD_0
; %bb.78:
	s_or_b64 exec, exec, s[54:55]
	v_mov_b32_dpp v43, v32 row_shr:2 row_mask:0xf bank_mask:0xf
	v_mov_b32_dpp v44, v33 row_shr:2 row_mask:0xf bank_mask:0xf
	;; [unrolled: 1-line block ×3, first 2 shown]
	v_cmp_lt_u32_e64 s[30:31], 1, v41
	s_and_saveexec_b64 s[54:55], s[30:31]
	s_cbranch_execz .LBB94_80
; %bb.79:
	v_cmp_eq_u16_e64 s[30:31], 0, v39
	v_and_b32_e32 v39, 1, v39
	s_nop 0
	v_cndmask_b32_e64 v45, 0, v44, s[30:31]
	v_cndmask_b32_e64 v44, 0, v43, s[30:31]
	v_cmp_eq_u32_e64 s[30:31], 1, v39
	v_and_b32_e32 v39, 1, v42
	v_cmp_eq_u32_e64 s[34:35], 1, v39
	s_or_b64 s[30:31], s[30:31], s[34:35]
	v_cndmask_b32_e64 v40, 0, 1, s[30:31]
	v_lshl_add_u64 v[32:33], v[44:45], 0, v[32:33]
	v_cndmask_b32_e64 v39, 0, 1, s[30:31]
	v_or_b32_e32 v40, v38, v40
.LBB94_80:
	s_or_b64 exec, exec, s[54:55]
	v_mov_b32_dpp v43, v32 row_shr:4 row_mask:0xf bank_mask:0xf
	v_mov_b32_dpp v44, v33 row_shr:4 row_mask:0xf bank_mask:0xf
	;; [unrolled: 1-line block ×3, first 2 shown]
	v_cmp_lt_u32_e64 s[30:31], 3, v41
	s_and_saveexec_b64 s[54:55], s[30:31]
	s_cbranch_execz .LBB94_82
; %bb.81:
	v_cmp_eq_u16_e64 s[30:31], 0, v39
	v_and_b32_e32 v39, 1, v39
	s_nop 0
	v_cndmask_b32_e64 v45, 0, v44, s[30:31]
	v_cndmask_b32_e64 v44, 0, v43, s[30:31]
	v_cmp_eq_u32_e64 s[30:31], 1, v39
	v_and_b32_e32 v39, 1, v42
	v_cmp_eq_u32_e64 s[34:35], 1, v39
	s_or_b64 s[30:31], s[30:31], s[34:35]
	v_cndmask_b32_e64 v40, 0, 1, s[30:31]
	v_lshl_add_u64 v[32:33], v[44:45], 0, v[32:33]
	v_cndmask_b32_e64 v39, 0, 1, s[30:31]
	v_or_b32_e32 v40, v38, v40
.LBB94_82:
	s_or_b64 exec, exec, s[54:55]
	v_mov_b32_dpp v43, v32 row_shr:8 row_mask:0xf bank_mask:0xf
	v_mov_b32_dpp v44, v33 row_shr:8 row_mask:0xf bank_mask:0xf
	;; [unrolled: 1-line block ×3, first 2 shown]
	v_cmp_lt_u32_e64 s[30:31], 7, v41
	s_and_saveexec_b64 s[54:55], s[30:31]
	s_cbranch_execz .LBB94_84
; %bb.83:
	v_cmp_eq_u16_e64 s[30:31], 0, v39
	v_and_b32_e32 v39, 1, v39
	s_nop 0
	v_cndmask_b32_e64 v41, 0, v44, s[30:31]
	v_cndmask_b32_e64 v40, 0, v43, s[30:31]
	v_cmp_eq_u32_e64 s[30:31], 1, v39
	v_and_b32_e32 v39, 1, v42
	v_cmp_eq_u32_e64 s[34:35], 1, v39
	s_or_b64 s[30:31], s[30:31], s[34:35]
	v_lshl_add_u64 v[32:33], v[40:41], 0, v[32:33]
	v_cndmask_b32_e64 v40, 0, 1, s[30:31]
	v_cndmask_b32_e64 v39, 0, 1, s[30:31]
	v_or_b32_e32 v40, v38, v40
.LBB94_84:
	s_or_b64 exec, exec, s[54:55]
	v_and_b32_e32 v44, 16, v37
	v_mov_b32_dpp v42, v32 row_bcast:15 row_mask:0xf bank_mask:0xf
	v_mov_b32_dpp v43, v33 row_bcast:15 row_mask:0xf bank_mask:0xf
	v_mov_b32_dpp v41, v40 row_bcast:15 row_mask:0xf bank_mask:0xf
	v_cmp_ne_u32_e64 s[30:31], 0, v44
	s_and_saveexec_b64 s[54:55], s[30:31]
	s_cbranch_execz .LBB94_86
; %bb.85:
	v_cmp_eq_u16_e64 s[30:31], 0, v39
	v_and_b32_e32 v39, 1, v39
	s_nop 0
	v_cndmask_b32_e64 v43, 0, v43, s[30:31]
	v_cndmask_b32_e64 v42, 0, v42, s[30:31]
	v_cmp_eq_u32_e64 s[30:31], 1, v39
	v_and_b32_e32 v39, 1, v41
	v_cmp_eq_u32_e64 s[34:35], 1, v39
	s_or_b64 s[30:31], s[30:31], s[34:35]
	v_cndmask_b32_e64 v40, 0, 1, s[30:31]
	v_lshl_add_u64 v[32:33], v[42:43], 0, v[32:33]
	v_cndmask_b32_e64 v39, 0, 1, s[30:31]
	v_or_b32_e32 v40, v38, v40
.LBB94_86:
	s_or_b64 exec, exec, s[54:55]
	v_mov_b32_dpp v41, v32 row_bcast:31 row_mask:0xf bank_mask:0xf
	v_mov_b32_dpp v42, v33 row_bcast:31 row_mask:0xf bank_mask:0xf
	;; [unrolled: 1-line block ×3, first 2 shown]
	v_cmp_lt_u32_e64 s[30:31], 31, v37
	s_and_saveexec_b64 s[54:55], s[30:31]
	s_cbranch_execz .LBB94_88
; %bb.87:
	v_cmp_eq_u16_e64 s[30:31], 0, v39
	v_and_b32_e32 v39, 1, v39
	s_nop 0
	v_cndmask_b32_e64 v43, 0, v42, s[30:31]
	v_cndmask_b32_e64 v42, 0, v41, s[30:31]
	v_cmp_eq_u32_e64 s[30:31], 1, v39
	v_and_b32_e32 v39, 1, v40
	v_cmp_eq_u32_e64 s[34:35], 1, v39
	s_or_b64 s[30:31], s[30:31], s[34:35]
	v_lshl_add_u64 v[32:33], v[42:43], 0, v[32:33]
	v_cndmask_b32_e64 v39, 0, 1, s[30:31]
.LBB94_88:
	s_or_b64 exec, exec, s[54:55]
	v_add_u32_e32 v40, -1, v37
	v_and_b32_e32 v41, 64, v37
	v_cmp_lt_i32_e64 s[30:31], v40, v41
	v_or_b32_sdwa v38, v38, v39 dst_sel:DWORD dst_unused:UNUSED_PAD src0_sel:DWORD src1_sel:WORD_0
	s_nop 0
	v_cndmask_b32_e64 v37, v40, v37, s[30:31]
	v_lshlrev_b32_e32 v37, 2, v37
	ds_bpermute_b32 v32, v37, v32
	ds_bpermute_b32 v33, v37, v33
	;; [unrolled: 1-line block ×3, first 2 shown]
	v_mov_b32_e32 v40, 0
	v_cmp_eq_u32_sdwa s[30:31], v36, v40 src0_sel:BYTE_0 src1_sel:DWORD
	; wave barrier
	s_waitcnt lgkmcnt(1)
	s_nop 0
	v_cndmask_b32_e64 v33, 0, v33, s[30:31]
	v_cndmask_b32_e64 v32, 0, v32, s[30:31]
	v_lshl_add_u64 v[20:21], v[32:33], 0, v[20:21]
	s_waitcnt lgkmcnt(0)
	v_or_b32_e32 v32, v37, v36
	v_cmp_eq_u32_e64 s[30:31], 0, v0
	v_and_b32_e32 v32, 1, v32
	s_nop 0
	v_cndmask_b32_e64 v21, v21, v5, s[30:31]
	v_cndmask_b32_e64 v20, v20, v4, s[30:31]
	;; [unrolled: 1-line block ×3, first 2 shown]
	ds_write_b64 v34, v[20:21]
	ds_write_b8 v34, v35 offset:8
	; wave barrier
	ds_read_u8 v41, v34 offset:24
	ds_read2_b64 v[36:39], v34 offset0:2 offset1:4
	ds_read_u8 v42, v34 offset:40
	ds_read_b64 v[32:33], v34 offset:48
	ds_read_u8 v43, v34 offset:56
	s_waitcnt lgkmcnt(4)
	v_cmp_eq_u16_sdwa s[30:31], v41, v40 src0_sel:BYTE_0 src1_sel:DWORD
	v_or_b32_e32 v44, v41, v35
	s_nop 0
	v_cndmask_b32_e64 v21, 0, v21, s[30:31]
	v_cndmask_b32_e64 v20, 0, v20, s[30:31]
	s_waitcnt lgkmcnt(3)
	v_lshl_add_u64 v[20:21], v[20:21], 0, v[36:37]
	v_bitop3_b16 v36, v41, 1, v35 bitop3:0xc8
	s_waitcnt lgkmcnt(2)
	v_cmp_eq_u16_sdwa s[30:31], v42, v40 src0_sel:BYTE_0 src1_sel:DWORD
	ds_write_b8 v34, v36 offset:24
	v_bitop3_b16 v35, v42, v41, v35 bitop3:0xfe
	v_cndmask_b32_e64 v37, 0, v21, s[30:31]
	v_cndmask_b32_e64 v36, 0, v20, s[30:31]
	v_lshl_add_u64 v[36:37], v[36:37], 0, v[38:39]
	s_waitcnt lgkmcnt(1)
	v_cmp_eq_u16_e64 s[30:31], 0, v43
	v_bitop3_b16 v38, v42, 1, v44 bitop3:0xc8
	ds_write2_b64 v34, v[20:21], v[36:37] offset0:2 offset1:4
	ds_write_b8 v34, v38 offset:40
	v_cndmask_b32_e64 v21, 0, v37, s[30:31]
	v_cndmask_b32_e64 v20, 0, v36, s[30:31]
	v_lshl_add_u64 v[20:21], v[20:21], 0, v[32:33]
	v_bitop3_b16 v32, v43, 1, v35 bitop3:0xc8
	ds_write_b64 v34, v[20:21] offset:48
	ds_write_b8 v34, v32 offset:56
.LBB94_89:
	s_or_b64 exec, exec, s[38:39]
	v_cmp_eq_u32_e64 s[30:31], 0, v0
	v_cmp_ne_u32_e64 s[34:35], 0, v0
	s_waitcnt lgkmcnt(0)
	s_barrier
	s_and_saveexec_b64 s[38:39], s[34:35]
	s_cbranch_execz .LBB94_91
; %bb.90:
	v_add_u32_e32 v4, -1, v0
	v_lshrrev_b32_e32 v5, 1, v4
	v_and_b32_e32 v5, 0x7ffffff0, v5
	v_lshl_add_u32 v4, v4, 4, v5
	ds_read_u8 v20, v4 offset:8
	ds_read_b64 v[4:5], v4
	s_andn2_b64 s[48:49], s[48:49], exec
	s_waitcnt lgkmcnt(1)
	v_and_b32_e32 v20, 1, v20
	v_cmp_eq_u32_e64 s[34:35], 1, v20
	s_and_b64 s[34:35], s[34:35], exec
	s_or_b64 s[48:49], s[48:49], s[34:35]
.LBB94_91:
	s_or_b64 exec, exec, s[38:39]
	s_and_saveexec_b64 s[54:55], vcc
	s_cbranch_execz .LBB94_135
; %bb.92:
	s_movk_i32 s3, 0x1000
	v_add_u32_e64 v20, s3, 0
	ds_read2_b64 v[32:35], v20 offset0:12 offset1:13
	v_mbcnt_lo_u32_b32 v20, -1, 0
	v_mbcnt_hi_u32_b32 v21, -1, v20
	v_mov_b32_e32 v37, 0
	s_mov_b32 s61, 0
	v_cmp_eq_u32_e64 s[34:35], 0, v21
	s_and_saveexec_b64 s[38:39], s[34:35]
	s_cbranch_execz .LBB94_94
; %bb.93:
	s_add_i32 s60, s2, 64
	s_lshl_b64 s[62:63], s[60:61], 4
	s_add_u32 s62, s40, s62
	s_addc_u32 s63, s41, s63
	s_waitcnt lgkmcnt(0)
	global_store_dword v37, v32, s[62:63] sc1
	global_store_dword v37, v33, s[62:63] offset:4 sc1
	global_store_dword v37, v34, s[62:63] offset:8 sc1
	;; [unrolled: 1-line block ×3, first 2 shown]
	v_mov_b32_e32 v20, 1
	v_mov_b32_e32 v35, s60
	s_waitcnt vmcnt(0)
	global_store_byte v35, v20, s[44:45] sc1
.LBB94_94:
	s_or_b64 exec, exec, s[38:39]
	v_xad_u32 v20, v21, -1, s2
	v_add_u32_e32 v36, 64, v20
	s_waitcnt lgkmcnt(0)
	global_load_ubyte v35, v36, s[44:45] sc1
	s_waitcnt vmcnt(0)
	v_cmp_eq_u16_e32 vcc, 0, v35
	s_and_saveexec_b64 s[38:39], vcc
	s_cbranch_execz .LBB94_98
; %bb.95:
	v_lshl_add_u64 v[38:39], s[44:45], 0, v[36:37]
	s_mov_b64 s[60:61], 0
.LBB94_96:                              ; =>This Inner Loop Header: Depth=1
	global_load_ubyte v35, v[38:39], off sc1
	s_waitcnt vmcnt(0)
	v_cmp_ne_u16_e32 vcc, 0, v35
	s_or_b64 s[60:61], vcc, s[60:61]
	s_andn2_b64 exec, exec, s[60:61]
	s_cbranch_execnz .LBB94_96
; %bb.97:
	s_or_b64 exec, exec, s[60:61]
.LBB94_98:
	s_or_b64 exec, exec, s[38:39]
	v_mov_b32_e32 v38, s43
	v_mov_b32_e32 v39, s41
	v_cmp_eq_u16_e32 vcc, 1, v35
	v_mov_b32_e32 v40, s40
	s_waitcnt vmcnt(0)
	v_cndmask_b32_e32 v39, v38, v39, vcc
	v_mov_b32_e32 v38, s42
	v_cndmask_b32_e32 v38, v38, v40, vcc
	v_lshl_add_u64 v[36:37], v[36:37], 4, v[38:39]
	global_load_dword v40, v[36:37], off sc1
	global_load_dword v41, v[36:37], off offset:4 sc1
	global_load_dword v56, v[36:37], off offset:8 sc1
	s_nop 0
	global_load_dword v36, v[36:37], off offset:12 sc1
	v_cmp_eq_u16_e32 vcc, 2, v35
	s_waitcnt vmcnt(0)
	v_lshlrev_b64 v[36:37], v21, -1
	v_and_b32_e32 v42, 63, v21
	v_and_b32_e32 v38, vcc_hi, v37
	v_and_b32_e32 v47, vcc_lo, v36
	v_cmp_ne_u32_e32 vcc, 63, v42
	v_or_b32_e32 v38, 0x80000000, v38
	v_ffbl_b32_e32 v38, v38
	v_addc_co_u32_e32 v39, vcc, 0, v21, vcc
	v_lshlrev_b32_e32 v43, 2, v39
	v_add_u32_e32 v38, 32, v38
	v_ffbl_b32_e32 v47, v47
	v_min_u32_e32 v38, v47, v38
	v_cmp_lt_u32_e32 vcc, v42, v38
	ds_bpermute_b32 v45, v43, v40
	ds_bpermute_b32 v46, v43, v41
	v_and_b32_e32 v39, 0xff, v56
	ds_bpermute_b32 v44, v43, v39
	s_and_saveexec_b64 s[38:39], vcc
	s_cbranch_execz .LBB94_100
; %bb.99:
	v_mov_b32_e32 v39, 0
	v_cmp_eq_u16_sdwa vcc, v56, v39 src0_sel:BYTE_0 src1_sel:DWORD
	s_waitcnt lgkmcnt(0)
	v_or_b32_e32 v39, v44, v56
	v_cndmask_b32_e32 v47, 0, v46, vcc
	v_cndmask_b32_e32 v46, 0, v45, vcc
	v_and_b32_e32 v45, 1, v39
	v_lshl_add_u64 v[40:41], v[46:47], 0, v[40:41]
	v_bitop3_b32 v39, v44, 1, v56 bitop3:0xc8
	v_mov_b32_e32 v56, v45
.LBB94_100:
	s_or_b64 exec, exec, s[38:39]
	v_cmp_gt_u32_e32 vcc, 62, v42
	s_waitcnt lgkmcnt(2)
	v_add_u32_e32 v45, 2, v42
	s_waitcnt lgkmcnt(0)
	v_cndmask_b32_e64 v44, 0, 2, vcc
	v_add_lshl_u32 v44, v44, v21, 2
	ds_bpermute_b32 v47, v44, v40
	ds_bpermute_b32 v48, v44, v41
	ds_bpermute_b32 v46, v44, v39
	v_cmp_le_u32_e32 vcc, v45, v38
	s_and_saveexec_b64 s[60:61], vcc
	s_cbranch_execz .LBB94_102
; %bb.101:
	v_mov_b32_e32 v39, 0
	v_cmp_eq_u16_sdwa vcc, v56, v39 src0_sel:BYTE_0 src1_sel:DWORD
	v_and_b32_e32 v39, 1, v56
	s_waitcnt lgkmcnt(1)
	v_cndmask_b32_e32 v49, 0, v48, vcc
	v_cndmask_b32_e32 v48, 0, v47, vcc
	v_cmp_eq_u32_e32 vcc, 1, v39
	s_waitcnt lgkmcnt(0)
	v_and_b32_e32 v39, 1, v46
	v_cmp_eq_u32_e64 s[38:39], 1, v39
	s_or_b64 s[38:39], vcc, s[38:39]
	v_lshl_add_u64 v[40:41], v[48:49], 0, v[40:41]
	v_cndmask_b32_e64 v56, 0, 1, s[38:39]
	v_cndmask_b32_e64 v39, 0, 1, s[38:39]
.LBB94_102:
	s_or_b64 exec, exec, s[60:61]
	v_cmp_gt_u32_e32 vcc, 60, v42
	s_waitcnt lgkmcnt(2)
	v_add_u32_e32 v47, 4, v42
	s_waitcnt lgkmcnt(0)
	v_cndmask_b32_e64 v46, 0, 4, vcc
	v_add_lshl_u32 v46, v46, v21, 2
	ds_bpermute_b32 v49, v46, v40
	ds_bpermute_b32 v50, v46, v41
	ds_bpermute_b32 v48, v46, v39
	v_cmp_le_u32_e32 vcc, v47, v38
	s_and_saveexec_b64 s[60:61], vcc
	s_cbranch_execz .LBB94_104
; %bb.103:
	v_mov_b32_e32 v39, 0
	v_cmp_eq_u16_sdwa vcc, v56, v39 src0_sel:BYTE_0 src1_sel:DWORD
	v_and_b32_e32 v39, 1, v56
	s_waitcnt lgkmcnt(1)
	v_cndmask_b32_e32 v51, 0, v50, vcc
	v_cndmask_b32_e32 v50, 0, v49, vcc
	v_cmp_eq_u32_e32 vcc, 1, v39
	s_waitcnt lgkmcnt(0)
	v_and_b32_e32 v39, 1, v48
	v_cmp_eq_u32_e64 s[38:39], 1, v39
	s_or_b64 s[38:39], vcc, s[38:39]
	v_lshl_add_u64 v[40:41], v[50:51], 0, v[40:41]
	v_cndmask_b32_e64 v56, 0, 1, s[38:39]
	v_cndmask_b32_e64 v39, 0, 1, s[38:39]
.LBB94_104:
	;; [unrolled: 29-line block ×4, first 2 shown]
	s_or_b64 exec, exec, s[60:61]
	s_waitcnt lgkmcnt(0)
	v_mov_b32_e32 v52, 0x80
	v_lshl_or_b32 v53, v21, 2, v52
	ds_bpermute_b32 v52, v53, v40
	ds_bpermute_b32 v55, v53, v41
	;; [unrolled: 1-line block ×3, first 2 shown]
	v_add_u32_e32 v54, 32, v42
	v_cmp_le_u32_e32 vcc, v54, v38
	s_and_saveexec_b64 s[60:61], vcc
	s_cbranch_execz .LBB94_110
; %bb.109:
	v_mov_b32_e32 v38, 0
	v_cmp_eq_u16_sdwa vcc, v56, v38 src0_sel:BYTE_0 src1_sel:DWORD
	s_waitcnt lgkmcnt(0)
	v_and_b32_e32 v21, 1, v21
	v_cmp_eq_u32_e64 s[38:39], 1, v21
	v_cndmask_b32_e32 v39, 0, v55, vcc
	v_cndmask_b32_e32 v38, 0, v52, vcc
	v_lshl_add_u64 v[40:41], v[38:39], 0, v[40:41]
	v_and_b32_e32 v38, 1, v56
	v_cmp_eq_u32_e32 vcc, 1, v38
	s_or_b64 s[38:39], vcc, s[38:39]
	v_cndmask_b32_e64 v56, 0, 1, s[38:39]
.LBB94_110:
	s_or_b64 exec, exec, s[60:61]
	s_waitcnt lgkmcnt(0)
	v_mov_b32_e32 v21, 0
	v_mov_b32_e32 v55, 2
	s_branch .LBB94_113
.LBB94_111:                             ;   in Loop: Header=BB94_113 Depth=1
	s_or_b64 exec, exec, s[62:63]
	v_cmp_eq_u16_sdwa vcc, v52, v21 src0_sel:BYTE_0 src1_sel:DWORD
	v_and_b32_e32 v56, 1, v52
	v_subrev_u32_e32 v20, 64, v20
	v_cndmask_b32_e32 v41, 0, v41, vcc
	v_cndmask_b32_e32 v40, 0, v40, vcc
	v_cmp_eq_u32_e32 vcc, 1, v56
	s_or_b64 s[38:39], vcc, s[60:61]
	v_lshl_add_u64 v[40:41], v[40:41], 0, v[38:39]
	v_cndmask_b32_e64 v56, 0, 1, s[38:39]
	s_mov_b64 s[38:39], 0
.LBB94_112:                             ;   in Loop: Header=BB94_113 Depth=1
	s_and_b64 vcc, exec, s[38:39]
	s_cbranch_vccnz .LBB94_131
.LBB94_113:                             ; =>This Loop Header: Depth=1
                                        ;     Child Loop BB94_116 Depth 2
	v_cmp_ne_u16_sdwa s[38:39], v35, v55 src0_sel:BYTE_0 src1_sel:DWORD
	v_mov_b32_e32 v52, v56
	v_mov_b64_e32 v[38:39], v[40:41]
	s_cmp_lg_u64 s[38:39], exec
	s_mov_b64 s[38:39], -1
                                        ; implicit-def: $vgpr56
                                        ; implicit-def: $vgpr40_vgpr41
                                        ; implicit-def: $vgpr35
	s_cbranch_scc1 .LBB94_112
; %bb.114:                              ;   in Loop: Header=BB94_113 Depth=1
	global_load_ubyte v35, v20, s[44:45] sc1
	s_waitcnt vmcnt(0)
	v_cmp_eq_u16_e32 vcc, 0, v35
	s_and_saveexec_b64 s[38:39], vcc
	s_cbranch_execz .LBB94_118
; %bb.115:                              ;   in Loop: Header=BB94_113 Depth=1
	v_lshl_add_u64 v[40:41], s[44:45], 0, v[20:21]
	s_mov_b64 s[60:61], 0
.LBB94_116:                             ;   Parent Loop BB94_113 Depth=1
                                        ; =>  This Inner Loop Header: Depth=2
	global_load_ubyte v35, v[40:41], off sc1
	s_waitcnt vmcnt(0)
	v_cmp_ne_u16_e32 vcc, 0, v35
	s_or_b64 s[60:61], vcc, s[60:61]
	s_andn2_b64 exec, exec, s[60:61]
	s_cbranch_execnz .LBB94_116
; %bb.117:                              ;   in Loop: Header=BB94_113 Depth=1
	s_or_b64 exec, exec, s[60:61]
.LBB94_118:                             ;   in Loop: Header=BB94_113 Depth=1
	s_or_b64 exec, exec, s[38:39]
	v_mov_b32_e32 v40, s43
	v_mov_b32_e32 v41, s41
	v_cmp_eq_u16_e32 vcc, 1, v35
	v_mov_b32_e32 v56, s40
	s_waitcnt vmcnt(0)
	v_cndmask_b32_e32 v41, v40, v41, vcc
	v_mov_b32_e32 v40, s42
	v_cndmask_b32_e32 v40, v40, v56, vcc
	s_waitcnt lgkmcnt(0)
	v_lshl_add_u64 v[58:59], v[20:21], 4, v[40:41]
	global_load_dword v40, v[58:59], off sc1
	global_load_dword v41, v[58:59], off offset:4 sc1
	global_load_dword v56, v[58:59], off offset:8 sc1
	;; [unrolled: 1-line block ×3, first 2 shown]
	v_cmp_eq_u16_e32 vcc, 2, v35
	s_waitcnt vmcnt(3)
	ds_bpermute_b32 v81, v43, v40
	s_waitcnt vmcnt(0)
	v_and_b32_e32 v57, vcc_hi, v37
	v_and_b32_e32 v58, 0xff, v56
	v_or_b32_e32 v57, 0x80000000, v57
	ds_bpermute_b32 v82, v43, v41
	ds_bpermute_b32 v59, v43, v58
	v_and_b32_e32 v83, vcc_lo, v36
	v_ffbl_b32_e32 v57, v57
	v_add_u32_e32 v57, 32, v57
	v_ffbl_b32_e32 v83, v83
	v_min_u32_e32 v57, v83, v57
	v_cmp_lt_u32_e32 vcc, v42, v57
	s_and_saveexec_b64 s[38:39], vcc
	s_cbranch_execz .LBB94_120
; %bb.119:                              ;   in Loop: Header=BB94_113 Depth=1
	v_cmp_eq_u16_sdwa vcc, v56, v21 src0_sel:BYTE_0 src1_sel:DWORD
	s_waitcnt lgkmcnt(0)
	v_or_b32_e32 v58, v59, v56
	v_cndmask_b32_e32 v83, 0, v82, vcc
	v_cndmask_b32_e32 v82, 0, v81, vcc
	v_and_b32_e32 v81, 1, v58
	v_lshl_add_u64 v[40:41], v[82:83], 0, v[40:41]
	v_bitop3_b32 v58, v59, 1, v56 bitop3:0xc8
	v_mov_b32_e32 v56, v81
.LBB94_120:                             ;   in Loop: Header=BB94_113 Depth=1
	s_or_b64 exec, exec, s[38:39]
	s_waitcnt lgkmcnt(2)
	ds_bpermute_b32 v81, v44, v40
	s_waitcnt lgkmcnt(2)
	ds_bpermute_b32 v82, v44, v41
	;; [unrolled: 2-line block ×3, first 2 shown]
	v_and_b32_e32 v83, 1, v56
	v_cmp_le_u32_e32 vcc, v45, v57
	v_cmp_eq_u32_e64 s[60:61], 1, v83
	s_and_saveexec_b64 s[38:39], vcc
	s_cbranch_execz .LBB94_122
; %bb.121:                              ;   in Loop: Header=BB94_113 Depth=1
	v_cmp_eq_u16_sdwa vcc, v56, v21 src0_sel:BYTE_0 src1_sel:DWORD
	s_waitcnt lgkmcnt(0)
	v_and_b32_e32 v56, 1, v59
	v_cndmask_b32_e32 v83, 0, v82, vcc
	v_cndmask_b32_e32 v82, 0, v81, vcc
	v_cmp_eq_u32_e32 vcc, 1, v56
	s_or_b64 s[62:63], s[60:61], vcc
	v_cndmask_b32_e64 v56, 0, 1, s[62:63]
	v_cndmask_b32_e64 v58, 0, 1, s[62:63]
	s_andn2_b64 s[60:61], s[60:61], exec
	s_and_b64 s[62:63], s[62:63], exec
	v_lshl_add_u64 v[40:41], v[82:83], 0, v[40:41]
	s_or_b64 s[60:61], s[60:61], s[62:63]
.LBB94_122:                             ;   in Loop: Header=BB94_113 Depth=1
	s_or_b64 exec, exec, s[38:39]
	s_waitcnt lgkmcnt(2)
	ds_bpermute_b32 v81, v46, v40
	s_waitcnt lgkmcnt(2)
	ds_bpermute_b32 v82, v46, v41
	s_waitcnt lgkmcnt(2)
	ds_bpermute_b32 v59, v46, v58
	v_cmp_le_u32_e32 vcc, v47, v57
	s_and_saveexec_b64 s[62:63], vcc
	s_cbranch_execz .LBB94_124
; %bb.123:                              ;   in Loop: Header=BB94_113 Depth=1
	v_cmp_eq_u16_sdwa vcc, v56, v21 src0_sel:BYTE_0 src1_sel:DWORD
	v_and_b32_e32 v56, 1, v56
	s_andn2_b64 s[60:61], s[60:61], exec
	s_waitcnt lgkmcnt(1)
	v_cndmask_b32_e32 v83, 0, v82, vcc
	v_cndmask_b32_e32 v82, 0, v81, vcc
	v_cmp_eq_u32_e32 vcc, 1, v56
	s_waitcnt lgkmcnt(0)
	v_and_b32_e32 v56, 1, v59
	v_cmp_eq_u32_e64 s[38:39], 1, v56
	s_or_b64 s[38:39], vcc, s[38:39]
	v_lshl_add_u64 v[40:41], v[82:83], 0, v[40:41]
	v_cndmask_b32_e64 v56, 0, 1, s[38:39]
	v_cndmask_b32_e64 v58, 0, 1, s[38:39]
	s_and_b64 s[38:39], s[38:39], exec
	s_or_b64 s[60:61], s[60:61], s[38:39]
.LBB94_124:                             ;   in Loop: Header=BB94_113 Depth=1
	s_or_b64 exec, exec, s[62:63]
	s_waitcnt lgkmcnt(2)
	ds_bpermute_b32 v81, v48, v40
	s_waitcnt lgkmcnt(2)
	ds_bpermute_b32 v82, v48, v41
	s_waitcnt lgkmcnt(2)
	ds_bpermute_b32 v59, v48, v58
	v_cmp_le_u32_e32 vcc, v49, v57
	s_and_saveexec_b64 s[62:63], vcc
	s_cbranch_execz .LBB94_126
; %bb.125:                              ;   in Loop: Header=BB94_113 Depth=1
	v_cmp_eq_u16_sdwa vcc, v56, v21 src0_sel:BYTE_0 src1_sel:DWORD
	v_and_b32_e32 v56, 1, v56
	s_andn2_b64 s[60:61], s[60:61], exec
	s_waitcnt lgkmcnt(1)
	v_cndmask_b32_e32 v83, 0, v82, vcc
	v_cndmask_b32_e32 v82, 0, v81, vcc
	v_cmp_eq_u32_e32 vcc, 1, v56
	s_waitcnt lgkmcnt(0)
	v_and_b32_e32 v56, 1, v59
	v_cmp_eq_u32_e64 s[38:39], 1, v56
	s_or_b64 s[38:39], vcc, s[38:39]
	v_lshl_add_u64 v[40:41], v[82:83], 0, v[40:41]
	v_cndmask_b32_e64 v56, 0, 1, s[38:39]
	v_cndmask_b32_e64 v58, 0, 1, s[38:39]
	s_and_b64 s[38:39], s[38:39], exec
	s_or_b64 s[60:61], s[60:61], s[38:39]
.LBB94_126:                             ;   in Loop: Header=BB94_113 Depth=1
	;; [unrolled: 28-line block ×3, first 2 shown]
	s_or_b64 exec, exec, s[62:63]
	s_waitcnt lgkmcnt(0)
	ds_bpermute_b32 v59, v53, v40
	ds_bpermute_b32 v81, v53, v41
	ds_bpermute_b32 v58, v53, v58
	v_cmp_le_u32_e32 vcc, v54, v57
	s_and_saveexec_b64 s[62:63], vcc
	s_cbranch_execz .LBB94_111
; %bb.129:                              ;   in Loop: Header=BB94_113 Depth=1
	v_cmp_eq_u16_sdwa vcc, v56, v21 src0_sel:BYTE_0 src1_sel:DWORD
	v_and_b32_e32 v56, 1, v56
	s_andn2_b64 s[60:61], s[60:61], exec
	s_waitcnt lgkmcnt(1)
	v_cndmask_b32_e32 v83, 0, v81, vcc
	v_cndmask_b32_e32 v82, 0, v59, vcc
	v_cmp_eq_u32_e32 vcc, 1, v56
	s_waitcnt lgkmcnt(0)
	v_and_b32_e32 v56, 1, v58
	v_cmp_eq_u32_e64 s[38:39], 1, v56
	s_or_b64 s[38:39], vcc, s[38:39]
	s_and_b64 s[38:39], s[38:39], exec
	v_lshl_add_u64 v[40:41], v[82:83], 0, v[40:41]
	s_or_b64 s[60:61], s[60:61], s[38:39]
	s_branch .LBB94_111
.LBB94_130:
                                        ; implicit-def: $vgpr58_vgpr59
                                        ; implicit-def: $vgpr54_vgpr55
                                        ; implicit-def: $vgpr50_vgpr51
                                        ; implicit-def: $vgpr46_vgpr47
                                        ; implicit-def: $vgpr42_vgpr43
                                        ; implicit-def: $vgpr38_vgpr39
                                        ; implicit-def: $vgpr34_vgpr35
	s_load_dwordx2 s[34:35], s[0:1], 0x20
	s_cbranch_execnz .LBB94_136
	s_branch .LBB94_157
.LBB94_131:
	s_and_saveexec_b64 s[38:39], s[34:35]
	s_cbranch_execz .LBB94_133
; %bb.132:
	v_mov_b32_e32 v35, 0
	s_mov_b32 s3, 0
	v_cmp_eq_u32_sdwa vcc, v34, v35 src0_sel:BYTE_0 src1_sel:DWORD
	s_add_i32 s2, s2, 64
	s_lshl_b64 s[34:35], s[2:3], 4
	v_cndmask_b32_e32 v21, 0, v39, vcc
	v_cndmask_b32_e32 v20, 0, v38, vcc
	v_lshl_add_u64 v[20:21], v[20:21], 0, v[32:33]
	v_and_b32_e32 v32, 1, v34
	s_add_u32 s34, s42, s34
	v_and_b32_e32 v33, 1, v52
	v_cmp_eq_u32_e32 vcc, 1, v32
	s_addc_u32 s35, s43, s35
	s_nop 0
	v_cndmask_b32_e64 v32, v33, 1, vcc
	global_store_dword v35, v20, s[34:35] sc1
	global_store_dword v35, v21, s[34:35] offset:4 sc1
	global_store_dword v35, v32, s[34:35] offset:8 sc1
	;; [unrolled: 1-line block ×3, first 2 shown]
	v_mov_b32_e32 v20, 2
	v_mov_b32_e32 v21, s2
	s_waitcnt vmcnt(0) lgkmcnt(0)
	global_store_byte v21, v20, s[44:45] sc1
.LBB94_133:
	s_or_b64 exec, exec, s[38:39]
	s_and_b64 exec, exec, s[30:31]
	s_cbranch_execz .LBB94_135
; %bb.134:
	v_mov_b32_e32 v20, 0
	ds_write_b64 v20, v[38:39]
	ds_write_b8 v20, v52 offset:8
.LBB94_135:
	s_or_b64 exec, exec, s[54:55]
	v_mov_b32_e32 v32, 0
	v_cmp_eq_u16_sdwa vcc, v75, v32 src0_sel:BYTE_0 src1_sel:DWORD
	v_and_b32_e32 v33, 1, v75
	s_waitcnt lgkmcnt(0)
	s_barrier
	ds_read_b64 v[20:21], v32
	v_cndmask_b32_e32 v4, 0, v4, vcc
	v_cndmask_b32_e32 v5, 0, v5, vcc
	v_cmp_eq_u32_e32 vcc, 1, v33
	s_or_b64 s[2:3], vcc, s[48:49]
	v_cndmask_b32_e64 v33, 0, 1, s[2:3]
	v_cndmask_b32_e64 v33, v33, v75, s[30:31]
	;; [unrolled: 1-line block ×4, first 2 shown]
	v_cmp_eq_u16_sdwa vcc, v33, v32 src0_sel:BYTE_0 src1_sel:DWORD
	v_lshl_add_u64 v[4:5], v[4:5], 0, v[2:3]
	s_waitcnt lgkmcnt(0)
	v_cndmask_b32_e32 v21, 0, v21, vcc
	v_cndmask_b32_e32 v20, 0, v20, vcc
	v_lshl_add_u64 v[32:33], v[4:5], 0, v[20:21]
	v_cndmask_b32_e64 v5, 0, v33, s[6:7]
	v_cndmask_b32_e64 v4, 0, v32, s[6:7]
	v_lshl_add_u64 v[34:35], v[4:5], 0, v[6:7]
	v_cndmask_b32_e64 v5, 0, v35, s[8:9]
	v_cndmask_b32_e64 v4, 0, v34, s[8:9]
	;; [unrolled: 3-line block ×13, first 2 shown]
	v_lshl_add_u64 v[58:59], v[4:5], 0, v[8:9]
	s_load_dwordx2 s[34:35], s[0:1], 0x20
	s_branch .LBB94_157
.LBB94_136:
	s_cmp_lg_u64 s[58:59], 0
	s_cselect_b64 s[0:1], -1, 0
	s_cmp_lg_u64 s[50:51], 0
	s_cselect_b64 s[2:3], -1, 0
	s_and_b64 s[2:3], s[0:1], s[2:3]
	v_cmp_eq_u32_e32 vcc, 0, v0
	v_cmp_ne_u32_e64 s[0:1], 0, v0
	s_and_b64 s[2:3], vcc, s[2:3]
	s_and_saveexec_b64 s[4:5], s[2:3]
	s_cbranch_execz .LBB94_138
; %bb.137:
	v_mov_b32_e32 v20, 0
	global_load_dwordx2 v[4:5], v20, s[50:51]
	global_load_ubyte v21, v20, s[50:51] offset:8
	v_cmp_eq_u16_sdwa s[2:3], v75, v20 src0_sel:BYTE_0 src1_sel:DWORD
	s_waitcnt vmcnt(0)
	v_bitop3_b16 v75, v75, 1, v21 bitop3:0xc8
	v_cndmask_b32_e64 v5, 0, v5, s[2:3]
	v_cndmask_b32_e64 v4, 0, v4, s[2:3]
	v_lshl_add_u64 v[2:3], v[4:5], 0, v[2:3]
.LBB94_138:
	s_or_b64 exec, exec, s[4:5]
	v_mov_b32_e32 v20, 0
	v_cmp_eq_u16_sdwa s[4:5], v79, v20 src0_sel:BYTE_0 src1_sel:DWORD
	s_movk_i32 s47, 0xff
	v_cmp_eq_u16_sdwa s[6:7], v78, v20 src0_sel:BYTE_0 src1_sel:DWORD
	v_cndmask_b32_e64 v5, 0, v3, s[4:5]
	v_cndmask_b32_e64 v4, 0, v2, s[4:5]
	v_lshl_add_u64 v[34:35], v[4:5], 0, v[6:7]
	v_bitop3_b16 v4, v75, s47, v79 bitop3:0xc8
	v_cmp_ne_u16_e64 s[2:3], 0, v4
	v_cndmask_b32_e64 v5, 0, v35, s[6:7]
	v_cndmask_b32_e64 v4, 0, v34, s[6:7]
	v_cmp_eq_u32_e64 s[8:9], 1, v80
	v_lshl_add_u64 v[36:37], v[4:5], 0, v[12:13]
	s_or_b64 s[30:31], s[2:3], s[8:9]
	v_cmp_eq_u16_sdwa s[8:9], v77, v20 src0_sel:BYTE_0 src1_sel:DWORD
	v_cmp_eq_u16_sdwa s[10:11], v76, v20 src0_sel:BYTE_0 src1_sel:DWORD
	;; [unrolled: 1-line block ×3, first 2 shown]
	v_cndmask_b32_e64 v5, 0, v37, s[8:9]
	v_cndmask_b32_e64 v4, 0, v36, s[8:9]
	v_lshl_add_u64 v[38:39], v[4:5], 0, v[10:11]
	v_cndmask_b32_e64 v5, 0, v39, s[10:11]
	v_cndmask_b32_e64 v4, 0, v38, s[10:11]
	v_lshl_add_u64 v[40:41], v[4:5], 0, v[16:17]
	v_bitop3_b16 v4, v76, s47, v77 bitop3:0xc8
	v_cmp_ne_u16_e64 s[2:3], 0, v4
	v_cndmask_b32_e64 v5, 0, v41, s[12:13]
	v_cndmask_b32_e64 v4, 0, v40, s[12:13]
	v_cmp_eq_u32_e64 s[14:15], 1, v67
	v_lshl_add_u64 v[42:43], v[4:5], 0, v[14:15]
	s_or_b64 s[38:39], s[2:3], s[14:15]
	v_cmp_eq_u16_sdwa s[14:15], v72, v20 src0_sel:BYTE_0 src1_sel:DWORD
	v_cmp_eq_u16_sdwa s[16:17], v73, v20 src0_sel:BYTE_0 src1_sel:DWORD
	v_cmp_eq_u16_sdwa s[18:19], v71, v20 src0_sel:BYTE_0 src1_sel:DWORD
	v_cndmask_b32_e64 v5, 0, v43, s[14:15]
	v_cndmask_b32_e64 v4, 0, v42, s[14:15]
	v_lshl_add_u64 v[44:45], v[4:5], 0, v[24:25]
	v_cndmask_b32_e64 v5, 0, v45, s[16:17]
	v_cndmask_b32_e64 v4, 0, v44, s[16:17]
	v_lshl_add_u64 v[46:47], v[4:5], 0, v[22:23]
	v_bitop3_b16 v4, v73, s47, v72 bitop3:0xc8
	v_cmp_ne_u16_e64 s[2:3], 0, v4
	v_cndmask_b32_e64 v5, 0, v47, s[18:19]
	v_cndmask_b32_e64 v4, 0, v46, s[18:19]
	v_cmp_eq_u32_e64 s[20:21], 1, v66
	v_lshl_add_u64 v[48:49], v[4:5], 0, v[28:29]
	s_or_b64 s[40:41], s[2:3], s[20:21]
	v_cmp_eq_u16_sdwa s[20:21], v70, v20 src0_sel:BYTE_0 src1_sel:DWORD
	v_cmp_eq_u16_sdwa s[22:23], v1, v20 src0_sel:BYTE_0 src1_sel:DWORD
	v_bitop3_b16 v1, v1, s47, v70 bitop3:0xc8
	v_cndmask_b32_e64 v5, 0, v49, s[20:21]
	v_cndmask_b32_e64 v4, 0, v48, s[20:21]
	v_lshl_add_u64 v[50:51], v[4:5], 0, v[26:27]
	v_cndmask_b32_e64 v5, 0, v51, s[22:23]
	v_cndmask_b32_e64 v4, 0, v50, s[22:23]
	v_lshl_add_u64 v[52:53], v[4:5], 0, v[64:65]
	v_cmp_ne_u16_e64 s[2:3], 0, v1
	v_cmp_eq_u16_sdwa s[24:25], v69, v20 src0_sel:BYTE_0 src1_sel:DWORD
	v_cmp_eq_u32_e64 s[26:27], 1, v63
	v_bitop3_b16 v1, v61, s47, v68 bitop3:0xc8
	v_cndmask_b32_e64 v5, 0, v53, s[24:25]
	v_cndmask_b32_e64 v4, 0, v52, s[24:25]
	s_or_b64 s[48:49], s[2:3], s[26:27]
	v_cmp_ne_u16_e64 s[2:3], 0, v1
	v_lshl_add_u64 v[54:55], v[4:5], 0, v[30:31]
	v_cmp_eq_u16_sdwa s[26:27], v68, v20 src0_sel:BYTE_0 src1_sel:DWORD
	s_or_b64 s[2:3], s[2:3], s[48:49]
	s_or_b64 s[2:3], s[2:3], s[40:41]
	v_cndmask_b32_e64 v5, 0, v55, s[26:27]
	v_cndmask_b32_e64 v4, 0, v54, s[26:27]
	v_lshl_add_u64 v[56:57], v[4:5], 0, v[18:19]
	v_cmp_eq_u16_e64 s[28:29], 0, v61
	s_or_b64 s[2:3], s[2:3], s[38:39]
	s_or_b64 s[2:3], s[2:3], s[30:31]
	v_cndmask_b32_e64 v5, 0, v57, s[28:29]
	v_cndmask_b32_e64 v4, 0, v56, s[28:29]
	v_and_b32_e32 v1, 0x70, v62
	v_lshl_add_u64 v[58:59], v[4:5], 0, v[8:9]
	v_cndmask_b32_e64 v32, 0, 1, s[2:3]
	v_lshl_add_u32 v1, v0, 4, v1
	v_cmp_gt_u32_e64 s[2:3], 64, v0
	ds_write_b64 v1, v[58:59]
	ds_write_b8 v1, v32 offset:8
	s_waitcnt lgkmcnt(0)
	s_barrier
	s_and_saveexec_b64 s[38:39], s[2:3]
	s_cbranch_execz .LBB94_152
; %bb.139:
	v_lshlrev_b32_e32 v1, 1, v0
	v_and_b32_e32 v1, 0x1f0, v1
	v_lshlrev_b32_e32 v4, 6, v0
	v_add_u32_e32 v1, v1, v4
	ds_read2_b64 v[66:69], v1 offset0:2 offset1:4
	ds_read_b64 v[4:5], v1
	ds_read_b32 v33, v1 offset:8
	ds_read_u8 v61, v1 offset:24
	ds_read_u8 v70, v1 offset:40
	ds_read_b64 v[20:21], v1 offset:48
	ds_read_u8 v71, v1 offset:56
	s_waitcnt lgkmcnt(4)
	v_and_b32_e32 v62, 1, v33
	s_waitcnt lgkmcnt(3)
	v_cmp_eq_u16_e64 s[30:31], 0, v61
	v_cmp_eq_u32_e64 s[2:3], 1, v62
	s_waitcnt lgkmcnt(0)
	v_bitop3_b16 v61, v70, v71, v61 bitop3:0xfe
	v_cndmask_b32_e64 v63, 0, v5, s[30:31]
	v_cndmask_b32_e64 v62, 0, v4, s[30:31]
	v_lshl_add_u64 v[62:63], v[62:63], 0, v[66:67]
	v_cmp_eq_u16_e64 s[30:31], 0, v70
	v_and_b32_e32 v61, 1, v61
	s_nop 0
	v_cndmask_b32_e64 v63, 0, v63, s[30:31]
	v_cndmask_b32_e64 v62, 0, v62, s[30:31]
	v_lshl_add_u64 v[62:63], v[62:63], 0, v[68:69]
	v_cmp_eq_u16_e64 s[30:31], 0, v71
	s_nop 1
	v_cndmask_b32_e64 v63, 0, v63, s[30:31]
	v_cndmask_b32_e64 v62, 0, v62, s[30:31]
	v_cmp_eq_u32_e64 s[30:31], 1, v61
	s_or_b64 s[30:31], s[30:31], s[2:3]
	v_mbcnt_lo_u32_b32 v61, -1, 0
	v_lshl_add_u64 v[20:21], v[62:63], 0, v[20:21]
	v_mbcnt_hi_u32_b32 v61, -1, v61
	v_and_b32_e32 v62, 0xffffff00, v33
	v_cndmask_b32_e64 v66, 0, 1, s[30:31]
	v_and_b32_e32 v67, 15, v61
	v_or_b32_e32 v66, v62, v66
	v_cndmask_b32_e64 v63, 0, 1, s[30:31]
	v_mov_b32_dpp v68, v20 row_shr:1 row_mask:0xf bank_mask:0xf
	v_mov_b32_dpp v70, v21 row_shr:1 row_mask:0xf bank_mask:0xf
	;; [unrolled: 1-line block ×3, first 2 shown]
	v_cmp_ne_u32_e64 s[2:3], 0, v67
	s_and_saveexec_b64 s[40:41], s[2:3]
; %bb.140:
	v_cndmask_b32_e64 v71, v70, 0, s[30:31]
	v_cndmask_b32_e64 v70, v68, 0, s[30:31]
	v_bitop3_b16 v63, v69, v63, 1 bitop3:0xec
	v_lshl_add_u64 v[20:21], v[70:71], 0, v[20:21]
	v_or_b32_sdwa v66, v62, v63 dst_sel:DWORD dst_unused:UNUSED_PAD src0_sel:DWORD src1_sel:WORD_0
; %bb.141:
	s_or_b64 exec, exec, s[40:41]
	v_mov_b32_dpp v69, v20 row_shr:2 row_mask:0xf bank_mask:0xf
	v_mov_b32_dpp v70, v21 row_shr:2 row_mask:0xf bank_mask:0xf
	;; [unrolled: 1-line block ×3, first 2 shown]
	v_cmp_lt_u32_e64 s[2:3], 1, v67
	s_and_saveexec_b64 s[40:41], s[2:3]
	s_cbranch_execz .LBB94_143
; %bb.142:
	v_cmp_eq_u16_e64 s[2:3], 0, v63
	v_and_b32_e32 v63, 1, v63
	s_nop 0
	v_cndmask_b32_e64 v71, 0, v70, s[2:3]
	v_cndmask_b32_e64 v70, 0, v69, s[2:3]
	v_cmp_eq_u32_e64 s[2:3], 1, v63
	v_and_b32_e32 v63, 1, v68
	v_cmp_eq_u32_e64 s[30:31], 1, v63
	s_or_b64 s[2:3], s[2:3], s[30:31]
	v_cndmask_b32_e64 v66, 0, 1, s[2:3]
	v_lshl_add_u64 v[20:21], v[70:71], 0, v[20:21]
	v_cndmask_b32_e64 v63, 0, 1, s[2:3]
	v_or_b32_e32 v66, v62, v66
.LBB94_143:
	s_or_b64 exec, exec, s[40:41]
	v_mov_b32_dpp v69, v20 row_shr:4 row_mask:0xf bank_mask:0xf
	v_mov_b32_dpp v70, v21 row_shr:4 row_mask:0xf bank_mask:0xf
	;; [unrolled: 1-line block ×3, first 2 shown]
	v_cmp_lt_u32_e64 s[2:3], 3, v67
	s_and_saveexec_b64 s[40:41], s[2:3]
	s_cbranch_execz .LBB94_145
; %bb.144:
	v_cmp_eq_u16_e64 s[2:3], 0, v63
	v_and_b32_e32 v63, 1, v63
	s_nop 0
	v_cndmask_b32_e64 v71, 0, v70, s[2:3]
	v_cndmask_b32_e64 v70, 0, v69, s[2:3]
	v_cmp_eq_u32_e64 s[2:3], 1, v63
	v_and_b32_e32 v63, 1, v68
	v_cmp_eq_u32_e64 s[30:31], 1, v63
	s_or_b64 s[2:3], s[2:3], s[30:31]
	v_cndmask_b32_e64 v66, 0, 1, s[2:3]
	v_lshl_add_u64 v[20:21], v[70:71], 0, v[20:21]
	v_cndmask_b32_e64 v63, 0, 1, s[2:3]
	v_or_b32_e32 v66, v62, v66
.LBB94_145:
	s_or_b64 exec, exec, s[40:41]
	v_mov_b32_dpp v69, v20 row_shr:8 row_mask:0xf bank_mask:0xf
	v_mov_b32_dpp v70, v21 row_shr:8 row_mask:0xf bank_mask:0xf
	;; [unrolled: 1-line block ×3, first 2 shown]
	v_cmp_lt_u32_e64 s[2:3], 7, v67
	s_and_saveexec_b64 s[40:41], s[2:3]
	s_cbranch_execz .LBB94_147
; %bb.146:
	v_cmp_eq_u16_e64 s[2:3], 0, v63
	v_and_b32_e32 v63, 1, v63
	s_nop 0
	v_cndmask_b32_e64 v67, 0, v70, s[2:3]
	v_cndmask_b32_e64 v66, 0, v69, s[2:3]
	v_cmp_eq_u32_e64 s[2:3], 1, v63
	v_and_b32_e32 v63, 1, v68
	v_cmp_eq_u32_e64 s[30:31], 1, v63
	s_or_b64 s[2:3], s[2:3], s[30:31]
	v_lshl_add_u64 v[20:21], v[66:67], 0, v[20:21]
	v_cndmask_b32_e64 v66, 0, 1, s[2:3]
	v_cndmask_b32_e64 v63, 0, 1, s[2:3]
	v_or_b32_e32 v66, v62, v66
.LBB94_147:
	s_or_b64 exec, exec, s[40:41]
	v_and_b32_e32 v70, 16, v61
	v_mov_b32_dpp v68, v20 row_bcast:15 row_mask:0xf bank_mask:0xf
	v_mov_b32_dpp v69, v21 row_bcast:15 row_mask:0xf bank_mask:0xf
	;; [unrolled: 1-line block ×3, first 2 shown]
	v_cmp_ne_u32_e64 s[2:3], 0, v70
	s_and_saveexec_b64 s[40:41], s[2:3]
	s_cbranch_execz .LBB94_149
; %bb.148:
	v_cmp_eq_u16_e64 s[2:3], 0, v63
	v_and_b32_e32 v63, 1, v63
	s_nop 0
	v_cndmask_b32_e64 v69, 0, v69, s[2:3]
	v_cndmask_b32_e64 v68, 0, v68, s[2:3]
	v_cmp_eq_u32_e64 s[2:3], 1, v63
	v_and_b32_e32 v63, 1, v67
	v_cmp_eq_u32_e64 s[30:31], 1, v63
	s_or_b64 s[2:3], s[2:3], s[30:31]
	v_cndmask_b32_e64 v66, 0, 1, s[2:3]
	v_lshl_add_u64 v[20:21], v[68:69], 0, v[20:21]
	v_cndmask_b32_e64 v63, 0, 1, s[2:3]
	v_or_b32_e32 v66, v62, v66
.LBB94_149:
	s_or_b64 exec, exec, s[40:41]
	v_mov_b32_dpp v67, v20 row_bcast:31 row_mask:0xf bank_mask:0xf
	v_mov_b32_dpp v68, v21 row_bcast:31 row_mask:0xf bank_mask:0xf
	;; [unrolled: 1-line block ×3, first 2 shown]
	v_cmp_lt_u32_e64 s[2:3], 31, v61
	s_and_saveexec_b64 s[40:41], s[2:3]
	s_cbranch_execz .LBB94_151
; %bb.150:
	v_cmp_eq_u16_e64 s[2:3], 0, v63
	v_and_b32_e32 v63, 1, v63
	s_nop 0
	v_cndmask_b32_e64 v69, 0, v68, s[2:3]
	v_cndmask_b32_e64 v68, 0, v67, s[2:3]
	v_cmp_eq_u32_e64 s[2:3], 1, v63
	v_and_b32_e32 v63, 1, v66
	v_cmp_eq_u32_e64 s[30:31], 1, v63
	s_or_b64 s[2:3], s[2:3], s[30:31]
	v_lshl_add_u64 v[20:21], v[68:69], 0, v[20:21]
	v_cndmask_b32_e64 v63, 0, 1, s[2:3]
.LBB94_151:
	s_or_b64 exec, exec, s[40:41]
	v_add_u32_e32 v66, -1, v61
	v_and_b32_e32 v67, 64, v61
	v_cmp_lt_i32_e64 s[2:3], v66, v67
	v_or_b32_sdwa v62, v62, v63 dst_sel:DWORD dst_unused:UNUSED_PAD src0_sel:DWORD src1_sel:WORD_0
	s_nop 0
	v_cndmask_b32_e64 v61, v66, v61, s[2:3]
	v_lshlrev_b32_e32 v61, 2, v61
	ds_bpermute_b32 v20, v61, v20
	ds_bpermute_b32 v21, v61, v21
	;; [unrolled: 1-line block ×3, first 2 shown]
	v_mov_b32_e32 v62, 0
	v_cmp_eq_u32_sdwa s[2:3], v33, v62 src0_sel:BYTE_0 src1_sel:DWORD
	; wave barrier
	s_waitcnt lgkmcnt(1)
	s_nop 0
	v_cndmask_b32_e64 v21, 0, v21, s[2:3]
	v_cndmask_b32_e64 v20, 0, v20, s[2:3]
	v_lshl_add_u64 v[4:5], v[20:21], 0, v[4:5]
	s_waitcnt lgkmcnt(0)
	v_or_b32_e32 v20, v61, v33
	v_and_b32_e32 v20, 1, v20
	v_cndmask_b32_e32 v5, v5, v59, vcc
	v_cndmask_b32_e32 v4, v4, v58, vcc
	;; [unrolled: 1-line block ×3, first 2 shown]
	ds_write_b64 v1, v[4:5]
	ds_write_b8 v1, v61 offset:8
	; wave barrier
	ds_read_u8 v63, v1 offset:24
	ds_read2_b64 v[66:69], v1 offset0:2 offset1:4
	ds_read_u8 v70, v1 offset:40
	ds_read_b64 v[20:21], v1 offset:48
	ds_read_u8 v71, v1 offset:56
	s_waitcnt lgkmcnt(4)
	v_cmp_eq_u16_sdwa s[2:3], v63, v62 src0_sel:BYTE_0 src1_sel:DWORD
	v_bitop3_b16 v32, v63, 1, v61 bitop3:0xc8
	ds_write_b8 v1, v32 offset:24
	v_cndmask_b32_e64 v5, 0, v5, s[2:3]
	v_cndmask_b32_e64 v4, 0, v4, s[2:3]
	s_waitcnt lgkmcnt(4)
	v_lshl_add_u64 v[4:5], v[4:5], 0, v[66:67]
	s_waitcnt lgkmcnt(3)
	v_cmp_eq_u16_sdwa s[2:3], v70, v62 src0_sel:BYTE_0 src1_sel:DWORD
	v_or_b32_e32 v66, v63, v61
	v_bitop3_b16 v62, v70, 1, v66 bitop3:0xc8
	v_cndmask_b32_e64 v33, 0, v5, s[2:3]
	v_cndmask_b32_e64 v32, 0, v4, s[2:3]
	v_lshl_add_u64 v[32:33], v[32:33], 0, v[68:69]
	s_waitcnt lgkmcnt(1)
	v_cmp_eq_u16_e64 s[2:3], 0, v71
	ds_write2_b64 v1, v[4:5], v[32:33] offset0:2 offset1:4
	ds_write_b8 v1, v62 offset:40
	v_cndmask_b32_e64 v5, 0, v33, s[2:3]
	v_cndmask_b32_e64 v4, 0, v32, s[2:3]
	v_bitop3_b16 v61, v70, v63, v61 bitop3:0xfe
	v_lshl_add_u64 v[4:5], v[4:5], 0, v[20:21]
	v_bitop3_b16 v20, v71, 1, v61 bitop3:0xc8
	ds_write_b64 v1, v[4:5] offset:48
	ds_write_b8 v1, v20 offset:56
.LBB94_152:
	s_or_b64 exec, exec, s[38:39]
	s_waitcnt lgkmcnt(0)
	s_barrier
	s_and_saveexec_b64 s[2:3], s[0:1]
	s_cbranch_execz .LBB94_154
; %bb.153:
	v_add_u32_e32 v1, -1, v0
	v_lshrrev_b32_e32 v4, 1, v1
	v_and_b32_e32 v4, 0x7ffffff0, v4
	v_lshl_add_u32 v1, v1, 4, v4
	ds_read_b64 v[4:5], v1
	v_mov_b32_e32 v1, 0
	v_cmp_eq_u16_sdwa s[0:1], v75, v1 src0_sel:BYTE_0 src1_sel:DWORD
	;;#ASMSTART
	;;#ASMEND
	s_waitcnt lgkmcnt(0)
	s_nop 0
	v_cndmask_b32_e64 v5, 0, v5, s[0:1]
	v_cndmask_b32_e64 v4, 0, v4, s[0:1]
	v_lshl_add_u64 v[2:3], v[4:5], 0, v[2:3]
	v_cndmask_b32_e64 v5, 0, v3, s[4:5]
	v_cndmask_b32_e64 v4, 0, v2, s[4:5]
	v_lshl_add_u64 v[34:35], v[4:5], 0, v[6:7]
	;; [unrolled: 3-line block ×14, first 2 shown]
.LBB94_154:
	s_or_b64 exec, exec, s[2:3]
	s_and_saveexec_b64 s[0:1], vcc
	s_cbranch_execz .LBB94_156
; %bb.155:
	v_mov_b32_e32 v1, 0
	ds_read_b64 v[4:5], v1 offset:4192
	ds_read_u8 v6, v1 offset:4200
	s_waitcnt lgkmcnt(1)
	global_store_dword v1, v4, s[42:43] offset:1024 sc1
	global_store_dword v1, v5, s[42:43] offset:1028 sc1
	s_waitcnt lgkmcnt(0)
	global_store_dword v1, v6, s[42:43] offset:1032 sc1
	global_store_dword v1, v1, s[42:43] offset:1036 sc1
	v_mov_b32_e32 v4, 2
	s_waitcnt vmcnt(0)
	global_store_byte v1, v4, s[44:45] offset:64 sc1
.LBB94_156:
	s_or_b64 exec, exec, s[0:1]
	v_mov_b64_e32 v[32:33], v[2:3]
.LBB94_157:
	s_waitcnt lgkmcnt(0)
	s_add_u32 s0, s34, s56
	s_addc_u32 s1, s35, s57
	s_add_u32 s0, s0, s52
	s_addc_u32 s1, s1, s53
	s_and_b64 vcc, exec, s[36:37]
	s_cbranch_vccz .LBB94_205
; %bb.158:
	s_add_i32 s33, s33, s46
	v_mul_u32_u24_e32 v1, 14, v0
	v_cmp_gt_u32_e32 vcc, s33, v1
	s_and_saveexec_b64 s[2:3], vcc
	s_cbranch_execz .LBB94_178
; %bb.159:
	v_or_b32_e32 v2, 1, v1
	v_cmp_gt_u32_e32 vcc, s33, v2
	s_and_saveexec_b64 s[4:5], vcc
	s_cbranch_execz .LBB94_177
; %bb.160:
	v_add_u32_e32 v2, 2, v1
	v_cmp_gt_u32_e32 vcc, s33, v2
	s_and_saveexec_b64 s[6:7], vcc
	s_cbranch_execz .LBB94_176
; %bb.161:
	v_add_u32_e32 v2, 3, v1
	;; [unrolled: 5-line block ×8, first 2 shown]
	v_cmp_gt_u32_e32 vcc, s33, v2
	s_and_saveexec_b64 s[20:21], vcc
; %bb.168:
	v_add_u32_e32 v2, 10, v1
	v_cmp_gt_u32_e32 vcc, s33, v2
	s_and_saveexec_b64 s[22:23], vcc
	s_or_b64 exec, exec, s[22:23]
; %bb.169:
	s_or_b64 exec, exec, s[20:21]
.LBB94_170:
	s_or_b64 exec, exec, s[18:19]
.LBB94_171:
	s_or_b64 exec, exec, s[16:17]
.LBB94_172:
	s_or_b64 exec, exec, s[14:15]
.LBB94_173:
	s_or_b64 exec, exec, s[12:13]
.LBB94_174:
	s_or_b64 exec, exec, s[10:11]
.LBB94_175:
	s_or_b64 exec, exec, s[8:9]
.LBB94_176:
	s_or_b64 exec, exec, s[6:7]
.LBB94_177:
	s_or_b64 exec, exec, s[4:5]
.LBB94_178:
	s_or_b64 exec, exec, s[2:3]
	v_lshlrev_b32_e32 v1, 3, v1
	s_movk_i32 s2, 0xff98
	v_mad_i32_i24 v26, v0, s2, v1
	s_barrier
	ds_write_b128 v1, v[32:35]
	ds_write_b128 v1, v[36:39] offset:16
	ds_write_b128 v1, v[40:43] offset:32
	;; [unrolled: 1-line block ×6, first 2 shown]
	s_waitcnt lgkmcnt(0)
	s_barrier
	ds_read2st64_b64 v[22:25], v26 offset0:4 offset1:8
	ds_read2st64_b64 v[18:21], v26 offset0:12 offset1:16
	;; [unrolled: 1-line block ×6, first 2 shown]
	ds_read_b64 v[28:29], v26 offset:26624
	v_mov_b32_e32 v61, 0
	v_lshl_add_u64 v[26:27], s[0:1], 0, v[60:61]
	v_cmp_gt_u32_e32 vcc, s33, v0
	s_and_saveexec_b64 s[2:3], vcc
	s_cbranch_execz .LBB94_180
; %bb.179:
	v_mul_i32_i24_e32 v30, 0xffffff98, v0
	v_add_u32_e32 v1, v1, v30
	ds_read_b64 v[30:31], v1
	s_waitcnt lgkmcnt(0)
	global_store_dwordx2 v[26:27], v[30:31], off
.LBB94_180:
	s_or_b64 exec, exec, s[2:3]
	v_or_b32_e32 v1, 0x100, v0
	v_cmp_gt_u32_e32 vcc, s33, v1
	s_and_saveexec_b64 s[2:3], vcc
	s_cbranch_execz .LBB94_182
; %bb.181:
	s_waitcnt lgkmcnt(6)
	global_store_dwordx2 v[26:27], v[22:23], off offset:2048
.LBB94_182:
	s_or_b64 exec, exec, s[2:3]
	v_or_b32_e32 v1, 0x200, v0
	v_cmp_gt_u32_e32 vcc, s33, v1
	s_and_saveexec_b64 s[2:3], vcc
	s_cbranch_execz .LBB94_184
; %bb.183:
	s_waitcnt lgkmcnt(6)
	v_add_co_u32_e32 v22, vcc, 0x1000, v26
	s_nop 1
	v_addc_co_u32_e32 v23, vcc, 0, v27, vcc
	global_store_dwordx2 v[22:23], v[24:25], off
.LBB94_184:
	s_or_b64 exec, exec, s[2:3]
	v_or_b32_e32 v1, 0x300, v0
	v_cmp_gt_u32_e32 vcc, s33, v1
	s_and_saveexec_b64 s[2:3], vcc
	s_cbranch_execz .LBB94_186
; %bb.185:
	s_waitcnt lgkmcnt(6)
	v_add_co_u32_e32 v22, vcc, 0x1000, v26
	s_nop 1
	v_addc_co_u32_e32 v23, vcc, 0, v27, vcc
	s_waitcnt lgkmcnt(5)
	global_store_dwordx2 v[22:23], v[18:19], off offset:2048
.LBB94_186:
	s_or_b64 exec, exec, s[2:3]
	v_or_b32_e32 v1, 0x400, v0
	v_cmp_gt_u32_e32 vcc, s33, v1
	s_and_saveexec_b64 s[2:3], vcc
	s_cbranch_execz .LBB94_188
; %bb.187:
	s_waitcnt lgkmcnt(5)
	v_add_co_u32_e32 v18, vcc, 0x2000, v26
	s_nop 1
	v_addc_co_u32_e32 v19, vcc, 0, v27, vcc
	global_store_dwordx2 v[18:19], v[20:21], off
.LBB94_188:
	s_or_b64 exec, exec, s[2:3]
	v_or_b32_e32 v1, 0x500, v0
	v_cmp_gt_u32_e32 vcc, s33, v1
	s_and_saveexec_b64 s[2:3], vcc
	s_cbranch_execz .LBB94_190
; %bb.189:
	s_waitcnt lgkmcnt(5)
	v_add_co_u32_e32 v18, vcc, 0x2000, v26
	s_nop 1
	v_addc_co_u32_e32 v19, vcc, 0, v27, vcc
	s_waitcnt lgkmcnt(4)
	global_store_dwordx2 v[18:19], v[14:15], off offset:2048
.LBB94_190:
	s_or_b64 exec, exec, s[2:3]
	v_or_b32_e32 v1, 0x600, v0
	v_cmp_gt_u32_e32 vcc, s33, v1
	s_and_saveexec_b64 s[2:3], vcc
	s_cbranch_execz .LBB94_192
; %bb.191:
	s_waitcnt lgkmcnt(4)
	v_add_co_u32_e32 v14, vcc, 0x3000, v26
	s_nop 1
	v_addc_co_u32_e32 v15, vcc, 0, v27, vcc
	global_store_dwordx2 v[14:15], v[16:17], off
.LBB94_192:
	s_or_b64 exec, exec, s[2:3]
	v_or_b32_e32 v1, 0x700, v0
	v_cmp_gt_u32_e32 vcc, s33, v1
	s_and_saveexec_b64 s[2:3], vcc
	s_cbranch_execz .LBB94_194
; %bb.193:
	s_waitcnt lgkmcnt(4)
	v_add_co_u32_e32 v14, vcc, 0x3000, v26
	s_nop 1
	v_addc_co_u32_e32 v15, vcc, 0, v27, vcc
	s_waitcnt lgkmcnt(3)
	global_store_dwordx2 v[14:15], v[10:11], off offset:2048
.LBB94_194:
	s_or_b64 exec, exec, s[2:3]
	v_or_b32_e32 v1, 0x800, v0
	v_cmp_gt_u32_e32 vcc, s33, v1
	s_and_saveexec_b64 s[2:3], vcc
	s_cbranch_execz .LBB94_196
; %bb.195:
	s_waitcnt lgkmcnt(3)
	v_add_co_u32_e32 v10, vcc, 0x4000, v26
	s_nop 1
	v_addc_co_u32_e32 v11, vcc, 0, v27, vcc
	global_store_dwordx2 v[10:11], v[12:13], off
.LBB94_196:
	s_or_b64 exec, exec, s[2:3]
	v_or_b32_e32 v1, 0x900, v0
	v_cmp_gt_u32_e32 vcc, s33, v1
	s_and_saveexec_b64 s[2:3], vcc
	s_cbranch_execz .LBB94_198
; %bb.197:
	s_waitcnt lgkmcnt(3)
	v_add_co_u32_e32 v10, vcc, 0x4000, v26
	s_nop 1
	v_addc_co_u32_e32 v11, vcc, 0, v27, vcc
	s_waitcnt lgkmcnt(2)
	global_store_dwordx2 v[10:11], v[6:7], off offset:2048
.LBB94_198:
	s_or_b64 exec, exec, s[2:3]
	v_or_b32_e32 v1, 0xa00, v0
	v_cmp_gt_u32_e32 vcc, s33, v1
	s_and_saveexec_b64 s[2:3], vcc
	s_cbranch_execz .LBB94_200
; %bb.199:
	s_waitcnt lgkmcnt(2)
	v_add_co_u32_e32 v6, vcc, 0x5000, v26
	s_nop 1
	v_addc_co_u32_e32 v7, vcc, 0, v27, vcc
	global_store_dwordx2 v[6:7], v[8:9], off
.LBB94_200:
	s_or_b64 exec, exec, s[2:3]
	v_or_b32_e32 v1, 0xb00, v0
	v_cmp_gt_u32_e32 vcc, s33, v1
	s_and_saveexec_b64 s[2:3], vcc
	s_cbranch_execz .LBB94_202
; %bb.201:
	s_waitcnt lgkmcnt(2)
	v_add_co_u32_e32 v6, vcc, 0x5000, v26
	s_nop 1
	v_addc_co_u32_e32 v7, vcc, 0, v27, vcc
	s_waitcnt lgkmcnt(1)
	global_store_dwordx2 v[6:7], v[2:3], off offset:2048
.LBB94_202:
	s_or_b64 exec, exec, s[2:3]
	v_or_b32_e32 v1, 0xc00, v0
	v_cmp_gt_u32_e32 vcc, s33, v1
	s_and_saveexec_b64 s[2:3], vcc
	s_cbranch_execz .LBB94_204
; %bb.203:
	s_waitcnt lgkmcnt(1)
	v_add_co_u32_e32 v2, vcc, 0x6000, v26
	s_nop 1
	v_addc_co_u32_e32 v3, vcc, 0, v27, vcc
	global_store_dwordx2 v[2:3], v[4:5], off
.LBB94_204:
	s_or_b64 exec, exec, s[2:3]
	v_or_b32_e32 v1, 0xd00, v0
	v_cmp_gt_u32_e64 s[2:3], s33, v1
	s_branch .LBB94_207
.LBB94_205:
	s_mov_b64 s[2:3], 0
                                        ; implicit-def: $vgpr28_vgpr29
	s_cbranch_execz .LBB94_207
; %bb.206:
	v_mul_u32_u24_e32 v1, 0x70, v0
	s_waitcnt lgkmcnt(0)
	s_barrier
	s_movk_i32 s4, 0x70
	ds_write_b128 v1, v[32:35]
	ds_write_b128 v1, v[36:39] offset:16
	ds_write_b128 v1, v[40:43] offset:32
	ds_write_b128 v1, v[44:47] offset:48
	ds_write_b128 v1, v[48:51] offset:64
	ds_write_b128 v1, v[52:55] offset:80
	ds_write_b128 v1, v[56:59] offset:96
	v_mul_i32_i24_e32 v1, 0xffffff98, v0
	v_mad_u32_u24 v1, v0, s4, v1
	v_mov_b32_e32 v61, 0
	s_waitcnt lgkmcnt(0)
	s_barrier
	ds_read2st64_b64 v[2:5], v1 offset1:4
	ds_read2st64_b64 v[6:9], v1 offset0:8 offset1:12
	ds_read2st64_b64 v[10:13], v1 offset0:16 offset1:20
	ds_read2st64_b64 v[14:17], v1 offset0:24 offset1:28
	ds_read2st64_b64 v[18:21], v1 offset0:32 offset1:36
	ds_read2st64_b64 v[22:25], v1 offset0:40 offset1:44
	ds_read2st64_b64 v[26:29], v1 offset0:48 offset1:52
	v_lshl_add_u64 v[30:31], s[0:1], 0, v[60:61]
	s_movk_i32 s4, 0x1000
	s_waitcnt lgkmcnt(6)
	global_store_dwordx2 v60, v[2:3], s[0:1]
	global_store_dwordx2 v60, v[4:5], s[0:1] offset:2048
	v_add_co_u32_e32 v2, vcc, s4, v30
	s_movk_i32 s4, 0x2000
	s_nop 0
	v_addc_co_u32_e32 v3, vcc, 0, v31, vcc
	v_add_co_u32_e32 v4, vcc, s4, v30
	s_movk_i32 s4, 0x3000
	s_nop 0
	v_addc_co_u32_e32 v5, vcc, 0, v31, vcc
	s_waitcnt lgkmcnt(5)
	global_store_dwordx2 v[4:5], v[6:7], off offset:-4096
	global_store_dwordx2 v[2:3], v[8:9], off offset:2048
	s_waitcnt lgkmcnt(4)
	global_store_dwordx2 v[4:5], v[10:11], off
	global_store_dwordx2 v[4:5], v[12:13], off offset:2048
	v_add_co_u32_e32 v2, vcc, s4, v30
	s_movk_i32 s4, 0x4000
	s_nop 0
	v_addc_co_u32_e32 v3, vcc, 0, v31, vcc
	v_add_co_u32_e32 v4, vcc, s4, v30
	s_or_b64 s[2:3], s[2:3], exec
	s_nop 0
	v_addc_co_u32_e32 v5, vcc, 0, v31, vcc
	s_waitcnt lgkmcnt(3)
	global_store_dwordx2 v[4:5], v[14:15], off offset:-4096
	global_store_dwordx2 v[2:3], v[16:17], off offset:2048
	s_waitcnt lgkmcnt(2)
	global_store_dwordx2 v[4:5], v[18:19], off
	global_store_dwordx2 v[4:5], v[20:21], off offset:2048
	v_add_co_u32_e32 v2, vcc, 0x5000, v30
	s_nop 1
	v_addc_co_u32_e32 v3, vcc, 0, v31, vcc
	s_waitcnt lgkmcnt(1)
	global_store_dwordx2 v[2:3], v[22:23], off
	global_store_dwordx2 v[2:3], v[24:25], off offset:2048
	v_add_co_u32_e32 v2, vcc, 0x6000, v30
	s_nop 1
	v_addc_co_u32_e32 v3, vcc, 0, v31, vcc
	s_waitcnt lgkmcnt(0)
	global_store_dwordx2 v[2:3], v[26:27], off
.LBB94_207:
	s_and_saveexec_b64 s[4:5], s[2:3]
	s_cbranch_execnz .LBB94_209
; %bb.208:
	s_endpgm
.LBB94_209:
	v_lshlrev_b32_e32 v0, 3, v0
	v_mov_b32_e32 v1, 0
	v_lshl_add_u64 v[0:1], s[0:1], 0, v[0:1]
	v_add_co_u32_e32 v0, vcc, 0x6000, v0
	s_nop 1
	v_addc_co_u32_e32 v1, vcc, 0, v1, vcc
	s_waitcnt lgkmcnt(0)
	global_store_dwordx2 v[0:1], v[28:29], off offset:2048
	s_endpgm
	.section	.rodata,"a",@progbits
	.p2align	6, 0x0
	.amdhsa_kernel _ZN7rocprim17ROCPRIM_400000_NS6detail17trampoline_kernelINS0_14default_configENS1_27scan_by_key_config_selectorIllEEZZNS1_16scan_by_key_implILNS1_25lookback_scan_determinismE0ELb0ES3_PKlN6hipcub16HIPCUB_304000_NS21ConstantInputIteratorIllEEPllNSB_3SumENSB_8EqualityElEE10hipError_tPvRmT2_T3_T4_T5_mT6_T7_P12ihipStream_tbENKUlT_T0_E_clISt17integral_constantIbLb0EESX_EEDaSS_ST_EUlSS_E_NS1_11comp_targetILNS1_3genE0ELNS1_11target_archE4294967295ELNS1_3gpuE0ELNS1_3repE0EEENS1_30default_config_static_selectorELNS0_4arch9wavefront6targetE1EEEvT1_
		.amdhsa_group_segment_fixed_size 32768
		.amdhsa_private_segment_fixed_size 0
		.amdhsa_kernarg_size 144
		.amdhsa_user_sgpr_count 2
		.amdhsa_user_sgpr_dispatch_ptr 0
		.amdhsa_user_sgpr_queue_ptr 0
		.amdhsa_user_sgpr_kernarg_segment_ptr 1
		.amdhsa_user_sgpr_dispatch_id 0
		.amdhsa_user_sgpr_kernarg_preload_length 0
		.amdhsa_user_sgpr_kernarg_preload_offset 0
		.amdhsa_user_sgpr_private_segment_size 0
		.amdhsa_uses_dynamic_stack 0
		.amdhsa_enable_private_segment 0
		.amdhsa_system_sgpr_workgroup_id_x 1
		.amdhsa_system_sgpr_workgroup_id_y 0
		.amdhsa_system_sgpr_workgroup_id_z 0
		.amdhsa_system_sgpr_workgroup_info 0
		.amdhsa_system_vgpr_workitem_id 0
		.amdhsa_next_free_vgpr 110
		.amdhsa_next_free_sgpr 96
		.amdhsa_accum_offset 112
		.amdhsa_reserve_vcc 1
		.amdhsa_float_round_mode_32 0
		.amdhsa_float_round_mode_16_64 0
		.amdhsa_float_denorm_mode_32 3
		.amdhsa_float_denorm_mode_16_64 3
		.amdhsa_dx10_clamp 1
		.amdhsa_ieee_mode 1
		.amdhsa_fp16_overflow 0
		.amdhsa_tg_split 0
		.amdhsa_exception_fp_ieee_invalid_op 0
		.amdhsa_exception_fp_denorm_src 0
		.amdhsa_exception_fp_ieee_div_zero 0
		.amdhsa_exception_fp_ieee_overflow 0
		.amdhsa_exception_fp_ieee_underflow 0
		.amdhsa_exception_fp_ieee_inexact 0
		.amdhsa_exception_int_div_zero 0
	.end_amdhsa_kernel
	.section	.text._ZN7rocprim17ROCPRIM_400000_NS6detail17trampoline_kernelINS0_14default_configENS1_27scan_by_key_config_selectorIllEEZZNS1_16scan_by_key_implILNS1_25lookback_scan_determinismE0ELb0ES3_PKlN6hipcub16HIPCUB_304000_NS21ConstantInputIteratorIllEEPllNSB_3SumENSB_8EqualityElEE10hipError_tPvRmT2_T3_T4_T5_mT6_T7_P12ihipStream_tbENKUlT_T0_E_clISt17integral_constantIbLb0EESX_EEDaSS_ST_EUlSS_E_NS1_11comp_targetILNS1_3genE0ELNS1_11target_archE4294967295ELNS1_3gpuE0ELNS1_3repE0EEENS1_30default_config_static_selectorELNS0_4arch9wavefront6targetE1EEEvT1_,"axG",@progbits,_ZN7rocprim17ROCPRIM_400000_NS6detail17trampoline_kernelINS0_14default_configENS1_27scan_by_key_config_selectorIllEEZZNS1_16scan_by_key_implILNS1_25lookback_scan_determinismE0ELb0ES3_PKlN6hipcub16HIPCUB_304000_NS21ConstantInputIteratorIllEEPllNSB_3SumENSB_8EqualityElEE10hipError_tPvRmT2_T3_T4_T5_mT6_T7_P12ihipStream_tbENKUlT_T0_E_clISt17integral_constantIbLb0EESX_EEDaSS_ST_EUlSS_E_NS1_11comp_targetILNS1_3genE0ELNS1_11target_archE4294967295ELNS1_3gpuE0ELNS1_3repE0EEENS1_30default_config_static_selectorELNS0_4arch9wavefront6targetE1EEEvT1_,comdat
.Lfunc_end94:
	.size	_ZN7rocprim17ROCPRIM_400000_NS6detail17trampoline_kernelINS0_14default_configENS1_27scan_by_key_config_selectorIllEEZZNS1_16scan_by_key_implILNS1_25lookback_scan_determinismE0ELb0ES3_PKlN6hipcub16HIPCUB_304000_NS21ConstantInputIteratorIllEEPllNSB_3SumENSB_8EqualityElEE10hipError_tPvRmT2_T3_T4_T5_mT6_T7_P12ihipStream_tbENKUlT_T0_E_clISt17integral_constantIbLb0EESX_EEDaSS_ST_EUlSS_E_NS1_11comp_targetILNS1_3genE0ELNS1_11target_archE4294967295ELNS1_3gpuE0ELNS1_3repE0EEENS1_30default_config_static_selectorELNS0_4arch9wavefront6targetE1EEEvT1_, .Lfunc_end94-_ZN7rocprim17ROCPRIM_400000_NS6detail17trampoline_kernelINS0_14default_configENS1_27scan_by_key_config_selectorIllEEZZNS1_16scan_by_key_implILNS1_25lookback_scan_determinismE0ELb0ES3_PKlN6hipcub16HIPCUB_304000_NS21ConstantInputIteratorIllEEPllNSB_3SumENSB_8EqualityElEE10hipError_tPvRmT2_T3_T4_T5_mT6_T7_P12ihipStream_tbENKUlT_T0_E_clISt17integral_constantIbLb0EESX_EEDaSS_ST_EUlSS_E_NS1_11comp_targetILNS1_3genE0ELNS1_11target_archE4294967295ELNS1_3gpuE0ELNS1_3repE0EEENS1_30default_config_static_selectorELNS0_4arch9wavefront6targetE1EEEvT1_
                                        ; -- End function
	.set _ZN7rocprim17ROCPRIM_400000_NS6detail17trampoline_kernelINS0_14default_configENS1_27scan_by_key_config_selectorIllEEZZNS1_16scan_by_key_implILNS1_25lookback_scan_determinismE0ELb0ES3_PKlN6hipcub16HIPCUB_304000_NS21ConstantInputIteratorIllEEPllNSB_3SumENSB_8EqualityElEE10hipError_tPvRmT2_T3_T4_T5_mT6_T7_P12ihipStream_tbENKUlT_T0_E_clISt17integral_constantIbLb0EESX_EEDaSS_ST_EUlSS_E_NS1_11comp_targetILNS1_3genE0ELNS1_11target_archE4294967295ELNS1_3gpuE0ELNS1_3repE0EEENS1_30default_config_static_selectorELNS0_4arch9wavefront6targetE1EEEvT1_.num_vgpr, 110
	.set _ZN7rocprim17ROCPRIM_400000_NS6detail17trampoline_kernelINS0_14default_configENS1_27scan_by_key_config_selectorIllEEZZNS1_16scan_by_key_implILNS1_25lookback_scan_determinismE0ELb0ES3_PKlN6hipcub16HIPCUB_304000_NS21ConstantInputIteratorIllEEPllNSB_3SumENSB_8EqualityElEE10hipError_tPvRmT2_T3_T4_T5_mT6_T7_P12ihipStream_tbENKUlT_T0_E_clISt17integral_constantIbLb0EESX_EEDaSS_ST_EUlSS_E_NS1_11comp_targetILNS1_3genE0ELNS1_11target_archE4294967295ELNS1_3gpuE0ELNS1_3repE0EEENS1_30default_config_static_selectorELNS0_4arch9wavefront6targetE1EEEvT1_.num_agpr, 0
	.set _ZN7rocprim17ROCPRIM_400000_NS6detail17trampoline_kernelINS0_14default_configENS1_27scan_by_key_config_selectorIllEEZZNS1_16scan_by_key_implILNS1_25lookback_scan_determinismE0ELb0ES3_PKlN6hipcub16HIPCUB_304000_NS21ConstantInputIteratorIllEEPllNSB_3SumENSB_8EqualityElEE10hipError_tPvRmT2_T3_T4_T5_mT6_T7_P12ihipStream_tbENKUlT_T0_E_clISt17integral_constantIbLb0EESX_EEDaSS_ST_EUlSS_E_NS1_11comp_targetILNS1_3genE0ELNS1_11target_archE4294967295ELNS1_3gpuE0ELNS1_3repE0EEENS1_30default_config_static_selectorELNS0_4arch9wavefront6targetE1EEEvT1_.numbered_sgpr, 68
	.set _ZN7rocprim17ROCPRIM_400000_NS6detail17trampoline_kernelINS0_14default_configENS1_27scan_by_key_config_selectorIllEEZZNS1_16scan_by_key_implILNS1_25lookback_scan_determinismE0ELb0ES3_PKlN6hipcub16HIPCUB_304000_NS21ConstantInputIteratorIllEEPllNSB_3SumENSB_8EqualityElEE10hipError_tPvRmT2_T3_T4_T5_mT6_T7_P12ihipStream_tbENKUlT_T0_E_clISt17integral_constantIbLb0EESX_EEDaSS_ST_EUlSS_E_NS1_11comp_targetILNS1_3genE0ELNS1_11target_archE4294967295ELNS1_3gpuE0ELNS1_3repE0EEENS1_30default_config_static_selectorELNS0_4arch9wavefront6targetE1EEEvT1_.num_named_barrier, 0
	.set _ZN7rocprim17ROCPRIM_400000_NS6detail17trampoline_kernelINS0_14default_configENS1_27scan_by_key_config_selectorIllEEZZNS1_16scan_by_key_implILNS1_25lookback_scan_determinismE0ELb0ES3_PKlN6hipcub16HIPCUB_304000_NS21ConstantInputIteratorIllEEPllNSB_3SumENSB_8EqualityElEE10hipError_tPvRmT2_T3_T4_T5_mT6_T7_P12ihipStream_tbENKUlT_T0_E_clISt17integral_constantIbLb0EESX_EEDaSS_ST_EUlSS_E_NS1_11comp_targetILNS1_3genE0ELNS1_11target_archE4294967295ELNS1_3gpuE0ELNS1_3repE0EEENS1_30default_config_static_selectorELNS0_4arch9wavefront6targetE1EEEvT1_.private_seg_size, 0
	.set _ZN7rocprim17ROCPRIM_400000_NS6detail17trampoline_kernelINS0_14default_configENS1_27scan_by_key_config_selectorIllEEZZNS1_16scan_by_key_implILNS1_25lookback_scan_determinismE0ELb0ES3_PKlN6hipcub16HIPCUB_304000_NS21ConstantInputIteratorIllEEPllNSB_3SumENSB_8EqualityElEE10hipError_tPvRmT2_T3_T4_T5_mT6_T7_P12ihipStream_tbENKUlT_T0_E_clISt17integral_constantIbLb0EESX_EEDaSS_ST_EUlSS_E_NS1_11comp_targetILNS1_3genE0ELNS1_11target_archE4294967295ELNS1_3gpuE0ELNS1_3repE0EEENS1_30default_config_static_selectorELNS0_4arch9wavefront6targetE1EEEvT1_.uses_vcc, 1
	.set _ZN7rocprim17ROCPRIM_400000_NS6detail17trampoline_kernelINS0_14default_configENS1_27scan_by_key_config_selectorIllEEZZNS1_16scan_by_key_implILNS1_25lookback_scan_determinismE0ELb0ES3_PKlN6hipcub16HIPCUB_304000_NS21ConstantInputIteratorIllEEPllNSB_3SumENSB_8EqualityElEE10hipError_tPvRmT2_T3_T4_T5_mT6_T7_P12ihipStream_tbENKUlT_T0_E_clISt17integral_constantIbLb0EESX_EEDaSS_ST_EUlSS_E_NS1_11comp_targetILNS1_3genE0ELNS1_11target_archE4294967295ELNS1_3gpuE0ELNS1_3repE0EEENS1_30default_config_static_selectorELNS0_4arch9wavefront6targetE1EEEvT1_.uses_flat_scratch, 0
	.set _ZN7rocprim17ROCPRIM_400000_NS6detail17trampoline_kernelINS0_14default_configENS1_27scan_by_key_config_selectorIllEEZZNS1_16scan_by_key_implILNS1_25lookback_scan_determinismE0ELb0ES3_PKlN6hipcub16HIPCUB_304000_NS21ConstantInputIteratorIllEEPllNSB_3SumENSB_8EqualityElEE10hipError_tPvRmT2_T3_T4_T5_mT6_T7_P12ihipStream_tbENKUlT_T0_E_clISt17integral_constantIbLb0EESX_EEDaSS_ST_EUlSS_E_NS1_11comp_targetILNS1_3genE0ELNS1_11target_archE4294967295ELNS1_3gpuE0ELNS1_3repE0EEENS1_30default_config_static_selectorELNS0_4arch9wavefront6targetE1EEEvT1_.has_dyn_sized_stack, 0
	.set _ZN7rocprim17ROCPRIM_400000_NS6detail17trampoline_kernelINS0_14default_configENS1_27scan_by_key_config_selectorIllEEZZNS1_16scan_by_key_implILNS1_25lookback_scan_determinismE0ELb0ES3_PKlN6hipcub16HIPCUB_304000_NS21ConstantInputIteratorIllEEPllNSB_3SumENSB_8EqualityElEE10hipError_tPvRmT2_T3_T4_T5_mT6_T7_P12ihipStream_tbENKUlT_T0_E_clISt17integral_constantIbLb0EESX_EEDaSS_ST_EUlSS_E_NS1_11comp_targetILNS1_3genE0ELNS1_11target_archE4294967295ELNS1_3gpuE0ELNS1_3repE0EEENS1_30default_config_static_selectorELNS0_4arch9wavefront6targetE1EEEvT1_.has_recursion, 0
	.set _ZN7rocprim17ROCPRIM_400000_NS6detail17trampoline_kernelINS0_14default_configENS1_27scan_by_key_config_selectorIllEEZZNS1_16scan_by_key_implILNS1_25lookback_scan_determinismE0ELb0ES3_PKlN6hipcub16HIPCUB_304000_NS21ConstantInputIteratorIllEEPllNSB_3SumENSB_8EqualityElEE10hipError_tPvRmT2_T3_T4_T5_mT6_T7_P12ihipStream_tbENKUlT_T0_E_clISt17integral_constantIbLb0EESX_EEDaSS_ST_EUlSS_E_NS1_11comp_targetILNS1_3genE0ELNS1_11target_archE4294967295ELNS1_3gpuE0ELNS1_3repE0EEENS1_30default_config_static_selectorELNS0_4arch9wavefront6targetE1EEEvT1_.has_indirect_call, 0
	.section	.AMDGPU.csdata,"",@progbits
; Kernel info:
; codeLenInByte = 13616
; TotalNumSgprs: 74
; NumVgprs: 110
; NumAgprs: 0
; TotalNumVgprs: 110
; ScratchSize: 0
; MemoryBound: 0
; FloatMode: 240
; IeeeMode: 1
; LDSByteSize: 32768 bytes/workgroup (compile time only)
; SGPRBlocks: 12
; VGPRBlocks: 13
; NumSGPRsForWavesPerEU: 102
; NumVGPRsForWavesPerEU: 110
; AccumOffset: 112
; Occupancy: 4
; WaveLimiterHint : 1
; COMPUTE_PGM_RSRC2:SCRATCH_EN: 0
; COMPUTE_PGM_RSRC2:USER_SGPR: 2
; COMPUTE_PGM_RSRC2:TRAP_HANDLER: 0
; COMPUTE_PGM_RSRC2:TGID_X_EN: 1
; COMPUTE_PGM_RSRC2:TGID_Y_EN: 0
; COMPUTE_PGM_RSRC2:TGID_Z_EN: 0
; COMPUTE_PGM_RSRC2:TIDIG_COMP_CNT: 0
; COMPUTE_PGM_RSRC3_GFX90A:ACCUM_OFFSET: 27
; COMPUTE_PGM_RSRC3_GFX90A:TG_SPLIT: 0
	.section	.text._ZN7rocprim17ROCPRIM_400000_NS6detail17trampoline_kernelINS0_14default_configENS1_27scan_by_key_config_selectorIllEEZZNS1_16scan_by_key_implILNS1_25lookback_scan_determinismE0ELb0ES3_PKlN6hipcub16HIPCUB_304000_NS21ConstantInputIteratorIllEEPllNSB_3SumENSB_8EqualityElEE10hipError_tPvRmT2_T3_T4_T5_mT6_T7_P12ihipStream_tbENKUlT_T0_E_clISt17integral_constantIbLb0EESX_EEDaSS_ST_EUlSS_E_NS1_11comp_targetILNS1_3genE10ELNS1_11target_archE1201ELNS1_3gpuE5ELNS1_3repE0EEENS1_30default_config_static_selectorELNS0_4arch9wavefront6targetE1EEEvT1_,"axG",@progbits,_ZN7rocprim17ROCPRIM_400000_NS6detail17trampoline_kernelINS0_14default_configENS1_27scan_by_key_config_selectorIllEEZZNS1_16scan_by_key_implILNS1_25lookback_scan_determinismE0ELb0ES3_PKlN6hipcub16HIPCUB_304000_NS21ConstantInputIteratorIllEEPllNSB_3SumENSB_8EqualityElEE10hipError_tPvRmT2_T3_T4_T5_mT6_T7_P12ihipStream_tbENKUlT_T0_E_clISt17integral_constantIbLb0EESX_EEDaSS_ST_EUlSS_E_NS1_11comp_targetILNS1_3genE10ELNS1_11target_archE1201ELNS1_3gpuE5ELNS1_3repE0EEENS1_30default_config_static_selectorELNS0_4arch9wavefront6targetE1EEEvT1_,comdat
	.protected	_ZN7rocprim17ROCPRIM_400000_NS6detail17trampoline_kernelINS0_14default_configENS1_27scan_by_key_config_selectorIllEEZZNS1_16scan_by_key_implILNS1_25lookback_scan_determinismE0ELb0ES3_PKlN6hipcub16HIPCUB_304000_NS21ConstantInputIteratorIllEEPllNSB_3SumENSB_8EqualityElEE10hipError_tPvRmT2_T3_T4_T5_mT6_T7_P12ihipStream_tbENKUlT_T0_E_clISt17integral_constantIbLb0EESX_EEDaSS_ST_EUlSS_E_NS1_11comp_targetILNS1_3genE10ELNS1_11target_archE1201ELNS1_3gpuE5ELNS1_3repE0EEENS1_30default_config_static_selectorELNS0_4arch9wavefront6targetE1EEEvT1_ ; -- Begin function _ZN7rocprim17ROCPRIM_400000_NS6detail17trampoline_kernelINS0_14default_configENS1_27scan_by_key_config_selectorIllEEZZNS1_16scan_by_key_implILNS1_25lookback_scan_determinismE0ELb0ES3_PKlN6hipcub16HIPCUB_304000_NS21ConstantInputIteratorIllEEPllNSB_3SumENSB_8EqualityElEE10hipError_tPvRmT2_T3_T4_T5_mT6_T7_P12ihipStream_tbENKUlT_T0_E_clISt17integral_constantIbLb0EESX_EEDaSS_ST_EUlSS_E_NS1_11comp_targetILNS1_3genE10ELNS1_11target_archE1201ELNS1_3gpuE5ELNS1_3repE0EEENS1_30default_config_static_selectorELNS0_4arch9wavefront6targetE1EEEvT1_
	.globl	_ZN7rocprim17ROCPRIM_400000_NS6detail17trampoline_kernelINS0_14default_configENS1_27scan_by_key_config_selectorIllEEZZNS1_16scan_by_key_implILNS1_25lookback_scan_determinismE0ELb0ES3_PKlN6hipcub16HIPCUB_304000_NS21ConstantInputIteratorIllEEPllNSB_3SumENSB_8EqualityElEE10hipError_tPvRmT2_T3_T4_T5_mT6_T7_P12ihipStream_tbENKUlT_T0_E_clISt17integral_constantIbLb0EESX_EEDaSS_ST_EUlSS_E_NS1_11comp_targetILNS1_3genE10ELNS1_11target_archE1201ELNS1_3gpuE5ELNS1_3repE0EEENS1_30default_config_static_selectorELNS0_4arch9wavefront6targetE1EEEvT1_
	.p2align	8
	.type	_ZN7rocprim17ROCPRIM_400000_NS6detail17trampoline_kernelINS0_14default_configENS1_27scan_by_key_config_selectorIllEEZZNS1_16scan_by_key_implILNS1_25lookback_scan_determinismE0ELb0ES3_PKlN6hipcub16HIPCUB_304000_NS21ConstantInputIteratorIllEEPllNSB_3SumENSB_8EqualityElEE10hipError_tPvRmT2_T3_T4_T5_mT6_T7_P12ihipStream_tbENKUlT_T0_E_clISt17integral_constantIbLb0EESX_EEDaSS_ST_EUlSS_E_NS1_11comp_targetILNS1_3genE10ELNS1_11target_archE1201ELNS1_3gpuE5ELNS1_3repE0EEENS1_30default_config_static_selectorELNS0_4arch9wavefront6targetE1EEEvT1_,@function
_ZN7rocprim17ROCPRIM_400000_NS6detail17trampoline_kernelINS0_14default_configENS1_27scan_by_key_config_selectorIllEEZZNS1_16scan_by_key_implILNS1_25lookback_scan_determinismE0ELb0ES3_PKlN6hipcub16HIPCUB_304000_NS21ConstantInputIteratorIllEEPllNSB_3SumENSB_8EqualityElEE10hipError_tPvRmT2_T3_T4_T5_mT6_T7_P12ihipStream_tbENKUlT_T0_E_clISt17integral_constantIbLb0EESX_EEDaSS_ST_EUlSS_E_NS1_11comp_targetILNS1_3genE10ELNS1_11target_archE1201ELNS1_3gpuE5ELNS1_3repE0EEENS1_30default_config_static_selectorELNS0_4arch9wavefront6targetE1EEEvT1_: ; @_ZN7rocprim17ROCPRIM_400000_NS6detail17trampoline_kernelINS0_14default_configENS1_27scan_by_key_config_selectorIllEEZZNS1_16scan_by_key_implILNS1_25lookback_scan_determinismE0ELb0ES3_PKlN6hipcub16HIPCUB_304000_NS21ConstantInputIteratorIllEEPllNSB_3SumENSB_8EqualityElEE10hipError_tPvRmT2_T3_T4_T5_mT6_T7_P12ihipStream_tbENKUlT_T0_E_clISt17integral_constantIbLb0EESX_EEDaSS_ST_EUlSS_E_NS1_11comp_targetILNS1_3genE10ELNS1_11target_archE1201ELNS1_3gpuE5ELNS1_3repE0EEENS1_30default_config_static_selectorELNS0_4arch9wavefront6targetE1EEEvT1_
; %bb.0:
	.section	.rodata,"a",@progbits
	.p2align	6, 0x0
	.amdhsa_kernel _ZN7rocprim17ROCPRIM_400000_NS6detail17trampoline_kernelINS0_14default_configENS1_27scan_by_key_config_selectorIllEEZZNS1_16scan_by_key_implILNS1_25lookback_scan_determinismE0ELb0ES3_PKlN6hipcub16HIPCUB_304000_NS21ConstantInputIteratorIllEEPllNSB_3SumENSB_8EqualityElEE10hipError_tPvRmT2_T3_T4_T5_mT6_T7_P12ihipStream_tbENKUlT_T0_E_clISt17integral_constantIbLb0EESX_EEDaSS_ST_EUlSS_E_NS1_11comp_targetILNS1_3genE10ELNS1_11target_archE1201ELNS1_3gpuE5ELNS1_3repE0EEENS1_30default_config_static_selectorELNS0_4arch9wavefront6targetE1EEEvT1_
		.amdhsa_group_segment_fixed_size 0
		.amdhsa_private_segment_fixed_size 0
		.amdhsa_kernarg_size 144
		.amdhsa_user_sgpr_count 2
		.amdhsa_user_sgpr_dispatch_ptr 0
		.amdhsa_user_sgpr_queue_ptr 0
		.amdhsa_user_sgpr_kernarg_segment_ptr 1
		.amdhsa_user_sgpr_dispatch_id 0
		.amdhsa_user_sgpr_kernarg_preload_length 0
		.amdhsa_user_sgpr_kernarg_preload_offset 0
		.amdhsa_user_sgpr_private_segment_size 0
		.amdhsa_uses_dynamic_stack 0
		.amdhsa_enable_private_segment 0
		.amdhsa_system_sgpr_workgroup_id_x 1
		.amdhsa_system_sgpr_workgroup_id_y 0
		.amdhsa_system_sgpr_workgroup_id_z 0
		.amdhsa_system_sgpr_workgroup_info 0
		.amdhsa_system_vgpr_workitem_id 0
		.amdhsa_next_free_vgpr 1
		.amdhsa_next_free_sgpr 0
		.amdhsa_accum_offset 4
		.amdhsa_reserve_vcc 0
		.amdhsa_float_round_mode_32 0
		.amdhsa_float_round_mode_16_64 0
		.amdhsa_float_denorm_mode_32 3
		.amdhsa_float_denorm_mode_16_64 3
		.amdhsa_dx10_clamp 1
		.amdhsa_ieee_mode 1
		.amdhsa_fp16_overflow 0
		.amdhsa_tg_split 0
		.amdhsa_exception_fp_ieee_invalid_op 0
		.amdhsa_exception_fp_denorm_src 0
		.amdhsa_exception_fp_ieee_div_zero 0
		.amdhsa_exception_fp_ieee_overflow 0
		.amdhsa_exception_fp_ieee_underflow 0
		.amdhsa_exception_fp_ieee_inexact 0
		.amdhsa_exception_int_div_zero 0
	.end_amdhsa_kernel
	.section	.text._ZN7rocprim17ROCPRIM_400000_NS6detail17trampoline_kernelINS0_14default_configENS1_27scan_by_key_config_selectorIllEEZZNS1_16scan_by_key_implILNS1_25lookback_scan_determinismE0ELb0ES3_PKlN6hipcub16HIPCUB_304000_NS21ConstantInputIteratorIllEEPllNSB_3SumENSB_8EqualityElEE10hipError_tPvRmT2_T3_T4_T5_mT6_T7_P12ihipStream_tbENKUlT_T0_E_clISt17integral_constantIbLb0EESX_EEDaSS_ST_EUlSS_E_NS1_11comp_targetILNS1_3genE10ELNS1_11target_archE1201ELNS1_3gpuE5ELNS1_3repE0EEENS1_30default_config_static_selectorELNS0_4arch9wavefront6targetE1EEEvT1_,"axG",@progbits,_ZN7rocprim17ROCPRIM_400000_NS6detail17trampoline_kernelINS0_14default_configENS1_27scan_by_key_config_selectorIllEEZZNS1_16scan_by_key_implILNS1_25lookback_scan_determinismE0ELb0ES3_PKlN6hipcub16HIPCUB_304000_NS21ConstantInputIteratorIllEEPllNSB_3SumENSB_8EqualityElEE10hipError_tPvRmT2_T3_T4_T5_mT6_T7_P12ihipStream_tbENKUlT_T0_E_clISt17integral_constantIbLb0EESX_EEDaSS_ST_EUlSS_E_NS1_11comp_targetILNS1_3genE10ELNS1_11target_archE1201ELNS1_3gpuE5ELNS1_3repE0EEENS1_30default_config_static_selectorELNS0_4arch9wavefront6targetE1EEEvT1_,comdat
.Lfunc_end95:
	.size	_ZN7rocprim17ROCPRIM_400000_NS6detail17trampoline_kernelINS0_14default_configENS1_27scan_by_key_config_selectorIllEEZZNS1_16scan_by_key_implILNS1_25lookback_scan_determinismE0ELb0ES3_PKlN6hipcub16HIPCUB_304000_NS21ConstantInputIteratorIllEEPllNSB_3SumENSB_8EqualityElEE10hipError_tPvRmT2_T3_T4_T5_mT6_T7_P12ihipStream_tbENKUlT_T0_E_clISt17integral_constantIbLb0EESX_EEDaSS_ST_EUlSS_E_NS1_11comp_targetILNS1_3genE10ELNS1_11target_archE1201ELNS1_3gpuE5ELNS1_3repE0EEENS1_30default_config_static_selectorELNS0_4arch9wavefront6targetE1EEEvT1_, .Lfunc_end95-_ZN7rocprim17ROCPRIM_400000_NS6detail17trampoline_kernelINS0_14default_configENS1_27scan_by_key_config_selectorIllEEZZNS1_16scan_by_key_implILNS1_25lookback_scan_determinismE0ELb0ES3_PKlN6hipcub16HIPCUB_304000_NS21ConstantInputIteratorIllEEPllNSB_3SumENSB_8EqualityElEE10hipError_tPvRmT2_T3_T4_T5_mT6_T7_P12ihipStream_tbENKUlT_T0_E_clISt17integral_constantIbLb0EESX_EEDaSS_ST_EUlSS_E_NS1_11comp_targetILNS1_3genE10ELNS1_11target_archE1201ELNS1_3gpuE5ELNS1_3repE0EEENS1_30default_config_static_selectorELNS0_4arch9wavefront6targetE1EEEvT1_
                                        ; -- End function
	.set _ZN7rocprim17ROCPRIM_400000_NS6detail17trampoline_kernelINS0_14default_configENS1_27scan_by_key_config_selectorIllEEZZNS1_16scan_by_key_implILNS1_25lookback_scan_determinismE0ELb0ES3_PKlN6hipcub16HIPCUB_304000_NS21ConstantInputIteratorIllEEPllNSB_3SumENSB_8EqualityElEE10hipError_tPvRmT2_T3_T4_T5_mT6_T7_P12ihipStream_tbENKUlT_T0_E_clISt17integral_constantIbLb0EESX_EEDaSS_ST_EUlSS_E_NS1_11comp_targetILNS1_3genE10ELNS1_11target_archE1201ELNS1_3gpuE5ELNS1_3repE0EEENS1_30default_config_static_selectorELNS0_4arch9wavefront6targetE1EEEvT1_.num_vgpr, 0
	.set _ZN7rocprim17ROCPRIM_400000_NS6detail17trampoline_kernelINS0_14default_configENS1_27scan_by_key_config_selectorIllEEZZNS1_16scan_by_key_implILNS1_25lookback_scan_determinismE0ELb0ES3_PKlN6hipcub16HIPCUB_304000_NS21ConstantInputIteratorIllEEPllNSB_3SumENSB_8EqualityElEE10hipError_tPvRmT2_T3_T4_T5_mT6_T7_P12ihipStream_tbENKUlT_T0_E_clISt17integral_constantIbLb0EESX_EEDaSS_ST_EUlSS_E_NS1_11comp_targetILNS1_3genE10ELNS1_11target_archE1201ELNS1_3gpuE5ELNS1_3repE0EEENS1_30default_config_static_selectorELNS0_4arch9wavefront6targetE1EEEvT1_.num_agpr, 0
	.set _ZN7rocprim17ROCPRIM_400000_NS6detail17trampoline_kernelINS0_14default_configENS1_27scan_by_key_config_selectorIllEEZZNS1_16scan_by_key_implILNS1_25lookback_scan_determinismE0ELb0ES3_PKlN6hipcub16HIPCUB_304000_NS21ConstantInputIteratorIllEEPllNSB_3SumENSB_8EqualityElEE10hipError_tPvRmT2_T3_T4_T5_mT6_T7_P12ihipStream_tbENKUlT_T0_E_clISt17integral_constantIbLb0EESX_EEDaSS_ST_EUlSS_E_NS1_11comp_targetILNS1_3genE10ELNS1_11target_archE1201ELNS1_3gpuE5ELNS1_3repE0EEENS1_30default_config_static_selectorELNS0_4arch9wavefront6targetE1EEEvT1_.numbered_sgpr, 0
	.set _ZN7rocprim17ROCPRIM_400000_NS6detail17trampoline_kernelINS0_14default_configENS1_27scan_by_key_config_selectorIllEEZZNS1_16scan_by_key_implILNS1_25lookback_scan_determinismE0ELb0ES3_PKlN6hipcub16HIPCUB_304000_NS21ConstantInputIteratorIllEEPllNSB_3SumENSB_8EqualityElEE10hipError_tPvRmT2_T3_T4_T5_mT6_T7_P12ihipStream_tbENKUlT_T0_E_clISt17integral_constantIbLb0EESX_EEDaSS_ST_EUlSS_E_NS1_11comp_targetILNS1_3genE10ELNS1_11target_archE1201ELNS1_3gpuE5ELNS1_3repE0EEENS1_30default_config_static_selectorELNS0_4arch9wavefront6targetE1EEEvT1_.num_named_barrier, 0
	.set _ZN7rocprim17ROCPRIM_400000_NS6detail17trampoline_kernelINS0_14default_configENS1_27scan_by_key_config_selectorIllEEZZNS1_16scan_by_key_implILNS1_25lookback_scan_determinismE0ELb0ES3_PKlN6hipcub16HIPCUB_304000_NS21ConstantInputIteratorIllEEPllNSB_3SumENSB_8EqualityElEE10hipError_tPvRmT2_T3_T4_T5_mT6_T7_P12ihipStream_tbENKUlT_T0_E_clISt17integral_constantIbLb0EESX_EEDaSS_ST_EUlSS_E_NS1_11comp_targetILNS1_3genE10ELNS1_11target_archE1201ELNS1_3gpuE5ELNS1_3repE0EEENS1_30default_config_static_selectorELNS0_4arch9wavefront6targetE1EEEvT1_.private_seg_size, 0
	.set _ZN7rocprim17ROCPRIM_400000_NS6detail17trampoline_kernelINS0_14default_configENS1_27scan_by_key_config_selectorIllEEZZNS1_16scan_by_key_implILNS1_25lookback_scan_determinismE0ELb0ES3_PKlN6hipcub16HIPCUB_304000_NS21ConstantInputIteratorIllEEPllNSB_3SumENSB_8EqualityElEE10hipError_tPvRmT2_T3_T4_T5_mT6_T7_P12ihipStream_tbENKUlT_T0_E_clISt17integral_constantIbLb0EESX_EEDaSS_ST_EUlSS_E_NS1_11comp_targetILNS1_3genE10ELNS1_11target_archE1201ELNS1_3gpuE5ELNS1_3repE0EEENS1_30default_config_static_selectorELNS0_4arch9wavefront6targetE1EEEvT1_.uses_vcc, 0
	.set _ZN7rocprim17ROCPRIM_400000_NS6detail17trampoline_kernelINS0_14default_configENS1_27scan_by_key_config_selectorIllEEZZNS1_16scan_by_key_implILNS1_25lookback_scan_determinismE0ELb0ES3_PKlN6hipcub16HIPCUB_304000_NS21ConstantInputIteratorIllEEPllNSB_3SumENSB_8EqualityElEE10hipError_tPvRmT2_T3_T4_T5_mT6_T7_P12ihipStream_tbENKUlT_T0_E_clISt17integral_constantIbLb0EESX_EEDaSS_ST_EUlSS_E_NS1_11comp_targetILNS1_3genE10ELNS1_11target_archE1201ELNS1_3gpuE5ELNS1_3repE0EEENS1_30default_config_static_selectorELNS0_4arch9wavefront6targetE1EEEvT1_.uses_flat_scratch, 0
	.set _ZN7rocprim17ROCPRIM_400000_NS6detail17trampoline_kernelINS0_14default_configENS1_27scan_by_key_config_selectorIllEEZZNS1_16scan_by_key_implILNS1_25lookback_scan_determinismE0ELb0ES3_PKlN6hipcub16HIPCUB_304000_NS21ConstantInputIteratorIllEEPllNSB_3SumENSB_8EqualityElEE10hipError_tPvRmT2_T3_T4_T5_mT6_T7_P12ihipStream_tbENKUlT_T0_E_clISt17integral_constantIbLb0EESX_EEDaSS_ST_EUlSS_E_NS1_11comp_targetILNS1_3genE10ELNS1_11target_archE1201ELNS1_3gpuE5ELNS1_3repE0EEENS1_30default_config_static_selectorELNS0_4arch9wavefront6targetE1EEEvT1_.has_dyn_sized_stack, 0
	.set _ZN7rocprim17ROCPRIM_400000_NS6detail17trampoline_kernelINS0_14default_configENS1_27scan_by_key_config_selectorIllEEZZNS1_16scan_by_key_implILNS1_25lookback_scan_determinismE0ELb0ES3_PKlN6hipcub16HIPCUB_304000_NS21ConstantInputIteratorIllEEPllNSB_3SumENSB_8EqualityElEE10hipError_tPvRmT2_T3_T4_T5_mT6_T7_P12ihipStream_tbENKUlT_T0_E_clISt17integral_constantIbLb0EESX_EEDaSS_ST_EUlSS_E_NS1_11comp_targetILNS1_3genE10ELNS1_11target_archE1201ELNS1_3gpuE5ELNS1_3repE0EEENS1_30default_config_static_selectorELNS0_4arch9wavefront6targetE1EEEvT1_.has_recursion, 0
	.set _ZN7rocprim17ROCPRIM_400000_NS6detail17trampoline_kernelINS0_14default_configENS1_27scan_by_key_config_selectorIllEEZZNS1_16scan_by_key_implILNS1_25lookback_scan_determinismE0ELb0ES3_PKlN6hipcub16HIPCUB_304000_NS21ConstantInputIteratorIllEEPllNSB_3SumENSB_8EqualityElEE10hipError_tPvRmT2_T3_T4_T5_mT6_T7_P12ihipStream_tbENKUlT_T0_E_clISt17integral_constantIbLb0EESX_EEDaSS_ST_EUlSS_E_NS1_11comp_targetILNS1_3genE10ELNS1_11target_archE1201ELNS1_3gpuE5ELNS1_3repE0EEENS1_30default_config_static_selectorELNS0_4arch9wavefront6targetE1EEEvT1_.has_indirect_call, 0
	.section	.AMDGPU.csdata,"",@progbits
; Kernel info:
; codeLenInByte = 0
; TotalNumSgprs: 6
; NumVgprs: 0
; NumAgprs: 0
; TotalNumVgprs: 0
; ScratchSize: 0
; MemoryBound: 0
; FloatMode: 240
; IeeeMode: 1
; LDSByteSize: 0 bytes/workgroup (compile time only)
; SGPRBlocks: 0
; VGPRBlocks: 0
; NumSGPRsForWavesPerEU: 6
; NumVGPRsForWavesPerEU: 1
; AccumOffset: 4
; Occupancy: 8
; WaveLimiterHint : 0
; COMPUTE_PGM_RSRC2:SCRATCH_EN: 0
; COMPUTE_PGM_RSRC2:USER_SGPR: 2
; COMPUTE_PGM_RSRC2:TRAP_HANDLER: 0
; COMPUTE_PGM_RSRC2:TGID_X_EN: 1
; COMPUTE_PGM_RSRC2:TGID_Y_EN: 0
; COMPUTE_PGM_RSRC2:TGID_Z_EN: 0
; COMPUTE_PGM_RSRC2:TIDIG_COMP_CNT: 0
; COMPUTE_PGM_RSRC3_GFX90A:ACCUM_OFFSET: 0
; COMPUTE_PGM_RSRC3_GFX90A:TG_SPLIT: 0
	.section	.text._ZN7rocprim17ROCPRIM_400000_NS6detail17trampoline_kernelINS0_14default_configENS1_27scan_by_key_config_selectorIllEEZZNS1_16scan_by_key_implILNS1_25lookback_scan_determinismE0ELb0ES3_PKlN6hipcub16HIPCUB_304000_NS21ConstantInputIteratorIllEEPllNSB_3SumENSB_8EqualityElEE10hipError_tPvRmT2_T3_T4_T5_mT6_T7_P12ihipStream_tbENKUlT_T0_E_clISt17integral_constantIbLb0EESX_EEDaSS_ST_EUlSS_E_NS1_11comp_targetILNS1_3genE5ELNS1_11target_archE942ELNS1_3gpuE9ELNS1_3repE0EEENS1_30default_config_static_selectorELNS0_4arch9wavefront6targetE1EEEvT1_,"axG",@progbits,_ZN7rocprim17ROCPRIM_400000_NS6detail17trampoline_kernelINS0_14default_configENS1_27scan_by_key_config_selectorIllEEZZNS1_16scan_by_key_implILNS1_25lookback_scan_determinismE0ELb0ES3_PKlN6hipcub16HIPCUB_304000_NS21ConstantInputIteratorIllEEPllNSB_3SumENSB_8EqualityElEE10hipError_tPvRmT2_T3_T4_T5_mT6_T7_P12ihipStream_tbENKUlT_T0_E_clISt17integral_constantIbLb0EESX_EEDaSS_ST_EUlSS_E_NS1_11comp_targetILNS1_3genE5ELNS1_11target_archE942ELNS1_3gpuE9ELNS1_3repE0EEENS1_30default_config_static_selectorELNS0_4arch9wavefront6targetE1EEEvT1_,comdat
	.protected	_ZN7rocprim17ROCPRIM_400000_NS6detail17trampoline_kernelINS0_14default_configENS1_27scan_by_key_config_selectorIllEEZZNS1_16scan_by_key_implILNS1_25lookback_scan_determinismE0ELb0ES3_PKlN6hipcub16HIPCUB_304000_NS21ConstantInputIteratorIllEEPllNSB_3SumENSB_8EqualityElEE10hipError_tPvRmT2_T3_T4_T5_mT6_T7_P12ihipStream_tbENKUlT_T0_E_clISt17integral_constantIbLb0EESX_EEDaSS_ST_EUlSS_E_NS1_11comp_targetILNS1_3genE5ELNS1_11target_archE942ELNS1_3gpuE9ELNS1_3repE0EEENS1_30default_config_static_selectorELNS0_4arch9wavefront6targetE1EEEvT1_ ; -- Begin function _ZN7rocprim17ROCPRIM_400000_NS6detail17trampoline_kernelINS0_14default_configENS1_27scan_by_key_config_selectorIllEEZZNS1_16scan_by_key_implILNS1_25lookback_scan_determinismE0ELb0ES3_PKlN6hipcub16HIPCUB_304000_NS21ConstantInputIteratorIllEEPllNSB_3SumENSB_8EqualityElEE10hipError_tPvRmT2_T3_T4_T5_mT6_T7_P12ihipStream_tbENKUlT_T0_E_clISt17integral_constantIbLb0EESX_EEDaSS_ST_EUlSS_E_NS1_11comp_targetILNS1_3genE5ELNS1_11target_archE942ELNS1_3gpuE9ELNS1_3repE0EEENS1_30default_config_static_selectorELNS0_4arch9wavefront6targetE1EEEvT1_
	.globl	_ZN7rocprim17ROCPRIM_400000_NS6detail17trampoline_kernelINS0_14default_configENS1_27scan_by_key_config_selectorIllEEZZNS1_16scan_by_key_implILNS1_25lookback_scan_determinismE0ELb0ES3_PKlN6hipcub16HIPCUB_304000_NS21ConstantInputIteratorIllEEPllNSB_3SumENSB_8EqualityElEE10hipError_tPvRmT2_T3_T4_T5_mT6_T7_P12ihipStream_tbENKUlT_T0_E_clISt17integral_constantIbLb0EESX_EEDaSS_ST_EUlSS_E_NS1_11comp_targetILNS1_3genE5ELNS1_11target_archE942ELNS1_3gpuE9ELNS1_3repE0EEENS1_30default_config_static_selectorELNS0_4arch9wavefront6targetE1EEEvT1_
	.p2align	8
	.type	_ZN7rocprim17ROCPRIM_400000_NS6detail17trampoline_kernelINS0_14default_configENS1_27scan_by_key_config_selectorIllEEZZNS1_16scan_by_key_implILNS1_25lookback_scan_determinismE0ELb0ES3_PKlN6hipcub16HIPCUB_304000_NS21ConstantInputIteratorIllEEPllNSB_3SumENSB_8EqualityElEE10hipError_tPvRmT2_T3_T4_T5_mT6_T7_P12ihipStream_tbENKUlT_T0_E_clISt17integral_constantIbLb0EESX_EEDaSS_ST_EUlSS_E_NS1_11comp_targetILNS1_3genE5ELNS1_11target_archE942ELNS1_3gpuE9ELNS1_3repE0EEENS1_30default_config_static_selectorELNS0_4arch9wavefront6targetE1EEEvT1_,@function
_ZN7rocprim17ROCPRIM_400000_NS6detail17trampoline_kernelINS0_14default_configENS1_27scan_by_key_config_selectorIllEEZZNS1_16scan_by_key_implILNS1_25lookback_scan_determinismE0ELb0ES3_PKlN6hipcub16HIPCUB_304000_NS21ConstantInputIteratorIllEEPllNSB_3SumENSB_8EqualityElEE10hipError_tPvRmT2_T3_T4_T5_mT6_T7_P12ihipStream_tbENKUlT_T0_E_clISt17integral_constantIbLb0EESX_EEDaSS_ST_EUlSS_E_NS1_11comp_targetILNS1_3genE5ELNS1_11target_archE942ELNS1_3gpuE9ELNS1_3repE0EEENS1_30default_config_static_selectorELNS0_4arch9wavefront6targetE1EEEvT1_: ; @_ZN7rocprim17ROCPRIM_400000_NS6detail17trampoline_kernelINS0_14default_configENS1_27scan_by_key_config_selectorIllEEZZNS1_16scan_by_key_implILNS1_25lookback_scan_determinismE0ELb0ES3_PKlN6hipcub16HIPCUB_304000_NS21ConstantInputIteratorIllEEPllNSB_3SumENSB_8EqualityElEE10hipError_tPvRmT2_T3_T4_T5_mT6_T7_P12ihipStream_tbENKUlT_T0_E_clISt17integral_constantIbLb0EESX_EEDaSS_ST_EUlSS_E_NS1_11comp_targetILNS1_3genE5ELNS1_11target_archE942ELNS1_3gpuE9ELNS1_3repE0EEENS1_30default_config_static_selectorELNS0_4arch9wavefront6targetE1EEEvT1_
; %bb.0:
	.section	.rodata,"a",@progbits
	.p2align	6, 0x0
	.amdhsa_kernel _ZN7rocprim17ROCPRIM_400000_NS6detail17trampoline_kernelINS0_14default_configENS1_27scan_by_key_config_selectorIllEEZZNS1_16scan_by_key_implILNS1_25lookback_scan_determinismE0ELb0ES3_PKlN6hipcub16HIPCUB_304000_NS21ConstantInputIteratorIllEEPllNSB_3SumENSB_8EqualityElEE10hipError_tPvRmT2_T3_T4_T5_mT6_T7_P12ihipStream_tbENKUlT_T0_E_clISt17integral_constantIbLb0EESX_EEDaSS_ST_EUlSS_E_NS1_11comp_targetILNS1_3genE5ELNS1_11target_archE942ELNS1_3gpuE9ELNS1_3repE0EEENS1_30default_config_static_selectorELNS0_4arch9wavefront6targetE1EEEvT1_
		.amdhsa_group_segment_fixed_size 0
		.amdhsa_private_segment_fixed_size 0
		.amdhsa_kernarg_size 144
		.amdhsa_user_sgpr_count 2
		.amdhsa_user_sgpr_dispatch_ptr 0
		.amdhsa_user_sgpr_queue_ptr 0
		.amdhsa_user_sgpr_kernarg_segment_ptr 1
		.amdhsa_user_sgpr_dispatch_id 0
		.amdhsa_user_sgpr_kernarg_preload_length 0
		.amdhsa_user_sgpr_kernarg_preload_offset 0
		.amdhsa_user_sgpr_private_segment_size 0
		.amdhsa_uses_dynamic_stack 0
		.amdhsa_enable_private_segment 0
		.amdhsa_system_sgpr_workgroup_id_x 1
		.amdhsa_system_sgpr_workgroup_id_y 0
		.amdhsa_system_sgpr_workgroup_id_z 0
		.amdhsa_system_sgpr_workgroup_info 0
		.amdhsa_system_vgpr_workitem_id 0
		.amdhsa_next_free_vgpr 1
		.amdhsa_next_free_sgpr 0
		.amdhsa_accum_offset 4
		.amdhsa_reserve_vcc 0
		.amdhsa_float_round_mode_32 0
		.amdhsa_float_round_mode_16_64 0
		.amdhsa_float_denorm_mode_32 3
		.amdhsa_float_denorm_mode_16_64 3
		.amdhsa_dx10_clamp 1
		.amdhsa_ieee_mode 1
		.amdhsa_fp16_overflow 0
		.amdhsa_tg_split 0
		.amdhsa_exception_fp_ieee_invalid_op 0
		.amdhsa_exception_fp_denorm_src 0
		.amdhsa_exception_fp_ieee_div_zero 0
		.amdhsa_exception_fp_ieee_overflow 0
		.amdhsa_exception_fp_ieee_underflow 0
		.amdhsa_exception_fp_ieee_inexact 0
		.amdhsa_exception_int_div_zero 0
	.end_amdhsa_kernel
	.section	.text._ZN7rocprim17ROCPRIM_400000_NS6detail17trampoline_kernelINS0_14default_configENS1_27scan_by_key_config_selectorIllEEZZNS1_16scan_by_key_implILNS1_25lookback_scan_determinismE0ELb0ES3_PKlN6hipcub16HIPCUB_304000_NS21ConstantInputIteratorIllEEPllNSB_3SumENSB_8EqualityElEE10hipError_tPvRmT2_T3_T4_T5_mT6_T7_P12ihipStream_tbENKUlT_T0_E_clISt17integral_constantIbLb0EESX_EEDaSS_ST_EUlSS_E_NS1_11comp_targetILNS1_3genE5ELNS1_11target_archE942ELNS1_3gpuE9ELNS1_3repE0EEENS1_30default_config_static_selectorELNS0_4arch9wavefront6targetE1EEEvT1_,"axG",@progbits,_ZN7rocprim17ROCPRIM_400000_NS6detail17trampoline_kernelINS0_14default_configENS1_27scan_by_key_config_selectorIllEEZZNS1_16scan_by_key_implILNS1_25lookback_scan_determinismE0ELb0ES3_PKlN6hipcub16HIPCUB_304000_NS21ConstantInputIteratorIllEEPllNSB_3SumENSB_8EqualityElEE10hipError_tPvRmT2_T3_T4_T5_mT6_T7_P12ihipStream_tbENKUlT_T0_E_clISt17integral_constantIbLb0EESX_EEDaSS_ST_EUlSS_E_NS1_11comp_targetILNS1_3genE5ELNS1_11target_archE942ELNS1_3gpuE9ELNS1_3repE0EEENS1_30default_config_static_selectorELNS0_4arch9wavefront6targetE1EEEvT1_,comdat
.Lfunc_end96:
	.size	_ZN7rocprim17ROCPRIM_400000_NS6detail17trampoline_kernelINS0_14default_configENS1_27scan_by_key_config_selectorIllEEZZNS1_16scan_by_key_implILNS1_25lookback_scan_determinismE0ELb0ES3_PKlN6hipcub16HIPCUB_304000_NS21ConstantInputIteratorIllEEPllNSB_3SumENSB_8EqualityElEE10hipError_tPvRmT2_T3_T4_T5_mT6_T7_P12ihipStream_tbENKUlT_T0_E_clISt17integral_constantIbLb0EESX_EEDaSS_ST_EUlSS_E_NS1_11comp_targetILNS1_3genE5ELNS1_11target_archE942ELNS1_3gpuE9ELNS1_3repE0EEENS1_30default_config_static_selectorELNS0_4arch9wavefront6targetE1EEEvT1_, .Lfunc_end96-_ZN7rocprim17ROCPRIM_400000_NS6detail17trampoline_kernelINS0_14default_configENS1_27scan_by_key_config_selectorIllEEZZNS1_16scan_by_key_implILNS1_25lookback_scan_determinismE0ELb0ES3_PKlN6hipcub16HIPCUB_304000_NS21ConstantInputIteratorIllEEPllNSB_3SumENSB_8EqualityElEE10hipError_tPvRmT2_T3_T4_T5_mT6_T7_P12ihipStream_tbENKUlT_T0_E_clISt17integral_constantIbLb0EESX_EEDaSS_ST_EUlSS_E_NS1_11comp_targetILNS1_3genE5ELNS1_11target_archE942ELNS1_3gpuE9ELNS1_3repE0EEENS1_30default_config_static_selectorELNS0_4arch9wavefront6targetE1EEEvT1_
                                        ; -- End function
	.set _ZN7rocprim17ROCPRIM_400000_NS6detail17trampoline_kernelINS0_14default_configENS1_27scan_by_key_config_selectorIllEEZZNS1_16scan_by_key_implILNS1_25lookback_scan_determinismE0ELb0ES3_PKlN6hipcub16HIPCUB_304000_NS21ConstantInputIteratorIllEEPllNSB_3SumENSB_8EqualityElEE10hipError_tPvRmT2_T3_T4_T5_mT6_T7_P12ihipStream_tbENKUlT_T0_E_clISt17integral_constantIbLb0EESX_EEDaSS_ST_EUlSS_E_NS1_11comp_targetILNS1_3genE5ELNS1_11target_archE942ELNS1_3gpuE9ELNS1_3repE0EEENS1_30default_config_static_selectorELNS0_4arch9wavefront6targetE1EEEvT1_.num_vgpr, 0
	.set _ZN7rocprim17ROCPRIM_400000_NS6detail17trampoline_kernelINS0_14default_configENS1_27scan_by_key_config_selectorIllEEZZNS1_16scan_by_key_implILNS1_25lookback_scan_determinismE0ELb0ES3_PKlN6hipcub16HIPCUB_304000_NS21ConstantInputIteratorIllEEPllNSB_3SumENSB_8EqualityElEE10hipError_tPvRmT2_T3_T4_T5_mT6_T7_P12ihipStream_tbENKUlT_T0_E_clISt17integral_constantIbLb0EESX_EEDaSS_ST_EUlSS_E_NS1_11comp_targetILNS1_3genE5ELNS1_11target_archE942ELNS1_3gpuE9ELNS1_3repE0EEENS1_30default_config_static_selectorELNS0_4arch9wavefront6targetE1EEEvT1_.num_agpr, 0
	.set _ZN7rocprim17ROCPRIM_400000_NS6detail17trampoline_kernelINS0_14default_configENS1_27scan_by_key_config_selectorIllEEZZNS1_16scan_by_key_implILNS1_25lookback_scan_determinismE0ELb0ES3_PKlN6hipcub16HIPCUB_304000_NS21ConstantInputIteratorIllEEPllNSB_3SumENSB_8EqualityElEE10hipError_tPvRmT2_T3_T4_T5_mT6_T7_P12ihipStream_tbENKUlT_T0_E_clISt17integral_constantIbLb0EESX_EEDaSS_ST_EUlSS_E_NS1_11comp_targetILNS1_3genE5ELNS1_11target_archE942ELNS1_3gpuE9ELNS1_3repE0EEENS1_30default_config_static_selectorELNS0_4arch9wavefront6targetE1EEEvT1_.numbered_sgpr, 0
	.set _ZN7rocprim17ROCPRIM_400000_NS6detail17trampoline_kernelINS0_14default_configENS1_27scan_by_key_config_selectorIllEEZZNS1_16scan_by_key_implILNS1_25lookback_scan_determinismE0ELb0ES3_PKlN6hipcub16HIPCUB_304000_NS21ConstantInputIteratorIllEEPllNSB_3SumENSB_8EqualityElEE10hipError_tPvRmT2_T3_T4_T5_mT6_T7_P12ihipStream_tbENKUlT_T0_E_clISt17integral_constantIbLb0EESX_EEDaSS_ST_EUlSS_E_NS1_11comp_targetILNS1_3genE5ELNS1_11target_archE942ELNS1_3gpuE9ELNS1_3repE0EEENS1_30default_config_static_selectorELNS0_4arch9wavefront6targetE1EEEvT1_.num_named_barrier, 0
	.set _ZN7rocprim17ROCPRIM_400000_NS6detail17trampoline_kernelINS0_14default_configENS1_27scan_by_key_config_selectorIllEEZZNS1_16scan_by_key_implILNS1_25lookback_scan_determinismE0ELb0ES3_PKlN6hipcub16HIPCUB_304000_NS21ConstantInputIteratorIllEEPllNSB_3SumENSB_8EqualityElEE10hipError_tPvRmT2_T3_T4_T5_mT6_T7_P12ihipStream_tbENKUlT_T0_E_clISt17integral_constantIbLb0EESX_EEDaSS_ST_EUlSS_E_NS1_11comp_targetILNS1_3genE5ELNS1_11target_archE942ELNS1_3gpuE9ELNS1_3repE0EEENS1_30default_config_static_selectorELNS0_4arch9wavefront6targetE1EEEvT1_.private_seg_size, 0
	.set _ZN7rocprim17ROCPRIM_400000_NS6detail17trampoline_kernelINS0_14default_configENS1_27scan_by_key_config_selectorIllEEZZNS1_16scan_by_key_implILNS1_25lookback_scan_determinismE0ELb0ES3_PKlN6hipcub16HIPCUB_304000_NS21ConstantInputIteratorIllEEPllNSB_3SumENSB_8EqualityElEE10hipError_tPvRmT2_T3_T4_T5_mT6_T7_P12ihipStream_tbENKUlT_T0_E_clISt17integral_constantIbLb0EESX_EEDaSS_ST_EUlSS_E_NS1_11comp_targetILNS1_3genE5ELNS1_11target_archE942ELNS1_3gpuE9ELNS1_3repE0EEENS1_30default_config_static_selectorELNS0_4arch9wavefront6targetE1EEEvT1_.uses_vcc, 0
	.set _ZN7rocprim17ROCPRIM_400000_NS6detail17trampoline_kernelINS0_14default_configENS1_27scan_by_key_config_selectorIllEEZZNS1_16scan_by_key_implILNS1_25lookback_scan_determinismE0ELb0ES3_PKlN6hipcub16HIPCUB_304000_NS21ConstantInputIteratorIllEEPllNSB_3SumENSB_8EqualityElEE10hipError_tPvRmT2_T3_T4_T5_mT6_T7_P12ihipStream_tbENKUlT_T0_E_clISt17integral_constantIbLb0EESX_EEDaSS_ST_EUlSS_E_NS1_11comp_targetILNS1_3genE5ELNS1_11target_archE942ELNS1_3gpuE9ELNS1_3repE0EEENS1_30default_config_static_selectorELNS0_4arch9wavefront6targetE1EEEvT1_.uses_flat_scratch, 0
	.set _ZN7rocprim17ROCPRIM_400000_NS6detail17trampoline_kernelINS0_14default_configENS1_27scan_by_key_config_selectorIllEEZZNS1_16scan_by_key_implILNS1_25lookback_scan_determinismE0ELb0ES3_PKlN6hipcub16HIPCUB_304000_NS21ConstantInputIteratorIllEEPllNSB_3SumENSB_8EqualityElEE10hipError_tPvRmT2_T3_T4_T5_mT6_T7_P12ihipStream_tbENKUlT_T0_E_clISt17integral_constantIbLb0EESX_EEDaSS_ST_EUlSS_E_NS1_11comp_targetILNS1_3genE5ELNS1_11target_archE942ELNS1_3gpuE9ELNS1_3repE0EEENS1_30default_config_static_selectorELNS0_4arch9wavefront6targetE1EEEvT1_.has_dyn_sized_stack, 0
	.set _ZN7rocprim17ROCPRIM_400000_NS6detail17trampoline_kernelINS0_14default_configENS1_27scan_by_key_config_selectorIllEEZZNS1_16scan_by_key_implILNS1_25lookback_scan_determinismE0ELb0ES3_PKlN6hipcub16HIPCUB_304000_NS21ConstantInputIteratorIllEEPllNSB_3SumENSB_8EqualityElEE10hipError_tPvRmT2_T3_T4_T5_mT6_T7_P12ihipStream_tbENKUlT_T0_E_clISt17integral_constantIbLb0EESX_EEDaSS_ST_EUlSS_E_NS1_11comp_targetILNS1_3genE5ELNS1_11target_archE942ELNS1_3gpuE9ELNS1_3repE0EEENS1_30default_config_static_selectorELNS0_4arch9wavefront6targetE1EEEvT1_.has_recursion, 0
	.set _ZN7rocprim17ROCPRIM_400000_NS6detail17trampoline_kernelINS0_14default_configENS1_27scan_by_key_config_selectorIllEEZZNS1_16scan_by_key_implILNS1_25lookback_scan_determinismE0ELb0ES3_PKlN6hipcub16HIPCUB_304000_NS21ConstantInputIteratorIllEEPllNSB_3SumENSB_8EqualityElEE10hipError_tPvRmT2_T3_T4_T5_mT6_T7_P12ihipStream_tbENKUlT_T0_E_clISt17integral_constantIbLb0EESX_EEDaSS_ST_EUlSS_E_NS1_11comp_targetILNS1_3genE5ELNS1_11target_archE942ELNS1_3gpuE9ELNS1_3repE0EEENS1_30default_config_static_selectorELNS0_4arch9wavefront6targetE1EEEvT1_.has_indirect_call, 0
	.section	.AMDGPU.csdata,"",@progbits
; Kernel info:
; codeLenInByte = 0
; TotalNumSgprs: 6
; NumVgprs: 0
; NumAgprs: 0
; TotalNumVgprs: 0
; ScratchSize: 0
; MemoryBound: 0
; FloatMode: 240
; IeeeMode: 1
; LDSByteSize: 0 bytes/workgroup (compile time only)
; SGPRBlocks: 0
; VGPRBlocks: 0
; NumSGPRsForWavesPerEU: 6
; NumVGPRsForWavesPerEU: 1
; AccumOffset: 4
; Occupancy: 8
; WaveLimiterHint : 0
; COMPUTE_PGM_RSRC2:SCRATCH_EN: 0
; COMPUTE_PGM_RSRC2:USER_SGPR: 2
; COMPUTE_PGM_RSRC2:TRAP_HANDLER: 0
; COMPUTE_PGM_RSRC2:TGID_X_EN: 1
; COMPUTE_PGM_RSRC2:TGID_Y_EN: 0
; COMPUTE_PGM_RSRC2:TGID_Z_EN: 0
; COMPUTE_PGM_RSRC2:TIDIG_COMP_CNT: 0
; COMPUTE_PGM_RSRC3_GFX90A:ACCUM_OFFSET: 0
; COMPUTE_PGM_RSRC3_GFX90A:TG_SPLIT: 0
	.section	.text._ZN7rocprim17ROCPRIM_400000_NS6detail17trampoline_kernelINS0_14default_configENS1_27scan_by_key_config_selectorIllEEZZNS1_16scan_by_key_implILNS1_25lookback_scan_determinismE0ELb0ES3_PKlN6hipcub16HIPCUB_304000_NS21ConstantInputIteratorIllEEPllNSB_3SumENSB_8EqualityElEE10hipError_tPvRmT2_T3_T4_T5_mT6_T7_P12ihipStream_tbENKUlT_T0_E_clISt17integral_constantIbLb0EESX_EEDaSS_ST_EUlSS_E_NS1_11comp_targetILNS1_3genE4ELNS1_11target_archE910ELNS1_3gpuE8ELNS1_3repE0EEENS1_30default_config_static_selectorELNS0_4arch9wavefront6targetE1EEEvT1_,"axG",@progbits,_ZN7rocprim17ROCPRIM_400000_NS6detail17trampoline_kernelINS0_14default_configENS1_27scan_by_key_config_selectorIllEEZZNS1_16scan_by_key_implILNS1_25lookback_scan_determinismE0ELb0ES3_PKlN6hipcub16HIPCUB_304000_NS21ConstantInputIteratorIllEEPllNSB_3SumENSB_8EqualityElEE10hipError_tPvRmT2_T3_T4_T5_mT6_T7_P12ihipStream_tbENKUlT_T0_E_clISt17integral_constantIbLb0EESX_EEDaSS_ST_EUlSS_E_NS1_11comp_targetILNS1_3genE4ELNS1_11target_archE910ELNS1_3gpuE8ELNS1_3repE0EEENS1_30default_config_static_selectorELNS0_4arch9wavefront6targetE1EEEvT1_,comdat
	.protected	_ZN7rocprim17ROCPRIM_400000_NS6detail17trampoline_kernelINS0_14default_configENS1_27scan_by_key_config_selectorIllEEZZNS1_16scan_by_key_implILNS1_25lookback_scan_determinismE0ELb0ES3_PKlN6hipcub16HIPCUB_304000_NS21ConstantInputIteratorIllEEPllNSB_3SumENSB_8EqualityElEE10hipError_tPvRmT2_T3_T4_T5_mT6_T7_P12ihipStream_tbENKUlT_T0_E_clISt17integral_constantIbLb0EESX_EEDaSS_ST_EUlSS_E_NS1_11comp_targetILNS1_3genE4ELNS1_11target_archE910ELNS1_3gpuE8ELNS1_3repE0EEENS1_30default_config_static_selectorELNS0_4arch9wavefront6targetE1EEEvT1_ ; -- Begin function _ZN7rocprim17ROCPRIM_400000_NS6detail17trampoline_kernelINS0_14default_configENS1_27scan_by_key_config_selectorIllEEZZNS1_16scan_by_key_implILNS1_25lookback_scan_determinismE0ELb0ES3_PKlN6hipcub16HIPCUB_304000_NS21ConstantInputIteratorIllEEPllNSB_3SumENSB_8EqualityElEE10hipError_tPvRmT2_T3_T4_T5_mT6_T7_P12ihipStream_tbENKUlT_T0_E_clISt17integral_constantIbLb0EESX_EEDaSS_ST_EUlSS_E_NS1_11comp_targetILNS1_3genE4ELNS1_11target_archE910ELNS1_3gpuE8ELNS1_3repE0EEENS1_30default_config_static_selectorELNS0_4arch9wavefront6targetE1EEEvT1_
	.globl	_ZN7rocprim17ROCPRIM_400000_NS6detail17trampoline_kernelINS0_14default_configENS1_27scan_by_key_config_selectorIllEEZZNS1_16scan_by_key_implILNS1_25lookback_scan_determinismE0ELb0ES3_PKlN6hipcub16HIPCUB_304000_NS21ConstantInputIteratorIllEEPllNSB_3SumENSB_8EqualityElEE10hipError_tPvRmT2_T3_T4_T5_mT6_T7_P12ihipStream_tbENKUlT_T0_E_clISt17integral_constantIbLb0EESX_EEDaSS_ST_EUlSS_E_NS1_11comp_targetILNS1_3genE4ELNS1_11target_archE910ELNS1_3gpuE8ELNS1_3repE0EEENS1_30default_config_static_selectorELNS0_4arch9wavefront6targetE1EEEvT1_
	.p2align	8
	.type	_ZN7rocprim17ROCPRIM_400000_NS6detail17trampoline_kernelINS0_14default_configENS1_27scan_by_key_config_selectorIllEEZZNS1_16scan_by_key_implILNS1_25lookback_scan_determinismE0ELb0ES3_PKlN6hipcub16HIPCUB_304000_NS21ConstantInputIteratorIllEEPllNSB_3SumENSB_8EqualityElEE10hipError_tPvRmT2_T3_T4_T5_mT6_T7_P12ihipStream_tbENKUlT_T0_E_clISt17integral_constantIbLb0EESX_EEDaSS_ST_EUlSS_E_NS1_11comp_targetILNS1_3genE4ELNS1_11target_archE910ELNS1_3gpuE8ELNS1_3repE0EEENS1_30default_config_static_selectorELNS0_4arch9wavefront6targetE1EEEvT1_,@function
_ZN7rocprim17ROCPRIM_400000_NS6detail17trampoline_kernelINS0_14default_configENS1_27scan_by_key_config_selectorIllEEZZNS1_16scan_by_key_implILNS1_25lookback_scan_determinismE0ELb0ES3_PKlN6hipcub16HIPCUB_304000_NS21ConstantInputIteratorIllEEPllNSB_3SumENSB_8EqualityElEE10hipError_tPvRmT2_T3_T4_T5_mT6_T7_P12ihipStream_tbENKUlT_T0_E_clISt17integral_constantIbLb0EESX_EEDaSS_ST_EUlSS_E_NS1_11comp_targetILNS1_3genE4ELNS1_11target_archE910ELNS1_3gpuE8ELNS1_3repE0EEENS1_30default_config_static_selectorELNS0_4arch9wavefront6targetE1EEEvT1_: ; @_ZN7rocprim17ROCPRIM_400000_NS6detail17trampoline_kernelINS0_14default_configENS1_27scan_by_key_config_selectorIllEEZZNS1_16scan_by_key_implILNS1_25lookback_scan_determinismE0ELb0ES3_PKlN6hipcub16HIPCUB_304000_NS21ConstantInputIteratorIllEEPllNSB_3SumENSB_8EqualityElEE10hipError_tPvRmT2_T3_T4_T5_mT6_T7_P12ihipStream_tbENKUlT_T0_E_clISt17integral_constantIbLb0EESX_EEDaSS_ST_EUlSS_E_NS1_11comp_targetILNS1_3genE4ELNS1_11target_archE910ELNS1_3gpuE8ELNS1_3repE0EEENS1_30default_config_static_selectorELNS0_4arch9wavefront6targetE1EEEvT1_
; %bb.0:
	.section	.rodata,"a",@progbits
	.p2align	6, 0x0
	.amdhsa_kernel _ZN7rocprim17ROCPRIM_400000_NS6detail17trampoline_kernelINS0_14default_configENS1_27scan_by_key_config_selectorIllEEZZNS1_16scan_by_key_implILNS1_25lookback_scan_determinismE0ELb0ES3_PKlN6hipcub16HIPCUB_304000_NS21ConstantInputIteratorIllEEPllNSB_3SumENSB_8EqualityElEE10hipError_tPvRmT2_T3_T4_T5_mT6_T7_P12ihipStream_tbENKUlT_T0_E_clISt17integral_constantIbLb0EESX_EEDaSS_ST_EUlSS_E_NS1_11comp_targetILNS1_3genE4ELNS1_11target_archE910ELNS1_3gpuE8ELNS1_3repE0EEENS1_30default_config_static_selectorELNS0_4arch9wavefront6targetE1EEEvT1_
		.amdhsa_group_segment_fixed_size 0
		.amdhsa_private_segment_fixed_size 0
		.amdhsa_kernarg_size 144
		.amdhsa_user_sgpr_count 2
		.amdhsa_user_sgpr_dispatch_ptr 0
		.amdhsa_user_sgpr_queue_ptr 0
		.amdhsa_user_sgpr_kernarg_segment_ptr 1
		.amdhsa_user_sgpr_dispatch_id 0
		.amdhsa_user_sgpr_kernarg_preload_length 0
		.amdhsa_user_sgpr_kernarg_preload_offset 0
		.amdhsa_user_sgpr_private_segment_size 0
		.amdhsa_uses_dynamic_stack 0
		.amdhsa_enable_private_segment 0
		.amdhsa_system_sgpr_workgroup_id_x 1
		.amdhsa_system_sgpr_workgroup_id_y 0
		.amdhsa_system_sgpr_workgroup_id_z 0
		.amdhsa_system_sgpr_workgroup_info 0
		.amdhsa_system_vgpr_workitem_id 0
		.amdhsa_next_free_vgpr 1
		.amdhsa_next_free_sgpr 0
		.amdhsa_accum_offset 4
		.amdhsa_reserve_vcc 0
		.amdhsa_float_round_mode_32 0
		.amdhsa_float_round_mode_16_64 0
		.amdhsa_float_denorm_mode_32 3
		.amdhsa_float_denorm_mode_16_64 3
		.amdhsa_dx10_clamp 1
		.amdhsa_ieee_mode 1
		.amdhsa_fp16_overflow 0
		.amdhsa_tg_split 0
		.amdhsa_exception_fp_ieee_invalid_op 0
		.amdhsa_exception_fp_denorm_src 0
		.amdhsa_exception_fp_ieee_div_zero 0
		.amdhsa_exception_fp_ieee_overflow 0
		.amdhsa_exception_fp_ieee_underflow 0
		.amdhsa_exception_fp_ieee_inexact 0
		.amdhsa_exception_int_div_zero 0
	.end_amdhsa_kernel
	.section	.text._ZN7rocprim17ROCPRIM_400000_NS6detail17trampoline_kernelINS0_14default_configENS1_27scan_by_key_config_selectorIllEEZZNS1_16scan_by_key_implILNS1_25lookback_scan_determinismE0ELb0ES3_PKlN6hipcub16HIPCUB_304000_NS21ConstantInputIteratorIllEEPllNSB_3SumENSB_8EqualityElEE10hipError_tPvRmT2_T3_T4_T5_mT6_T7_P12ihipStream_tbENKUlT_T0_E_clISt17integral_constantIbLb0EESX_EEDaSS_ST_EUlSS_E_NS1_11comp_targetILNS1_3genE4ELNS1_11target_archE910ELNS1_3gpuE8ELNS1_3repE0EEENS1_30default_config_static_selectorELNS0_4arch9wavefront6targetE1EEEvT1_,"axG",@progbits,_ZN7rocprim17ROCPRIM_400000_NS6detail17trampoline_kernelINS0_14default_configENS1_27scan_by_key_config_selectorIllEEZZNS1_16scan_by_key_implILNS1_25lookback_scan_determinismE0ELb0ES3_PKlN6hipcub16HIPCUB_304000_NS21ConstantInputIteratorIllEEPllNSB_3SumENSB_8EqualityElEE10hipError_tPvRmT2_T3_T4_T5_mT6_T7_P12ihipStream_tbENKUlT_T0_E_clISt17integral_constantIbLb0EESX_EEDaSS_ST_EUlSS_E_NS1_11comp_targetILNS1_3genE4ELNS1_11target_archE910ELNS1_3gpuE8ELNS1_3repE0EEENS1_30default_config_static_selectorELNS0_4arch9wavefront6targetE1EEEvT1_,comdat
.Lfunc_end97:
	.size	_ZN7rocprim17ROCPRIM_400000_NS6detail17trampoline_kernelINS0_14default_configENS1_27scan_by_key_config_selectorIllEEZZNS1_16scan_by_key_implILNS1_25lookback_scan_determinismE0ELb0ES3_PKlN6hipcub16HIPCUB_304000_NS21ConstantInputIteratorIllEEPllNSB_3SumENSB_8EqualityElEE10hipError_tPvRmT2_T3_T4_T5_mT6_T7_P12ihipStream_tbENKUlT_T0_E_clISt17integral_constantIbLb0EESX_EEDaSS_ST_EUlSS_E_NS1_11comp_targetILNS1_3genE4ELNS1_11target_archE910ELNS1_3gpuE8ELNS1_3repE0EEENS1_30default_config_static_selectorELNS0_4arch9wavefront6targetE1EEEvT1_, .Lfunc_end97-_ZN7rocprim17ROCPRIM_400000_NS6detail17trampoline_kernelINS0_14default_configENS1_27scan_by_key_config_selectorIllEEZZNS1_16scan_by_key_implILNS1_25lookback_scan_determinismE0ELb0ES3_PKlN6hipcub16HIPCUB_304000_NS21ConstantInputIteratorIllEEPllNSB_3SumENSB_8EqualityElEE10hipError_tPvRmT2_T3_T4_T5_mT6_T7_P12ihipStream_tbENKUlT_T0_E_clISt17integral_constantIbLb0EESX_EEDaSS_ST_EUlSS_E_NS1_11comp_targetILNS1_3genE4ELNS1_11target_archE910ELNS1_3gpuE8ELNS1_3repE0EEENS1_30default_config_static_selectorELNS0_4arch9wavefront6targetE1EEEvT1_
                                        ; -- End function
	.set _ZN7rocprim17ROCPRIM_400000_NS6detail17trampoline_kernelINS0_14default_configENS1_27scan_by_key_config_selectorIllEEZZNS1_16scan_by_key_implILNS1_25lookback_scan_determinismE0ELb0ES3_PKlN6hipcub16HIPCUB_304000_NS21ConstantInputIteratorIllEEPllNSB_3SumENSB_8EqualityElEE10hipError_tPvRmT2_T3_T4_T5_mT6_T7_P12ihipStream_tbENKUlT_T0_E_clISt17integral_constantIbLb0EESX_EEDaSS_ST_EUlSS_E_NS1_11comp_targetILNS1_3genE4ELNS1_11target_archE910ELNS1_3gpuE8ELNS1_3repE0EEENS1_30default_config_static_selectorELNS0_4arch9wavefront6targetE1EEEvT1_.num_vgpr, 0
	.set _ZN7rocprim17ROCPRIM_400000_NS6detail17trampoline_kernelINS0_14default_configENS1_27scan_by_key_config_selectorIllEEZZNS1_16scan_by_key_implILNS1_25lookback_scan_determinismE0ELb0ES3_PKlN6hipcub16HIPCUB_304000_NS21ConstantInputIteratorIllEEPllNSB_3SumENSB_8EqualityElEE10hipError_tPvRmT2_T3_T4_T5_mT6_T7_P12ihipStream_tbENKUlT_T0_E_clISt17integral_constantIbLb0EESX_EEDaSS_ST_EUlSS_E_NS1_11comp_targetILNS1_3genE4ELNS1_11target_archE910ELNS1_3gpuE8ELNS1_3repE0EEENS1_30default_config_static_selectorELNS0_4arch9wavefront6targetE1EEEvT1_.num_agpr, 0
	.set _ZN7rocprim17ROCPRIM_400000_NS6detail17trampoline_kernelINS0_14default_configENS1_27scan_by_key_config_selectorIllEEZZNS1_16scan_by_key_implILNS1_25lookback_scan_determinismE0ELb0ES3_PKlN6hipcub16HIPCUB_304000_NS21ConstantInputIteratorIllEEPllNSB_3SumENSB_8EqualityElEE10hipError_tPvRmT2_T3_T4_T5_mT6_T7_P12ihipStream_tbENKUlT_T0_E_clISt17integral_constantIbLb0EESX_EEDaSS_ST_EUlSS_E_NS1_11comp_targetILNS1_3genE4ELNS1_11target_archE910ELNS1_3gpuE8ELNS1_3repE0EEENS1_30default_config_static_selectorELNS0_4arch9wavefront6targetE1EEEvT1_.numbered_sgpr, 0
	.set _ZN7rocprim17ROCPRIM_400000_NS6detail17trampoline_kernelINS0_14default_configENS1_27scan_by_key_config_selectorIllEEZZNS1_16scan_by_key_implILNS1_25lookback_scan_determinismE0ELb0ES3_PKlN6hipcub16HIPCUB_304000_NS21ConstantInputIteratorIllEEPllNSB_3SumENSB_8EqualityElEE10hipError_tPvRmT2_T3_T4_T5_mT6_T7_P12ihipStream_tbENKUlT_T0_E_clISt17integral_constantIbLb0EESX_EEDaSS_ST_EUlSS_E_NS1_11comp_targetILNS1_3genE4ELNS1_11target_archE910ELNS1_3gpuE8ELNS1_3repE0EEENS1_30default_config_static_selectorELNS0_4arch9wavefront6targetE1EEEvT1_.num_named_barrier, 0
	.set _ZN7rocprim17ROCPRIM_400000_NS6detail17trampoline_kernelINS0_14default_configENS1_27scan_by_key_config_selectorIllEEZZNS1_16scan_by_key_implILNS1_25lookback_scan_determinismE0ELb0ES3_PKlN6hipcub16HIPCUB_304000_NS21ConstantInputIteratorIllEEPllNSB_3SumENSB_8EqualityElEE10hipError_tPvRmT2_T3_T4_T5_mT6_T7_P12ihipStream_tbENKUlT_T0_E_clISt17integral_constantIbLb0EESX_EEDaSS_ST_EUlSS_E_NS1_11comp_targetILNS1_3genE4ELNS1_11target_archE910ELNS1_3gpuE8ELNS1_3repE0EEENS1_30default_config_static_selectorELNS0_4arch9wavefront6targetE1EEEvT1_.private_seg_size, 0
	.set _ZN7rocprim17ROCPRIM_400000_NS6detail17trampoline_kernelINS0_14default_configENS1_27scan_by_key_config_selectorIllEEZZNS1_16scan_by_key_implILNS1_25lookback_scan_determinismE0ELb0ES3_PKlN6hipcub16HIPCUB_304000_NS21ConstantInputIteratorIllEEPllNSB_3SumENSB_8EqualityElEE10hipError_tPvRmT2_T3_T4_T5_mT6_T7_P12ihipStream_tbENKUlT_T0_E_clISt17integral_constantIbLb0EESX_EEDaSS_ST_EUlSS_E_NS1_11comp_targetILNS1_3genE4ELNS1_11target_archE910ELNS1_3gpuE8ELNS1_3repE0EEENS1_30default_config_static_selectorELNS0_4arch9wavefront6targetE1EEEvT1_.uses_vcc, 0
	.set _ZN7rocprim17ROCPRIM_400000_NS6detail17trampoline_kernelINS0_14default_configENS1_27scan_by_key_config_selectorIllEEZZNS1_16scan_by_key_implILNS1_25lookback_scan_determinismE0ELb0ES3_PKlN6hipcub16HIPCUB_304000_NS21ConstantInputIteratorIllEEPllNSB_3SumENSB_8EqualityElEE10hipError_tPvRmT2_T3_T4_T5_mT6_T7_P12ihipStream_tbENKUlT_T0_E_clISt17integral_constantIbLb0EESX_EEDaSS_ST_EUlSS_E_NS1_11comp_targetILNS1_3genE4ELNS1_11target_archE910ELNS1_3gpuE8ELNS1_3repE0EEENS1_30default_config_static_selectorELNS0_4arch9wavefront6targetE1EEEvT1_.uses_flat_scratch, 0
	.set _ZN7rocprim17ROCPRIM_400000_NS6detail17trampoline_kernelINS0_14default_configENS1_27scan_by_key_config_selectorIllEEZZNS1_16scan_by_key_implILNS1_25lookback_scan_determinismE0ELb0ES3_PKlN6hipcub16HIPCUB_304000_NS21ConstantInputIteratorIllEEPllNSB_3SumENSB_8EqualityElEE10hipError_tPvRmT2_T3_T4_T5_mT6_T7_P12ihipStream_tbENKUlT_T0_E_clISt17integral_constantIbLb0EESX_EEDaSS_ST_EUlSS_E_NS1_11comp_targetILNS1_3genE4ELNS1_11target_archE910ELNS1_3gpuE8ELNS1_3repE0EEENS1_30default_config_static_selectorELNS0_4arch9wavefront6targetE1EEEvT1_.has_dyn_sized_stack, 0
	.set _ZN7rocprim17ROCPRIM_400000_NS6detail17trampoline_kernelINS0_14default_configENS1_27scan_by_key_config_selectorIllEEZZNS1_16scan_by_key_implILNS1_25lookback_scan_determinismE0ELb0ES3_PKlN6hipcub16HIPCUB_304000_NS21ConstantInputIteratorIllEEPllNSB_3SumENSB_8EqualityElEE10hipError_tPvRmT2_T3_T4_T5_mT6_T7_P12ihipStream_tbENKUlT_T0_E_clISt17integral_constantIbLb0EESX_EEDaSS_ST_EUlSS_E_NS1_11comp_targetILNS1_3genE4ELNS1_11target_archE910ELNS1_3gpuE8ELNS1_3repE0EEENS1_30default_config_static_selectorELNS0_4arch9wavefront6targetE1EEEvT1_.has_recursion, 0
	.set _ZN7rocprim17ROCPRIM_400000_NS6detail17trampoline_kernelINS0_14default_configENS1_27scan_by_key_config_selectorIllEEZZNS1_16scan_by_key_implILNS1_25lookback_scan_determinismE0ELb0ES3_PKlN6hipcub16HIPCUB_304000_NS21ConstantInputIteratorIllEEPllNSB_3SumENSB_8EqualityElEE10hipError_tPvRmT2_T3_T4_T5_mT6_T7_P12ihipStream_tbENKUlT_T0_E_clISt17integral_constantIbLb0EESX_EEDaSS_ST_EUlSS_E_NS1_11comp_targetILNS1_3genE4ELNS1_11target_archE910ELNS1_3gpuE8ELNS1_3repE0EEENS1_30default_config_static_selectorELNS0_4arch9wavefront6targetE1EEEvT1_.has_indirect_call, 0
	.section	.AMDGPU.csdata,"",@progbits
; Kernel info:
; codeLenInByte = 0
; TotalNumSgprs: 6
; NumVgprs: 0
; NumAgprs: 0
; TotalNumVgprs: 0
; ScratchSize: 0
; MemoryBound: 0
; FloatMode: 240
; IeeeMode: 1
; LDSByteSize: 0 bytes/workgroup (compile time only)
; SGPRBlocks: 0
; VGPRBlocks: 0
; NumSGPRsForWavesPerEU: 6
; NumVGPRsForWavesPerEU: 1
; AccumOffset: 4
; Occupancy: 8
; WaveLimiterHint : 0
; COMPUTE_PGM_RSRC2:SCRATCH_EN: 0
; COMPUTE_PGM_RSRC2:USER_SGPR: 2
; COMPUTE_PGM_RSRC2:TRAP_HANDLER: 0
; COMPUTE_PGM_RSRC2:TGID_X_EN: 1
; COMPUTE_PGM_RSRC2:TGID_Y_EN: 0
; COMPUTE_PGM_RSRC2:TGID_Z_EN: 0
; COMPUTE_PGM_RSRC2:TIDIG_COMP_CNT: 0
; COMPUTE_PGM_RSRC3_GFX90A:ACCUM_OFFSET: 0
; COMPUTE_PGM_RSRC3_GFX90A:TG_SPLIT: 0
	.section	.text._ZN7rocprim17ROCPRIM_400000_NS6detail17trampoline_kernelINS0_14default_configENS1_27scan_by_key_config_selectorIllEEZZNS1_16scan_by_key_implILNS1_25lookback_scan_determinismE0ELb0ES3_PKlN6hipcub16HIPCUB_304000_NS21ConstantInputIteratorIllEEPllNSB_3SumENSB_8EqualityElEE10hipError_tPvRmT2_T3_T4_T5_mT6_T7_P12ihipStream_tbENKUlT_T0_E_clISt17integral_constantIbLb0EESX_EEDaSS_ST_EUlSS_E_NS1_11comp_targetILNS1_3genE3ELNS1_11target_archE908ELNS1_3gpuE7ELNS1_3repE0EEENS1_30default_config_static_selectorELNS0_4arch9wavefront6targetE1EEEvT1_,"axG",@progbits,_ZN7rocprim17ROCPRIM_400000_NS6detail17trampoline_kernelINS0_14default_configENS1_27scan_by_key_config_selectorIllEEZZNS1_16scan_by_key_implILNS1_25lookback_scan_determinismE0ELb0ES3_PKlN6hipcub16HIPCUB_304000_NS21ConstantInputIteratorIllEEPllNSB_3SumENSB_8EqualityElEE10hipError_tPvRmT2_T3_T4_T5_mT6_T7_P12ihipStream_tbENKUlT_T0_E_clISt17integral_constantIbLb0EESX_EEDaSS_ST_EUlSS_E_NS1_11comp_targetILNS1_3genE3ELNS1_11target_archE908ELNS1_3gpuE7ELNS1_3repE0EEENS1_30default_config_static_selectorELNS0_4arch9wavefront6targetE1EEEvT1_,comdat
	.protected	_ZN7rocprim17ROCPRIM_400000_NS6detail17trampoline_kernelINS0_14default_configENS1_27scan_by_key_config_selectorIllEEZZNS1_16scan_by_key_implILNS1_25lookback_scan_determinismE0ELb0ES3_PKlN6hipcub16HIPCUB_304000_NS21ConstantInputIteratorIllEEPllNSB_3SumENSB_8EqualityElEE10hipError_tPvRmT2_T3_T4_T5_mT6_T7_P12ihipStream_tbENKUlT_T0_E_clISt17integral_constantIbLb0EESX_EEDaSS_ST_EUlSS_E_NS1_11comp_targetILNS1_3genE3ELNS1_11target_archE908ELNS1_3gpuE7ELNS1_3repE0EEENS1_30default_config_static_selectorELNS0_4arch9wavefront6targetE1EEEvT1_ ; -- Begin function _ZN7rocprim17ROCPRIM_400000_NS6detail17trampoline_kernelINS0_14default_configENS1_27scan_by_key_config_selectorIllEEZZNS1_16scan_by_key_implILNS1_25lookback_scan_determinismE0ELb0ES3_PKlN6hipcub16HIPCUB_304000_NS21ConstantInputIteratorIllEEPllNSB_3SumENSB_8EqualityElEE10hipError_tPvRmT2_T3_T4_T5_mT6_T7_P12ihipStream_tbENKUlT_T0_E_clISt17integral_constantIbLb0EESX_EEDaSS_ST_EUlSS_E_NS1_11comp_targetILNS1_3genE3ELNS1_11target_archE908ELNS1_3gpuE7ELNS1_3repE0EEENS1_30default_config_static_selectorELNS0_4arch9wavefront6targetE1EEEvT1_
	.globl	_ZN7rocprim17ROCPRIM_400000_NS6detail17trampoline_kernelINS0_14default_configENS1_27scan_by_key_config_selectorIllEEZZNS1_16scan_by_key_implILNS1_25lookback_scan_determinismE0ELb0ES3_PKlN6hipcub16HIPCUB_304000_NS21ConstantInputIteratorIllEEPllNSB_3SumENSB_8EqualityElEE10hipError_tPvRmT2_T3_T4_T5_mT6_T7_P12ihipStream_tbENKUlT_T0_E_clISt17integral_constantIbLb0EESX_EEDaSS_ST_EUlSS_E_NS1_11comp_targetILNS1_3genE3ELNS1_11target_archE908ELNS1_3gpuE7ELNS1_3repE0EEENS1_30default_config_static_selectorELNS0_4arch9wavefront6targetE1EEEvT1_
	.p2align	8
	.type	_ZN7rocprim17ROCPRIM_400000_NS6detail17trampoline_kernelINS0_14default_configENS1_27scan_by_key_config_selectorIllEEZZNS1_16scan_by_key_implILNS1_25lookback_scan_determinismE0ELb0ES3_PKlN6hipcub16HIPCUB_304000_NS21ConstantInputIteratorIllEEPllNSB_3SumENSB_8EqualityElEE10hipError_tPvRmT2_T3_T4_T5_mT6_T7_P12ihipStream_tbENKUlT_T0_E_clISt17integral_constantIbLb0EESX_EEDaSS_ST_EUlSS_E_NS1_11comp_targetILNS1_3genE3ELNS1_11target_archE908ELNS1_3gpuE7ELNS1_3repE0EEENS1_30default_config_static_selectorELNS0_4arch9wavefront6targetE1EEEvT1_,@function
_ZN7rocprim17ROCPRIM_400000_NS6detail17trampoline_kernelINS0_14default_configENS1_27scan_by_key_config_selectorIllEEZZNS1_16scan_by_key_implILNS1_25lookback_scan_determinismE0ELb0ES3_PKlN6hipcub16HIPCUB_304000_NS21ConstantInputIteratorIllEEPllNSB_3SumENSB_8EqualityElEE10hipError_tPvRmT2_T3_T4_T5_mT6_T7_P12ihipStream_tbENKUlT_T0_E_clISt17integral_constantIbLb0EESX_EEDaSS_ST_EUlSS_E_NS1_11comp_targetILNS1_3genE3ELNS1_11target_archE908ELNS1_3gpuE7ELNS1_3repE0EEENS1_30default_config_static_selectorELNS0_4arch9wavefront6targetE1EEEvT1_: ; @_ZN7rocprim17ROCPRIM_400000_NS6detail17trampoline_kernelINS0_14default_configENS1_27scan_by_key_config_selectorIllEEZZNS1_16scan_by_key_implILNS1_25lookback_scan_determinismE0ELb0ES3_PKlN6hipcub16HIPCUB_304000_NS21ConstantInputIteratorIllEEPllNSB_3SumENSB_8EqualityElEE10hipError_tPvRmT2_T3_T4_T5_mT6_T7_P12ihipStream_tbENKUlT_T0_E_clISt17integral_constantIbLb0EESX_EEDaSS_ST_EUlSS_E_NS1_11comp_targetILNS1_3genE3ELNS1_11target_archE908ELNS1_3gpuE7ELNS1_3repE0EEENS1_30default_config_static_selectorELNS0_4arch9wavefront6targetE1EEEvT1_
; %bb.0:
	.section	.rodata,"a",@progbits
	.p2align	6, 0x0
	.amdhsa_kernel _ZN7rocprim17ROCPRIM_400000_NS6detail17trampoline_kernelINS0_14default_configENS1_27scan_by_key_config_selectorIllEEZZNS1_16scan_by_key_implILNS1_25lookback_scan_determinismE0ELb0ES3_PKlN6hipcub16HIPCUB_304000_NS21ConstantInputIteratorIllEEPllNSB_3SumENSB_8EqualityElEE10hipError_tPvRmT2_T3_T4_T5_mT6_T7_P12ihipStream_tbENKUlT_T0_E_clISt17integral_constantIbLb0EESX_EEDaSS_ST_EUlSS_E_NS1_11comp_targetILNS1_3genE3ELNS1_11target_archE908ELNS1_3gpuE7ELNS1_3repE0EEENS1_30default_config_static_selectorELNS0_4arch9wavefront6targetE1EEEvT1_
		.amdhsa_group_segment_fixed_size 0
		.amdhsa_private_segment_fixed_size 0
		.amdhsa_kernarg_size 144
		.amdhsa_user_sgpr_count 2
		.amdhsa_user_sgpr_dispatch_ptr 0
		.amdhsa_user_sgpr_queue_ptr 0
		.amdhsa_user_sgpr_kernarg_segment_ptr 1
		.amdhsa_user_sgpr_dispatch_id 0
		.amdhsa_user_sgpr_kernarg_preload_length 0
		.amdhsa_user_sgpr_kernarg_preload_offset 0
		.amdhsa_user_sgpr_private_segment_size 0
		.amdhsa_uses_dynamic_stack 0
		.amdhsa_enable_private_segment 0
		.amdhsa_system_sgpr_workgroup_id_x 1
		.amdhsa_system_sgpr_workgroup_id_y 0
		.amdhsa_system_sgpr_workgroup_id_z 0
		.amdhsa_system_sgpr_workgroup_info 0
		.amdhsa_system_vgpr_workitem_id 0
		.amdhsa_next_free_vgpr 1
		.amdhsa_next_free_sgpr 0
		.amdhsa_accum_offset 4
		.amdhsa_reserve_vcc 0
		.amdhsa_float_round_mode_32 0
		.amdhsa_float_round_mode_16_64 0
		.amdhsa_float_denorm_mode_32 3
		.amdhsa_float_denorm_mode_16_64 3
		.amdhsa_dx10_clamp 1
		.amdhsa_ieee_mode 1
		.amdhsa_fp16_overflow 0
		.amdhsa_tg_split 0
		.amdhsa_exception_fp_ieee_invalid_op 0
		.amdhsa_exception_fp_denorm_src 0
		.amdhsa_exception_fp_ieee_div_zero 0
		.amdhsa_exception_fp_ieee_overflow 0
		.amdhsa_exception_fp_ieee_underflow 0
		.amdhsa_exception_fp_ieee_inexact 0
		.amdhsa_exception_int_div_zero 0
	.end_amdhsa_kernel
	.section	.text._ZN7rocprim17ROCPRIM_400000_NS6detail17trampoline_kernelINS0_14default_configENS1_27scan_by_key_config_selectorIllEEZZNS1_16scan_by_key_implILNS1_25lookback_scan_determinismE0ELb0ES3_PKlN6hipcub16HIPCUB_304000_NS21ConstantInputIteratorIllEEPllNSB_3SumENSB_8EqualityElEE10hipError_tPvRmT2_T3_T4_T5_mT6_T7_P12ihipStream_tbENKUlT_T0_E_clISt17integral_constantIbLb0EESX_EEDaSS_ST_EUlSS_E_NS1_11comp_targetILNS1_3genE3ELNS1_11target_archE908ELNS1_3gpuE7ELNS1_3repE0EEENS1_30default_config_static_selectorELNS0_4arch9wavefront6targetE1EEEvT1_,"axG",@progbits,_ZN7rocprim17ROCPRIM_400000_NS6detail17trampoline_kernelINS0_14default_configENS1_27scan_by_key_config_selectorIllEEZZNS1_16scan_by_key_implILNS1_25lookback_scan_determinismE0ELb0ES3_PKlN6hipcub16HIPCUB_304000_NS21ConstantInputIteratorIllEEPllNSB_3SumENSB_8EqualityElEE10hipError_tPvRmT2_T3_T4_T5_mT6_T7_P12ihipStream_tbENKUlT_T0_E_clISt17integral_constantIbLb0EESX_EEDaSS_ST_EUlSS_E_NS1_11comp_targetILNS1_3genE3ELNS1_11target_archE908ELNS1_3gpuE7ELNS1_3repE0EEENS1_30default_config_static_selectorELNS0_4arch9wavefront6targetE1EEEvT1_,comdat
.Lfunc_end98:
	.size	_ZN7rocprim17ROCPRIM_400000_NS6detail17trampoline_kernelINS0_14default_configENS1_27scan_by_key_config_selectorIllEEZZNS1_16scan_by_key_implILNS1_25lookback_scan_determinismE0ELb0ES3_PKlN6hipcub16HIPCUB_304000_NS21ConstantInputIteratorIllEEPllNSB_3SumENSB_8EqualityElEE10hipError_tPvRmT2_T3_T4_T5_mT6_T7_P12ihipStream_tbENKUlT_T0_E_clISt17integral_constantIbLb0EESX_EEDaSS_ST_EUlSS_E_NS1_11comp_targetILNS1_3genE3ELNS1_11target_archE908ELNS1_3gpuE7ELNS1_3repE0EEENS1_30default_config_static_selectorELNS0_4arch9wavefront6targetE1EEEvT1_, .Lfunc_end98-_ZN7rocprim17ROCPRIM_400000_NS6detail17trampoline_kernelINS0_14default_configENS1_27scan_by_key_config_selectorIllEEZZNS1_16scan_by_key_implILNS1_25lookback_scan_determinismE0ELb0ES3_PKlN6hipcub16HIPCUB_304000_NS21ConstantInputIteratorIllEEPllNSB_3SumENSB_8EqualityElEE10hipError_tPvRmT2_T3_T4_T5_mT6_T7_P12ihipStream_tbENKUlT_T0_E_clISt17integral_constantIbLb0EESX_EEDaSS_ST_EUlSS_E_NS1_11comp_targetILNS1_3genE3ELNS1_11target_archE908ELNS1_3gpuE7ELNS1_3repE0EEENS1_30default_config_static_selectorELNS0_4arch9wavefront6targetE1EEEvT1_
                                        ; -- End function
	.set _ZN7rocprim17ROCPRIM_400000_NS6detail17trampoline_kernelINS0_14default_configENS1_27scan_by_key_config_selectorIllEEZZNS1_16scan_by_key_implILNS1_25lookback_scan_determinismE0ELb0ES3_PKlN6hipcub16HIPCUB_304000_NS21ConstantInputIteratorIllEEPllNSB_3SumENSB_8EqualityElEE10hipError_tPvRmT2_T3_T4_T5_mT6_T7_P12ihipStream_tbENKUlT_T0_E_clISt17integral_constantIbLb0EESX_EEDaSS_ST_EUlSS_E_NS1_11comp_targetILNS1_3genE3ELNS1_11target_archE908ELNS1_3gpuE7ELNS1_3repE0EEENS1_30default_config_static_selectorELNS0_4arch9wavefront6targetE1EEEvT1_.num_vgpr, 0
	.set _ZN7rocprim17ROCPRIM_400000_NS6detail17trampoline_kernelINS0_14default_configENS1_27scan_by_key_config_selectorIllEEZZNS1_16scan_by_key_implILNS1_25lookback_scan_determinismE0ELb0ES3_PKlN6hipcub16HIPCUB_304000_NS21ConstantInputIteratorIllEEPllNSB_3SumENSB_8EqualityElEE10hipError_tPvRmT2_T3_T4_T5_mT6_T7_P12ihipStream_tbENKUlT_T0_E_clISt17integral_constantIbLb0EESX_EEDaSS_ST_EUlSS_E_NS1_11comp_targetILNS1_3genE3ELNS1_11target_archE908ELNS1_3gpuE7ELNS1_3repE0EEENS1_30default_config_static_selectorELNS0_4arch9wavefront6targetE1EEEvT1_.num_agpr, 0
	.set _ZN7rocprim17ROCPRIM_400000_NS6detail17trampoline_kernelINS0_14default_configENS1_27scan_by_key_config_selectorIllEEZZNS1_16scan_by_key_implILNS1_25lookback_scan_determinismE0ELb0ES3_PKlN6hipcub16HIPCUB_304000_NS21ConstantInputIteratorIllEEPllNSB_3SumENSB_8EqualityElEE10hipError_tPvRmT2_T3_T4_T5_mT6_T7_P12ihipStream_tbENKUlT_T0_E_clISt17integral_constantIbLb0EESX_EEDaSS_ST_EUlSS_E_NS1_11comp_targetILNS1_3genE3ELNS1_11target_archE908ELNS1_3gpuE7ELNS1_3repE0EEENS1_30default_config_static_selectorELNS0_4arch9wavefront6targetE1EEEvT1_.numbered_sgpr, 0
	.set _ZN7rocprim17ROCPRIM_400000_NS6detail17trampoline_kernelINS0_14default_configENS1_27scan_by_key_config_selectorIllEEZZNS1_16scan_by_key_implILNS1_25lookback_scan_determinismE0ELb0ES3_PKlN6hipcub16HIPCUB_304000_NS21ConstantInputIteratorIllEEPllNSB_3SumENSB_8EqualityElEE10hipError_tPvRmT2_T3_T4_T5_mT6_T7_P12ihipStream_tbENKUlT_T0_E_clISt17integral_constantIbLb0EESX_EEDaSS_ST_EUlSS_E_NS1_11comp_targetILNS1_3genE3ELNS1_11target_archE908ELNS1_3gpuE7ELNS1_3repE0EEENS1_30default_config_static_selectorELNS0_4arch9wavefront6targetE1EEEvT1_.num_named_barrier, 0
	.set _ZN7rocprim17ROCPRIM_400000_NS6detail17trampoline_kernelINS0_14default_configENS1_27scan_by_key_config_selectorIllEEZZNS1_16scan_by_key_implILNS1_25lookback_scan_determinismE0ELb0ES3_PKlN6hipcub16HIPCUB_304000_NS21ConstantInputIteratorIllEEPllNSB_3SumENSB_8EqualityElEE10hipError_tPvRmT2_T3_T4_T5_mT6_T7_P12ihipStream_tbENKUlT_T0_E_clISt17integral_constantIbLb0EESX_EEDaSS_ST_EUlSS_E_NS1_11comp_targetILNS1_3genE3ELNS1_11target_archE908ELNS1_3gpuE7ELNS1_3repE0EEENS1_30default_config_static_selectorELNS0_4arch9wavefront6targetE1EEEvT1_.private_seg_size, 0
	.set _ZN7rocprim17ROCPRIM_400000_NS6detail17trampoline_kernelINS0_14default_configENS1_27scan_by_key_config_selectorIllEEZZNS1_16scan_by_key_implILNS1_25lookback_scan_determinismE0ELb0ES3_PKlN6hipcub16HIPCUB_304000_NS21ConstantInputIteratorIllEEPllNSB_3SumENSB_8EqualityElEE10hipError_tPvRmT2_T3_T4_T5_mT6_T7_P12ihipStream_tbENKUlT_T0_E_clISt17integral_constantIbLb0EESX_EEDaSS_ST_EUlSS_E_NS1_11comp_targetILNS1_3genE3ELNS1_11target_archE908ELNS1_3gpuE7ELNS1_3repE0EEENS1_30default_config_static_selectorELNS0_4arch9wavefront6targetE1EEEvT1_.uses_vcc, 0
	.set _ZN7rocprim17ROCPRIM_400000_NS6detail17trampoline_kernelINS0_14default_configENS1_27scan_by_key_config_selectorIllEEZZNS1_16scan_by_key_implILNS1_25lookback_scan_determinismE0ELb0ES3_PKlN6hipcub16HIPCUB_304000_NS21ConstantInputIteratorIllEEPllNSB_3SumENSB_8EqualityElEE10hipError_tPvRmT2_T3_T4_T5_mT6_T7_P12ihipStream_tbENKUlT_T0_E_clISt17integral_constantIbLb0EESX_EEDaSS_ST_EUlSS_E_NS1_11comp_targetILNS1_3genE3ELNS1_11target_archE908ELNS1_3gpuE7ELNS1_3repE0EEENS1_30default_config_static_selectorELNS0_4arch9wavefront6targetE1EEEvT1_.uses_flat_scratch, 0
	.set _ZN7rocprim17ROCPRIM_400000_NS6detail17trampoline_kernelINS0_14default_configENS1_27scan_by_key_config_selectorIllEEZZNS1_16scan_by_key_implILNS1_25lookback_scan_determinismE0ELb0ES3_PKlN6hipcub16HIPCUB_304000_NS21ConstantInputIteratorIllEEPllNSB_3SumENSB_8EqualityElEE10hipError_tPvRmT2_T3_T4_T5_mT6_T7_P12ihipStream_tbENKUlT_T0_E_clISt17integral_constantIbLb0EESX_EEDaSS_ST_EUlSS_E_NS1_11comp_targetILNS1_3genE3ELNS1_11target_archE908ELNS1_3gpuE7ELNS1_3repE0EEENS1_30default_config_static_selectorELNS0_4arch9wavefront6targetE1EEEvT1_.has_dyn_sized_stack, 0
	.set _ZN7rocprim17ROCPRIM_400000_NS6detail17trampoline_kernelINS0_14default_configENS1_27scan_by_key_config_selectorIllEEZZNS1_16scan_by_key_implILNS1_25lookback_scan_determinismE0ELb0ES3_PKlN6hipcub16HIPCUB_304000_NS21ConstantInputIteratorIllEEPllNSB_3SumENSB_8EqualityElEE10hipError_tPvRmT2_T3_T4_T5_mT6_T7_P12ihipStream_tbENKUlT_T0_E_clISt17integral_constantIbLb0EESX_EEDaSS_ST_EUlSS_E_NS1_11comp_targetILNS1_3genE3ELNS1_11target_archE908ELNS1_3gpuE7ELNS1_3repE0EEENS1_30default_config_static_selectorELNS0_4arch9wavefront6targetE1EEEvT1_.has_recursion, 0
	.set _ZN7rocprim17ROCPRIM_400000_NS6detail17trampoline_kernelINS0_14default_configENS1_27scan_by_key_config_selectorIllEEZZNS1_16scan_by_key_implILNS1_25lookback_scan_determinismE0ELb0ES3_PKlN6hipcub16HIPCUB_304000_NS21ConstantInputIteratorIllEEPllNSB_3SumENSB_8EqualityElEE10hipError_tPvRmT2_T3_T4_T5_mT6_T7_P12ihipStream_tbENKUlT_T0_E_clISt17integral_constantIbLb0EESX_EEDaSS_ST_EUlSS_E_NS1_11comp_targetILNS1_3genE3ELNS1_11target_archE908ELNS1_3gpuE7ELNS1_3repE0EEENS1_30default_config_static_selectorELNS0_4arch9wavefront6targetE1EEEvT1_.has_indirect_call, 0
	.section	.AMDGPU.csdata,"",@progbits
; Kernel info:
; codeLenInByte = 0
; TotalNumSgprs: 6
; NumVgprs: 0
; NumAgprs: 0
; TotalNumVgprs: 0
; ScratchSize: 0
; MemoryBound: 0
; FloatMode: 240
; IeeeMode: 1
; LDSByteSize: 0 bytes/workgroup (compile time only)
; SGPRBlocks: 0
; VGPRBlocks: 0
; NumSGPRsForWavesPerEU: 6
; NumVGPRsForWavesPerEU: 1
; AccumOffset: 4
; Occupancy: 8
; WaveLimiterHint : 0
; COMPUTE_PGM_RSRC2:SCRATCH_EN: 0
; COMPUTE_PGM_RSRC2:USER_SGPR: 2
; COMPUTE_PGM_RSRC2:TRAP_HANDLER: 0
; COMPUTE_PGM_RSRC2:TGID_X_EN: 1
; COMPUTE_PGM_RSRC2:TGID_Y_EN: 0
; COMPUTE_PGM_RSRC2:TGID_Z_EN: 0
; COMPUTE_PGM_RSRC2:TIDIG_COMP_CNT: 0
; COMPUTE_PGM_RSRC3_GFX90A:ACCUM_OFFSET: 0
; COMPUTE_PGM_RSRC3_GFX90A:TG_SPLIT: 0
	.section	.text._ZN7rocprim17ROCPRIM_400000_NS6detail17trampoline_kernelINS0_14default_configENS1_27scan_by_key_config_selectorIllEEZZNS1_16scan_by_key_implILNS1_25lookback_scan_determinismE0ELb0ES3_PKlN6hipcub16HIPCUB_304000_NS21ConstantInputIteratorIllEEPllNSB_3SumENSB_8EqualityElEE10hipError_tPvRmT2_T3_T4_T5_mT6_T7_P12ihipStream_tbENKUlT_T0_E_clISt17integral_constantIbLb0EESX_EEDaSS_ST_EUlSS_E_NS1_11comp_targetILNS1_3genE2ELNS1_11target_archE906ELNS1_3gpuE6ELNS1_3repE0EEENS1_30default_config_static_selectorELNS0_4arch9wavefront6targetE1EEEvT1_,"axG",@progbits,_ZN7rocprim17ROCPRIM_400000_NS6detail17trampoline_kernelINS0_14default_configENS1_27scan_by_key_config_selectorIllEEZZNS1_16scan_by_key_implILNS1_25lookback_scan_determinismE0ELb0ES3_PKlN6hipcub16HIPCUB_304000_NS21ConstantInputIteratorIllEEPllNSB_3SumENSB_8EqualityElEE10hipError_tPvRmT2_T3_T4_T5_mT6_T7_P12ihipStream_tbENKUlT_T0_E_clISt17integral_constantIbLb0EESX_EEDaSS_ST_EUlSS_E_NS1_11comp_targetILNS1_3genE2ELNS1_11target_archE906ELNS1_3gpuE6ELNS1_3repE0EEENS1_30default_config_static_selectorELNS0_4arch9wavefront6targetE1EEEvT1_,comdat
	.protected	_ZN7rocprim17ROCPRIM_400000_NS6detail17trampoline_kernelINS0_14default_configENS1_27scan_by_key_config_selectorIllEEZZNS1_16scan_by_key_implILNS1_25lookback_scan_determinismE0ELb0ES3_PKlN6hipcub16HIPCUB_304000_NS21ConstantInputIteratorIllEEPllNSB_3SumENSB_8EqualityElEE10hipError_tPvRmT2_T3_T4_T5_mT6_T7_P12ihipStream_tbENKUlT_T0_E_clISt17integral_constantIbLb0EESX_EEDaSS_ST_EUlSS_E_NS1_11comp_targetILNS1_3genE2ELNS1_11target_archE906ELNS1_3gpuE6ELNS1_3repE0EEENS1_30default_config_static_selectorELNS0_4arch9wavefront6targetE1EEEvT1_ ; -- Begin function _ZN7rocprim17ROCPRIM_400000_NS6detail17trampoline_kernelINS0_14default_configENS1_27scan_by_key_config_selectorIllEEZZNS1_16scan_by_key_implILNS1_25lookback_scan_determinismE0ELb0ES3_PKlN6hipcub16HIPCUB_304000_NS21ConstantInputIteratorIllEEPllNSB_3SumENSB_8EqualityElEE10hipError_tPvRmT2_T3_T4_T5_mT6_T7_P12ihipStream_tbENKUlT_T0_E_clISt17integral_constantIbLb0EESX_EEDaSS_ST_EUlSS_E_NS1_11comp_targetILNS1_3genE2ELNS1_11target_archE906ELNS1_3gpuE6ELNS1_3repE0EEENS1_30default_config_static_selectorELNS0_4arch9wavefront6targetE1EEEvT1_
	.globl	_ZN7rocprim17ROCPRIM_400000_NS6detail17trampoline_kernelINS0_14default_configENS1_27scan_by_key_config_selectorIllEEZZNS1_16scan_by_key_implILNS1_25lookback_scan_determinismE0ELb0ES3_PKlN6hipcub16HIPCUB_304000_NS21ConstantInputIteratorIllEEPllNSB_3SumENSB_8EqualityElEE10hipError_tPvRmT2_T3_T4_T5_mT6_T7_P12ihipStream_tbENKUlT_T0_E_clISt17integral_constantIbLb0EESX_EEDaSS_ST_EUlSS_E_NS1_11comp_targetILNS1_3genE2ELNS1_11target_archE906ELNS1_3gpuE6ELNS1_3repE0EEENS1_30default_config_static_selectorELNS0_4arch9wavefront6targetE1EEEvT1_
	.p2align	8
	.type	_ZN7rocprim17ROCPRIM_400000_NS6detail17trampoline_kernelINS0_14default_configENS1_27scan_by_key_config_selectorIllEEZZNS1_16scan_by_key_implILNS1_25lookback_scan_determinismE0ELb0ES3_PKlN6hipcub16HIPCUB_304000_NS21ConstantInputIteratorIllEEPllNSB_3SumENSB_8EqualityElEE10hipError_tPvRmT2_T3_T4_T5_mT6_T7_P12ihipStream_tbENKUlT_T0_E_clISt17integral_constantIbLb0EESX_EEDaSS_ST_EUlSS_E_NS1_11comp_targetILNS1_3genE2ELNS1_11target_archE906ELNS1_3gpuE6ELNS1_3repE0EEENS1_30default_config_static_selectorELNS0_4arch9wavefront6targetE1EEEvT1_,@function
_ZN7rocprim17ROCPRIM_400000_NS6detail17trampoline_kernelINS0_14default_configENS1_27scan_by_key_config_selectorIllEEZZNS1_16scan_by_key_implILNS1_25lookback_scan_determinismE0ELb0ES3_PKlN6hipcub16HIPCUB_304000_NS21ConstantInputIteratorIllEEPllNSB_3SumENSB_8EqualityElEE10hipError_tPvRmT2_T3_T4_T5_mT6_T7_P12ihipStream_tbENKUlT_T0_E_clISt17integral_constantIbLb0EESX_EEDaSS_ST_EUlSS_E_NS1_11comp_targetILNS1_3genE2ELNS1_11target_archE906ELNS1_3gpuE6ELNS1_3repE0EEENS1_30default_config_static_selectorELNS0_4arch9wavefront6targetE1EEEvT1_: ; @_ZN7rocprim17ROCPRIM_400000_NS6detail17trampoline_kernelINS0_14default_configENS1_27scan_by_key_config_selectorIllEEZZNS1_16scan_by_key_implILNS1_25lookback_scan_determinismE0ELb0ES3_PKlN6hipcub16HIPCUB_304000_NS21ConstantInputIteratorIllEEPllNSB_3SumENSB_8EqualityElEE10hipError_tPvRmT2_T3_T4_T5_mT6_T7_P12ihipStream_tbENKUlT_T0_E_clISt17integral_constantIbLb0EESX_EEDaSS_ST_EUlSS_E_NS1_11comp_targetILNS1_3genE2ELNS1_11target_archE906ELNS1_3gpuE6ELNS1_3repE0EEENS1_30default_config_static_selectorELNS0_4arch9wavefront6targetE1EEEvT1_
; %bb.0:
	.section	.rodata,"a",@progbits
	.p2align	6, 0x0
	.amdhsa_kernel _ZN7rocprim17ROCPRIM_400000_NS6detail17trampoline_kernelINS0_14default_configENS1_27scan_by_key_config_selectorIllEEZZNS1_16scan_by_key_implILNS1_25lookback_scan_determinismE0ELb0ES3_PKlN6hipcub16HIPCUB_304000_NS21ConstantInputIteratorIllEEPllNSB_3SumENSB_8EqualityElEE10hipError_tPvRmT2_T3_T4_T5_mT6_T7_P12ihipStream_tbENKUlT_T0_E_clISt17integral_constantIbLb0EESX_EEDaSS_ST_EUlSS_E_NS1_11comp_targetILNS1_3genE2ELNS1_11target_archE906ELNS1_3gpuE6ELNS1_3repE0EEENS1_30default_config_static_selectorELNS0_4arch9wavefront6targetE1EEEvT1_
		.amdhsa_group_segment_fixed_size 0
		.amdhsa_private_segment_fixed_size 0
		.amdhsa_kernarg_size 144
		.amdhsa_user_sgpr_count 2
		.amdhsa_user_sgpr_dispatch_ptr 0
		.amdhsa_user_sgpr_queue_ptr 0
		.amdhsa_user_sgpr_kernarg_segment_ptr 1
		.amdhsa_user_sgpr_dispatch_id 0
		.amdhsa_user_sgpr_kernarg_preload_length 0
		.amdhsa_user_sgpr_kernarg_preload_offset 0
		.amdhsa_user_sgpr_private_segment_size 0
		.amdhsa_uses_dynamic_stack 0
		.amdhsa_enable_private_segment 0
		.amdhsa_system_sgpr_workgroup_id_x 1
		.amdhsa_system_sgpr_workgroup_id_y 0
		.amdhsa_system_sgpr_workgroup_id_z 0
		.amdhsa_system_sgpr_workgroup_info 0
		.amdhsa_system_vgpr_workitem_id 0
		.amdhsa_next_free_vgpr 1
		.amdhsa_next_free_sgpr 0
		.amdhsa_accum_offset 4
		.amdhsa_reserve_vcc 0
		.amdhsa_float_round_mode_32 0
		.amdhsa_float_round_mode_16_64 0
		.amdhsa_float_denorm_mode_32 3
		.amdhsa_float_denorm_mode_16_64 3
		.amdhsa_dx10_clamp 1
		.amdhsa_ieee_mode 1
		.amdhsa_fp16_overflow 0
		.amdhsa_tg_split 0
		.amdhsa_exception_fp_ieee_invalid_op 0
		.amdhsa_exception_fp_denorm_src 0
		.amdhsa_exception_fp_ieee_div_zero 0
		.amdhsa_exception_fp_ieee_overflow 0
		.amdhsa_exception_fp_ieee_underflow 0
		.amdhsa_exception_fp_ieee_inexact 0
		.amdhsa_exception_int_div_zero 0
	.end_amdhsa_kernel
	.section	.text._ZN7rocprim17ROCPRIM_400000_NS6detail17trampoline_kernelINS0_14default_configENS1_27scan_by_key_config_selectorIllEEZZNS1_16scan_by_key_implILNS1_25lookback_scan_determinismE0ELb0ES3_PKlN6hipcub16HIPCUB_304000_NS21ConstantInputIteratorIllEEPllNSB_3SumENSB_8EqualityElEE10hipError_tPvRmT2_T3_T4_T5_mT6_T7_P12ihipStream_tbENKUlT_T0_E_clISt17integral_constantIbLb0EESX_EEDaSS_ST_EUlSS_E_NS1_11comp_targetILNS1_3genE2ELNS1_11target_archE906ELNS1_3gpuE6ELNS1_3repE0EEENS1_30default_config_static_selectorELNS0_4arch9wavefront6targetE1EEEvT1_,"axG",@progbits,_ZN7rocprim17ROCPRIM_400000_NS6detail17trampoline_kernelINS0_14default_configENS1_27scan_by_key_config_selectorIllEEZZNS1_16scan_by_key_implILNS1_25lookback_scan_determinismE0ELb0ES3_PKlN6hipcub16HIPCUB_304000_NS21ConstantInputIteratorIllEEPllNSB_3SumENSB_8EqualityElEE10hipError_tPvRmT2_T3_T4_T5_mT6_T7_P12ihipStream_tbENKUlT_T0_E_clISt17integral_constantIbLb0EESX_EEDaSS_ST_EUlSS_E_NS1_11comp_targetILNS1_3genE2ELNS1_11target_archE906ELNS1_3gpuE6ELNS1_3repE0EEENS1_30default_config_static_selectorELNS0_4arch9wavefront6targetE1EEEvT1_,comdat
.Lfunc_end99:
	.size	_ZN7rocprim17ROCPRIM_400000_NS6detail17trampoline_kernelINS0_14default_configENS1_27scan_by_key_config_selectorIllEEZZNS1_16scan_by_key_implILNS1_25lookback_scan_determinismE0ELb0ES3_PKlN6hipcub16HIPCUB_304000_NS21ConstantInputIteratorIllEEPllNSB_3SumENSB_8EqualityElEE10hipError_tPvRmT2_T3_T4_T5_mT6_T7_P12ihipStream_tbENKUlT_T0_E_clISt17integral_constantIbLb0EESX_EEDaSS_ST_EUlSS_E_NS1_11comp_targetILNS1_3genE2ELNS1_11target_archE906ELNS1_3gpuE6ELNS1_3repE0EEENS1_30default_config_static_selectorELNS0_4arch9wavefront6targetE1EEEvT1_, .Lfunc_end99-_ZN7rocprim17ROCPRIM_400000_NS6detail17trampoline_kernelINS0_14default_configENS1_27scan_by_key_config_selectorIllEEZZNS1_16scan_by_key_implILNS1_25lookback_scan_determinismE0ELb0ES3_PKlN6hipcub16HIPCUB_304000_NS21ConstantInputIteratorIllEEPllNSB_3SumENSB_8EqualityElEE10hipError_tPvRmT2_T3_T4_T5_mT6_T7_P12ihipStream_tbENKUlT_T0_E_clISt17integral_constantIbLb0EESX_EEDaSS_ST_EUlSS_E_NS1_11comp_targetILNS1_3genE2ELNS1_11target_archE906ELNS1_3gpuE6ELNS1_3repE0EEENS1_30default_config_static_selectorELNS0_4arch9wavefront6targetE1EEEvT1_
                                        ; -- End function
	.set _ZN7rocprim17ROCPRIM_400000_NS6detail17trampoline_kernelINS0_14default_configENS1_27scan_by_key_config_selectorIllEEZZNS1_16scan_by_key_implILNS1_25lookback_scan_determinismE0ELb0ES3_PKlN6hipcub16HIPCUB_304000_NS21ConstantInputIteratorIllEEPllNSB_3SumENSB_8EqualityElEE10hipError_tPvRmT2_T3_T4_T5_mT6_T7_P12ihipStream_tbENKUlT_T0_E_clISt17integral_constantIbLb0EESX_EEDaSS_ST_EUlSS_E_NS1_11comp_targetILNS1_3genE2ELNS1_11target_archE906ELNS1_3gpuE6ELNS1_3repE0EEENS1_30default_config_static_selectorELNS0_4arch9wavefront6targetE1EEEvT1_.num_vgpr, 0
	.set _ZN7rocprim17ROCPRIM_400000_NS6detail17trampoline_kernelINS0_14default_configENS1_27scan_by_key_config_selectorIllEEZZNS1_16scan_by_key_implILNS1_25lookback_scan_determinismE0ELb0ES3_PKlN6hipcub16HIPCUB_304000_NS21ConstantInputIteratorIllEEPllNSB_3SumENSB_8EqualityElEE10hipError_tPvRmT2_T3_T4_T5_mT6_T7_P12ihipStream_tbENKUlT_T0_E_clISt17integral_constantIbLb0EESX_EEDaSS_ST_EUlSS_E_NS1_11comp_targetILNS1_3genE2ELNS1_11target_archE906ELNS1_3gpuE6ELNS1_3repE0EEENS1_30default_config_static_selectorELNS0_4arch9wavefront6targetE1EEEvT1_.num_agpr, 0
	.set _ZN7rocprim17ROCPRIM_400000_NS6detail17trampoline_kernelINS0_14default_configENS1_27scan_by_key_config_selectorIllEEZZNS1_16scan_by_key_implILNS1_25lookback_scan_determinismE0ELb0ES3_PKlN6hipcub16HIPCUB_304000_NS21ConstantInputIteratorIllEEPllNSB_3SumENSB_8EqualityElEE10hipError_tPvRmT2_T3_T4_T5_mT6_T7_P12ihipStream_tbENKUlT_T0_E_clISt17integral_constantIbLb0EESX_EEDaSS_ST_EUlSS_E_NS1_11comp_targetILNS1_3genE2ELNS1_11target_archE906ELNS1_3gpuE6ELNS1_3repE0EEENS1_30default_config_static_selectorELNS0_4arch9wavefront6targetE1EEEvT1_.numbered_sgpr, 0
	.set _ZN7rocprim17ROCPRIM_400000_NS6detail17trampoline_kernelINS0_14default_configENS1_27scan_by_key_config_selectorIllEEZZNS1_16scan_by_key_implILNS1_25lookback_scan_determinismE0ELb0ES3_PKlN6hipcub16HIPCUB_304000_NS21ConstantInputIteratorIllEEPllNSB_3SumENSB_8EqualityElEE10hipError_tPvRmT2_T3_T4_T5_mT6_T7_P12ihipStream_tbENKUlT_T0_E_clISt17integral_constantIbLb0EESX_EEDaSS_ST_EUlSS_E_NS1_11comp_targetILNS1_3genE2ELNS1_11target_archE906ELNS1_3gpuE6ELNS1_3repE0EEENS1_30default_config_static_selectorELNS0_4arch9wavefront6targetE1EEEvT1_.num_named_barrier, 0
	.set _ZN7rocprim17ROCPRIM_400000_NS6detail17trampoline_kernelINS0_14default_configENS1_27scan_by_key_config_selectorIllEEZZNS1_16scan_by_key_implILNS1_25lookback_scan_determinismE0ELb0ES3_PKlN6hipcub16HIPCUB_304000_NS21ConstantInputIteratorIllEEPllNSB_3SumENSB_8EqualityElEE10hipError_tPvRmT2_T3_T4_T5_mT6_T7_P12ihipStream_tbENKUlT_T0_E_clISt17integral_constantIbLb0EESX_EEDaSS_ST_EUlSS_E_NS1_11comp_targetILNS1_3genE2ELNS1_11target_archE906ELNS1_3gpuE6ELNS1_3repE0EEENS1_30default_config_static_selectorELNS0_4arch9wavefront6targetE1EEEvT1_.private_seg_size, 0
	.set _ZN7rocprim17ROCPRIM_400000_NS6detail17trampoline_kernelINS0_14default_configENS1_27scan_by_key_config_selectorIllEEZZNS1_16scan_by_key_implILNS1_25lookback_scan_determinismE0ELb0ES3_PKlN6hipcub16HIPCUB_304000_NS21ConstantInputIteratorIllEEPllNSB_3SumENSB_8EqualityElEE10hipError_tPvRmT2_T3_T4_T5_mT6_T7_P12ihipStream_tbENKUlT_T0_E_clISt17integral_constantIbLb0EESX_EEDaSS_ST_EUlSS_E_NS1_11comp_targetILNS1_3genE2ELNS1_11target_archE906ELNS1_3gpuE6ELNS1_3repE0EEENS1_30default_config_static_selectorELNS0_4arch9wavefront6targetE1EEEvT1_.uses_vcc, 0
	.set _ZN7rocprim17ROCPRIM_400000_NS6detail17trampoline_kernelINS0_14default_configENS1_27scan_by_key_config_selectorIllEEZZNS1_16scan_by_key_implILNS1_25lookback_scan_determinismE0ELb0ES3_PKlN6hipcub16HIPCUB_304000_NS21ConstantInputIteratorIllEEPllNSB_3SumENSB_8EqualityElEE10hipError_tPvRmT2_T3_T4_T5_mT6_T7_P12ihipStream_tbENKUlT_T0_E_clISt17integral_constantIbLb0EESX_EEDaSS_ST_EUlSS_E_NS1_11comp_targetILNS1_3genE2ELNS1_11target_archE906ELNS1_3gpuE6ELNS1_3repE0EEENS1_30default_config_static_selectorELNS0_4arch9wavefront6targetE1EEEvT1_.uses_flat_scratch, 0
	.set _ZN7rocprim17ROCPRIM_400000_NS6detail17trampoline_kernelINS0_14default_configENS1_27scan_by_key_config_selectorIllEEZZNS1_16scan_by_key_implILNS1_25lookback_scan_determinismE0ELb0ES3_PKlN6hipcub16HIPCUB_304000_NS21ConstantInputIteratorIllEEPllNSB_3SumENSB_8EqualityElEE10hipError_tPvRmT2_T3_T4_T5_mT6_T7_P12ihipStream_tbENKUlT_T0_E_clISt17integral_constantIbLb0EESX_EEDaSS_ST_EUlSS_E_NS1_11comp_targetILNS1_3genE2ELNS1_11target_archE906ELNS1_3gpuE6ELNS1_3repE0EEENS1_30default_config_static_selectorELNS0_4arch9wavefront6targetE1EEEvT1_.has_dyn_sized_stack, 0
	.set _ZN7rocprim17ROCPRIM_400000_NS6detail17trampoline_kernelINS0_14default_configENS1_27scan_by_key_config_selectorIllEEZZNS1_16scan_by_key_implILNS1_25lookback_scan_determinismE0ELb0ES3_PKlN6hipcub16HIPCUB_304000_NS21ConstantInputIteratorIllEEPllNSB_3SumENSB_8EqualityElEE10hipError_tPvRmT2_T3_T4_T5_mT6_T7_P12ihipStream_tbENKUlT_T0_E_clISt17integral_constantIbLb0EESX_EEDaSS_ST_EUlSS_E_NS1_11comp_targetILNS1_3genE2ELNS1_11target_archE906ELNS1_3gpuE6ELNS1_3repE0EEENS1_30default_config_static_selectorELNS0_4arch9wavefront6targetE1EEEvT1_.has_recursion, 0
	.set _ZN7rocprim17ROCPRIM_400000_NS6detail17trampoline_kernelINS0_14default_configENS1_27scan_by_key_config_selectorIllEEZZNS1_16scan_by_key_implILNS1_25lookback_scan_determinismE0ELb0ES3_PKlN6hipcub16HIPCUB_304000_NS21ConstantInputIteratorIllEEPllNSB_3SumENSB_8EqualityElEE10hipError_tPvRmT2_T3_T4_T5_mT6_T7_P12ihipStream_tbENKUlT_T0_E_clISt17integral_constantIbLb0EESX_EEDaSS_ST_EUlSS_E_NS1_11comp_targetILNS1_3genE2ELNS1_11target_archE906ELNS1_3gpuE6ELNS1_3repE0EEENS1_30default_config_static_selectorELNS0_4arch9wavefront6targetE1EEEvT1_.has_indirect_call, 0
	.section	.AMDGPU.csdata,"",@progbits
; Kernel info:
; codeLenInByte = 0
; TotalNumSgprs: 6
; NumVgprs: 0
; NumAgprs: 0
; TotalNumVgprs: 0
; ScratchSize: 0
; MemoryBound: 0
; FloatMode: 240
; IeeeMode: 1
; LDSByteSize: 0 bytes/workgroup (compile time only)
; SGPRBlocks: 0
; VGPRBlocks: 0
; NumSGPRsForWavesPerEU: 6
; NumVGPRsForWavesPerEU: 1
; AccumOffset: 4
; Occupancy: 8
; WaveLimiterHint : 0
; COMPUTE_PGM_RSRC2:SCRATCH_EN: 0
; COMPUTE_PGM_RSRC2:USER_SGPR: 2
; COMPUTE_PGM_RSRC2:TRAP_HANDLER: 0
; COMPUTE_PGM_RSRC2:TGID_X_EN: 1
; COMPUTE_PGM_RSRC2:TGID_Y_EN: 0
; COMPUTE_PGM_RSRC2:TGID_Z_EN: 0
; COMPUTE_PGM_RSRC2:TIDIG_COMP_CNT: 0
; COMPUTE_PGM_RSRC3_GFX90A:ACCUM_OFFSET: 0
; COMPUTE_PGM_RSRC3_GFX90A:TG_SPLIT: 0
	.section	.text._ZN7rocprim17ROCPRIM_400000_NS6detail17trampoline_kernelINS0_14default_configENS1_27scan_by_key_config_selectorIllEEZZNS1_16scan_by_key_implILNS1_25lookback_scan_determinismE0ELb0ES3_PKlN6hipcub16HIPCUB_304000_NS21ConstantInputIteratorIllEEPllNSB_3SumENSB_8EqualityElEE10hipError_tPvRmT2_T3_T4_T5_mT6_T7_P12ihipStream_tbENKUlT_T0_E_clISt17integral_constantIbLb0EESX_EEDaSS_ST_EUlSS_E_NS1_11comp_targetILNS1_3genE10ELNS1_11target_archE1200ELNS1_3gpuE4ELNS1_3repE0EEENS1_30default_config_static_selectorELNS0_4arch9wavefront6targetE1EEEvT1_,"axG",@progbits,_ZN7rocprim17ROCPRIM_400000_NS6detail17trampoline_kernelINS0_14default_configENS1_27scan_by_key_config_selectorIllEEZZNS1_16scan_by_key_implILNS1_25lookback_scan_determinismE0ELb0ES3_PKlN6hipcub16HIPCUB_304000_NS21ConstantInputIteratorIllEEPllNSB_3SumENSB_8EqualityElEE10hipError_tPvRmT2_T3_T4_T5_mT6_T7_P12ihipStream_tbENKUlT_T0_E_clISt17integral_constantIbLb0EESX_EEDaSS_ST_EUlSS_E_NS1_11comp_targetILNS1_3genE10ELNS1_11target_archE1200ELNS1_3gpuE4ELNS1_3repE0EEENS1_30default_config_static_selectorELNS0_4arch9wavefront6targetE1EEEvT1_,comdat
	.protected	_ZN7rocprim17ROCPRIM_400000_NS6detail17trampoline_kernelINS0_14default_configENS1_27scan_by_key_config_selectorIllEEZZNS1_16scan_by_key_implILNS1_25lookback_scan_determinismE0ELb0ES3_PKlN6hipcub16HIPCUB_304000_NS21ConstantInputIteratorIllEEPllNSB_3SumENSB_8EqualityElEE10hipError_tPvRmT2_T3_T4_T5_mT6_T7_P12ihipStream_tbENKUlT_T0_E_clISt17integral_constantIbLb0EESX_EEDaSS_ST_EUlSS_E_NS1_11comp_targetILNS1_3genE10ELNS1_11target_archE1200ELNS1_3gpuE4ELNS1_3repE0EEENS1_30default_config_static_selectorELNS0_4arch9wavefront6targetE1EEEvT1_ ; -- Begin function _ZN7rocprim17ROCPRIM_400000_NS6detail17trampoline_kernelINS0_14default_configENS1_27scan_by_key_config_selectorIllEEZZNS1_16scan_by_key_implILNS1_25lookback_scan_determinismE0ELb0ES3_PKlN6hipcub16HIPCUB_304000_NS21ConstantInputIteratorIllEEPllNSB_3SumENSB_8EqualityElEE10hipError_tPvRmT2_T3_T4_T5_mT6_T7_P12ihipStream_tbENKUlT_T0_E_clISt17integral_constantIbLb0EESX_EEDaSS_ST_EUlSS_E_NS1_11comp_targetILNS1_3genE10ELNS1_11target_archE1200ELNS1_3gpuE4ELNS1_3repE0EEENS1_30default_config_static_selectorELNS0_4arch9wavefront6targetE1EEEvT1_
	.globl	_ZN7rocprim17ROCPRIM_400000_NS6detail17trampoline_kernelINS0_14default_configENS1_27scan_by_key_config_selectorIllEEZZNS1_16scan_by_key_implILNS1_25lookback_scan_determinismE0ELb0ES3_PKlN6hipcub16HIPCUB_304000_NS21ConstantInputIteratorIllEEPllNSB_3SumENSB_8EqualityElEE10hipError_tPvRmT2_T3_T4_T5_mT6_T7_P12ihipStream_tbENKUlT_T0_E_clISt17integral_constantIbLb0EESX_EEDaSS_ST_EUlSS_E_NS1_11comp_targetILNS1_3genE10ELNS1_11target_archE1200ELNS1_3gpuE4ELNS1_3repE0EEENS1_30default_config_static_selectorELNS0_4arch9wavefront6targetE1EEEvT1_
	.p2align	8
	.type	_ZN7rocprim17ROCPRIM_400000_NS6detail17trampoline_kernelINS0_14default_configENS1_27scan_by_key_config_selectorIllEEZZNS1_16scan_by_key_implILNS1_25lookback_scan_determinismE0ELb0ES3_PKlN6hipcub16HIPCUB_304000_NS21ConstantInputIteratorIllEEPllNSB_3SumENSB_8EqualityElEE10hipError_tPvRmT2_T3_T4_T5_mT6_T7_P12ihipStream_tbENKUlT_T0_E_clISt17integral_constantIbLb0EESX_EEDaSS_ST_EUlSS_E_NS1_11comp_targetILNS1_3genE10ELNS1_11target_archE1200ELNS1_3gpuE4ELNS1_3repE0EEENS1_30default_config_static_selectorELNS0_4arch9wavefront6targetE1EEEvT1_,@function
_ZN7rocprim17ROCPRIM_400000_NS6detail17trampoline_kernelINS0_14default_configENS1_27scan_by_key_config_selectorIllEEZZNS1_16scan_by_key_implILNS1_25lookback_scan_determinismE0ELb0ES3_PKlN6hipcub16HIPCUB_304000_NS21ConstantInputIteratorIllEEPllNSB_3SumENSB_8EqualityElEE10hipError_tPvRmT2_T3_T4_T5_mT6_T7_P12ihipStream_tbENKUlT_T0_E_clISt17integral_constantIbLb0EESX_EEDaSS_ST_EUlSS_E_NS1_11comp_targetILNS1_3genE10ELNS1_11target_archE1200ELNS1_3gpuE4ELNS1_3repE0EEENS1_30default_config_static_selectorELNS0_4arch9wavefront6targetE1EEEvT1_: ; @_ZN7rocprim17ROCPRIM_400000_NS6detail17trampoline_kernelINS0_14default_configENS1_27scan_by_key_config_selectorIllEEZZNS1_16scan_by_key_implILNS1_25lookback_scan_determinismE0ELb0ES3_PKlN6hipcub16HIPCUB_304000_NS21ConstantInputIteratorIllEEPllNSB_3SumENSB_8EqualityElEE10hipError_tPvRmT2_T3_T4_T5_mT6_T7_P12ihipStream_tbENKUlT_T0_E_clISt17integral_constantIbLb0EESX_EEDaSS_ST_EUlSS_E_NS1_11comp_targetILNS1_3genE10ELNS1_11target_archE1200ELNS1_3gpuE4ELNS1_3repE0EEENS1_30default_config_static_selectorELNS0_4arch9wavefront6targetE1EEEvT1_
; %bb.0:
	.section	.rodata,"a",@progbits
	.p2align	6, 0x0
	.amdhsa_kernel _ZN7rocprim17ROCPRIM_400000_NS6detail17trampoline_kernelINS0_14default_configENS1_27scan_by_key_config_selectorIllEEZZNS1_16scan_by_key_implILNS1_25lookback_scan_determinismE0ELb0ES3_PKlN6hipcub16HIPCUB_304000_NS21ConstantInputIteratorIllEEPllNSB_3SumENSB_8EqualityElEE10hipError_tPvRmT2_T3_T4_T5_mT6_T7_P12ihipStream_tbENKUlT_T0_E_clISt17integral_constantIbLb0EESX_EEDaSS_ST_EUlSS_E_NS1_11comp_targetILNS1_3genE10ELNS1_11target_archE1200ELNS1_3gpuE4ELNS1_3repE0EEENS1_30default_config_static_selectorELNS0_4arch9wavefront6targetE1EEEvT1_
		.amdhsa_group_segment_fixed_size 0
		.amdhsa_private_segment_fixed_size 0
		.amdhsa_kernarg_size 144
		.amdhsa_user_sgpr_count 2
		.amdhsa_user_sgpr_dispatch_ptr 0
		.amdhsa_user_sgpr_queue_ptr 0
		.amdhsa_user_sgpr_kernarg_segment_ptr 1
		.amdhsa_user_sgpr_dispatch_id 0
		.amdhsa_user_sgpr_kernarg_preload_length 0
		.amdhsa_user_sgpr_kernarg_preload_offset 0
		.amdhsa_user_sgpr_private_segment_size 0
		.amdhsa_uses_dynamic_stack 0
		.amdhsa_enable_private_segment 0
		.amdhsa_system_sgpr_workgroup_id_x 1
		.amdhsa_system_sgpr_workgroup_id_y 0
		.amdhsa_system_sgpr_workgroup_id_z 0
		.amdhsa_system_sgpr_workgroup_info 0
		.amdhsa_system_vgpr_workitem_id 0
		.amdhsa_next_free_vgpr 1
		.amdhsa_next_free_sgpr 0
		.amdhsa_accum_offset 4
		.amdhsa_reserve_vcc 0
		.amdhsa_float_round_mode_32 0
		.amdhsa_float_round_mode_16_64 0
		.amdhsa_float_denorm_mode_32 3
		.amdhsa_float_denorm_mode_16_64 3
		.amdhsa_dx10_clamp 1
		.amdhsa_ieee_mode 1
		.amdhsa_fp16_overflow 0
		.amdhsa_tg_split 0
		.amdhsa_exception_fp_ieee_invalid_op 0
		.amdhsa_exception_fp_denorm_src 0
		.amdhsa_exception_fp_ieee_div_zero 0
		.amdhsa_exception_fp_ieee_overflow 0
		.amdhsa_exception_fp_ieee_underflow 0
		.amdhsa_exception_fp_ieee_inexact 0
		.amdhsa_exception_int_div_zero 0
	.end_amdhsa_kernel
	.section	.text._ZN7rocprim17ROCPRIM_400000_NS6detail17trampoline_kernelINS0_14default_configENS1_27scan_by_key_config_selectorIllEEZZNS1_16scan_by_key_implILNS1_25lookback_scan_determinismE0ELb0ES3_PKlN6hipcub16HIPCUB_304000_NS21ConstantInputIteratorIllEEPllNSB_3SumENSB_8EqualityElEE10hipError_tPvRmT2_T3_T4_T5_mT6_T7_P12ihipStream_tbENKUlT_T0_E_clISt17integral_constantIbLb0EESX_EEDaSS_ST_EUlSS_E_NS1_11comp_targetILNS1_3genE10ELNS1_11target_archE1200ELNS1_3gpuE4ELNS1_3repE0EEENS1_30default_config_static_selectorELNS0_4arch9wavefront6targetE1EEEvT1_,"axG",@progbits,_ZN7rocprim17ROCPRIM_400000_NS6detail17trampoline_kernelINS0_14default_configENS1_27scan_by_key_config_selectorIllEEZZNS1_16scan_by_key_implILNS1_25lookback_scan_determinismE0ELb0ES3_PKlN6hipcub16HIPCUB_304000_NS21ConstantInputIteratorIllEEPllNSB_3SumENSB_8EqualityElEE10hipError_tPvRmT2_T3_T4_T5_mT6_T7_P12ihipStream_tbENKUlT_T0_E_clISt17integral_constantIbLb0EESX_EEDaSS_ST_EUlSS_E_NS1_11comp_targetILNS1_3genE10ELNS1_11target_archE1200ELNS1_3gpuE4ELNS1_3repE0EEENS1_30default_config_static_selectorELNS0_4arch9wavefront6targetE1EEEvT1_,comdat
.Lfunc_end100:
	.size	_ZN7rocprim17ROCPRIM_400000_NS6detail17trampoline_kernelINS0_14default_configENS1_27scan_by_key_config_selectorIllEEZZNS1_16scan_by_key_implILNS1_25lookback_scan_determinismE0ELb0ES3_PKlN6hipcub16HIPCUB_304000_NS21ConstantInputIteratorIllEEPllNSB_3SumENSB_8EqualityElEE10hipError_tPvRmT2_T3_T4_T5_mT6_T7_P12ihipStream_tbENKUlT_T0_E_clISt17integral_constantIbLb0EESX_EEDaSS_ST_EUlSS_E_NS1_11comp_targetILNS1_3genE10ELNS1_11target_archE1200ELNS1_3gpuE4ELNS1_3repE0EEENS1_30default_config_static_selectorELNS0_4arch9wavefront6targetE1EEEvT1_, .Lfunc_end100-_ZN7rocprim17ROCPRIM_400000_NS6detail17trampoline_kernelINS0_14default_configENS1_27scan_by_key_config_selectorIllEEZZNS1_16scan_by_key_implILNS1_25lookback_scan_determinismE0ELb0ES3_PKlN6hipcub16HIPCUB_304000_NS21ConstantInputIteratorIllEEPllNSB_3SumENSB_8EqualityElEE10hipError_tPvRmT2_T3_T4_T5_mT6_T7_P12ihipStream_tbENKUlT_T0_E_clISt17integral_constantIbLb0EESX_EEDaSS_ST_EUlSS_E_NS1_11comp_targetILNS1_3genE10ELNS1_11target_archE1200ELNS1_3gpuE4ELNS1_3repE0EEENS1_30default_config_static_selectorELNS0_4arch9wavefront6targetE1EEEvT1_
                                        ; -- End function
	.set _ZN7rocprim17ROCPRIM_400000_NS6detail17trampoline_kernelINS0_14default_configENS1_27scan_by_key_config_selectorIllEEZZNS1_16scan_by_key_implILNS1_25lookback_scan_determinismE0ELb0ES3_PKlN6hipcub16HIPCUB_304000_NS21ConstantInputIteratorIllEEPllNSB_3SumENSB_8EqualityElEE10hipError_tPvRmT2_T3_T4_T5_mT6_T7_P12ihipStream_tbENKUlT_T0_E_clISt17integral_constantIbLb0EESX_EEDaSS_ST_EUlSS_E_NS1_11comp_targetILNS1_3genE10ELNS1_11target_archE1200ELNS1_3gpuE4ELNS1_3repE0EEENS1_30default_config_static_selectorELNS0_4arch9wavefront6targetE1EEEvT1_.num_vgpr, 0
	.set _ZN7rocprim17ROCPRIM_400000_NS6detail17trampoline_kernelINS0_14default_configENS1_27scan_by_key_config_selectorIllEEZZNS1_16scan_by_key_implILNS1_25lookback_scan_determinismE0ELb0ES3_PKlN6hipcub16HIPCUB_304000_NS21ConstantInputIteratorIllEEPllNSB_3SumENSB_8EqualityElEE10hipError_tPvRmT2_T3_T4_T5_mT6_T7_P12ihipStream_tbENKUlT_T0_E_clISt17integral_constantIbLb0EESX_EEDaSS_ST_EUlSS_E_NS1_11comp_targetILNS1_3genE10ELNS1_11target_archE1200ELNS1_3gpuE4ELNS1_3repE0EEENS1_30default_config_static_selectorELNS0_4arch9wavefront6targetE1EEEvT1_.num_agpr, 0
	.set _ZN7rocprim17ROCPRIM_400000_NS6detail17trampoline_kernelINS0_14default_configENS1_27scan_by_key_config_selectorIllEEZZNS1_16scan_by_key_implILNS1_25lookback_scan_determinismE0ELb0ES3_PKlN6hipcub16HIPCUB_304000_NS21ConstantInputIteratorIllEEPllNSB_3SumENSB_8EqualityElEE10hipError_tPvRmT2_T3_T4_T5_mT6_T7_P12ihipStream_tbENKUlT_T0_E_clISt17integral_constantIbLb0EESX_EEDaSS_ST_EUlSS_E_NS1_11comp_targetILNS1_3genE10ELNS1_11target_archE1200ELNS1_3gpuE4ELNS1_3repE0EEENS1_30default_config_static_selectorELNS0_4arch9wavefront6targetE1EEEvT1_.numbered_sgpr, 0
	.set _ZN7rocprim17ROCPRIM_400000_NS6detail17trampoline_kernelINS0_14default_configENS1_27scan_by_key_config_selectorIllEEZZNS1_16scan_by_key_implILNS1_25lookback_scan_determinismE0ELb0ES3_PKlN6hipcub16HIPCUB_304000_NS21ConstantInputIteratorIllEEPllNSB_3SumENSB_8EqualityElEE10hipError_tPvRmT2_T3_T4_T5_mT6_T7_P12ihipStream_tbENKUlT_T0_E_clISt17integral_constantIbLb0EESX_EEDaSS_ST_EUlSS_E_NS1_11comp_targetILNS1_3genE10ELNS1_11target_archE1200ELNS1_3gpuE4ELNS1_3repE0EEENS1_30default_config_static_selectorELNS0_4arch9wavefront6targetE1EEEvT1_.num_named_barrier, 0
	.set _ZN7rocprim17ROCPRIM_400000_NS6detail17trampoline_kernelINS0_14default_configENS1_27scan_by_key_config_selectorIllEEZZNS1_16scan_by_key_implILNS1_25lookback_scan_determinismE0ELb0ES3_PKlN6hipcub16HIPCUB_304000_NS21ConstantInputIteratorIllEEPllNSB_3SumENSB_8EqualityElEE10hipError_tPvRmT2_T3_T4_T5_mT6_T7_P12ihipStream_tbENKUlT_T0_E_clISt17integral_constantIbLb0EESX_EEDaSS_ST_EUlSS_E_NS1_11comp_targetILNS1_3genE10ELNS1_11target_archE1200ELNS1_3gpuE4ELNS1_3repE0EEENS1_30default_config_static_selectorELNS0_4arch9wavefront6targetE1EEEvT1_.private_seg_size, 0
	.set _ZN7rocprim17ROCPRIM_400000_NS6detail17trampoline_kernelINS0_14default_configENS1_27scan_by_key_config_selectorIllEEZZNS1_16scan_by_key_implILNS1_25lookback_scan_determinismE0ELb0ES3_PKlN6hipcub16HIPCUB_304000_NS21ConstantInputIteratorIllEEPllNSB_3SumENSB_8EqualityElEE10hipError_tPvRmT2_T3_T4_T5_mT6_T7_P12ihipStream_tbENKUlT_T0_E_clISt17integral_constantIbLb0EESX_EEDaSS_ST_EUlSS_E_NS1_11comp_targetILNS1_3genE10ELNS1_11target_archE1200ELNS1_3gpuE4ELNS1_3repE0EEENS1_30default_config_static_selectorELNS0_4arch9wavefront6targetE1EEEvT1_.uses_vcc, 0
	.set _ZN7rocprim17ROCPRIM_400000_NS6detail17trampoline_kernelINS0_14default_configENS1_27scan_by_key_config_selectorIllEEZZNS1_16scan_by_key_implILNS1_25lookback_scan_determinismE0ELb0ES3_PKlN6hipcub16HIPCUB_304000_NS21ConstantInputIteratorIllEEPllNSB_3SumENSB_8EqualityElEE10hipError_tPvRmT2_T3_T4_T5_mT6_T7_P12ihipStream_tbENKUlT_T0_E_clISt17integral_constantIbLb0EESX_EEDaSS_ST_EUlSS_E_NS1_11comp_targetILNS1_3genE10ELNS1_11target_archE1200ELNS1_3gpuE4ELNS1_3repE0EEENS1_30default_config_static_selectorELNS0_4arch9wavefront6targetE1EEEvT1_.uses_flat_scratch, 0
	.set _ZN7rocprim17ROCPRIM_400000_NS6detail17trampoline_kernelINS0_14default_configENS1_27scan_by_key_config_selectorIllEEZZNS1_16scan_by_key_implILNS1_25lookback_scan_determinismE0ELb0ES3_PKlN6hipcub16HIPCUB_304000_NS21ConstantInputIteratorIllEEPllNSB_3SumENSB_8EqualityElEE10hipError_tPvRmT2_T3_T4_T5_mT6_T7_P12ihipStream_tbENKUlT_T0_E_clISt17integral_constantIbLb0EESX_EEDaSS_ST_EUlSS_E_NS1_11comp_targetILNS1_3genE10ELNS1_11target_archE1200ELNS1_3gpuE4ELNS1_3repE0EEENS1_30default_config_static_selectorELNS0_4arch9wavefront6targetE1EEEvT1_.has_dyn_sized_stack, 0
	.set _ZN7rocprim17ROCPRIM_400000_NS6detail17trampoline_kernelINS0_14default_configENS1_27scan_by_key_config_selectorIllEEZZNS1_16scan_by_key_implILNS1_25lookback_scan_determinismE0ELb0ES3_PKlN6hipcub16HIPCUB_304000_NS21ConstantInputIteratorIllEEPllNSB_3SumENSB_8EqualityElEE10hipError_tPvRmT2_T3_T4_T5_mT6_T7_P12ihipStream_tbENKUlT_T0_E_clISt17integral_constantIbLb0EESX_EEDaSS_ST_EUlSS_E_NS1_11comp_targetILNS1_3genE10ELNS1_11target_archE1200ELNS1_3gpuE4ELNS1_3repE0EEENS1_30default_config_static_selectorELNS0_4arch9wavefront6targetE1EEEvT1_.has_recursion, 0
	.set _ZN7rocprim17ROCPRIM_400000_NS6detail17trampoline_kernelINS0_14default_configENS1_27scan_by_key_config_selectorIllEEZZNS1_16scan_by_key_implILNS1_25lookback_scan_determinismE0ELb0ES3_PKlN6hipcub16HIPCUB_304000_NS21ConstantInputIteratorIllEEPllNSB_3SumENSB_8EqualityElEE10hipError_tPvRmT2_T3_T4_T5_mT6_T7_P12ihipStream_tbENKUlT_T0_E_clISt17integral_constantIbLb0EESX_EEDaSS_ST_EUlSS_E_NS1_11comp_targetILNS1_3genE10ELNS1_11target_archE1200ELNS1_3gpuE4ELNS1_3repE0EEENS1_30default_config_static_selectorELNS0_4arch9wavefront6targetE1EEEvT1_.has_indirect_call, 0
	.section	.AMDGPU.csdata,"",@progbits
; Kernel info:
; codeLenInByte = 0
; TotalNumSgprs: 6
; NumVgprs: 0
; NumAgprs: 0
; TotalNumVgprs: 0
; ScratchSize: 0
; MemoryBound: 0
; FloatMode: 240
; IeeeMode: 1
; LDSByteSize: 0 bytes/workgroup (compile time only)
; SGPRBlocks: 0
; VGPRBlocks: 0
; NumSGPRsForWavesPerEU: 6
; NumVGPRsForWavesPerEU: 1
; AccumOffset: 4
; Occupancy: 8
; WaveLimiterHint : 0
; COMPUTE_PGM_RSRC2:SCRATCH_EN: 0
; COMPUTE_PGM_RSRC2:USER_SGPR: 2
; COMPUTE_PGM_RSRC2:TRAP_HANDLER: 0
; COMPUTE_PGM_RSRC2:TGID_X_EN: 1
; COMPUTE_PGM_RSRC2:TGID_Y_EN: 0
; COMPUTE_PGM_RSRC2:TGID_Z_EN: 0
; COMPUTE_PGM_RSRC2:TIDIG_COMP_CNT: 0
; COMPUTE_PGM_RSRC3_GFX90A:ACCUM_OFFSET: 0
; COMPUTE_PGM_RSRC3_GFX90A:TG_SPLIT: 0
	.section	.text._ZN7rocprim17ROCPRIM_400000_NS6detail17trampoline_kernelINS0_14default_configENS1_27scan_by_key_config_selectorIllEEZZNS1_16scan_by_key_implILNS1_25lookback_scan_determinismE0ELb0ES3_PKlN6hipcub16HIPCUB_304000_NS21ConstantInputIteratorIllEEPllNSB_3SumENSB_8EqualityElEE10hipError_tPvRmT2_T3_T4_T5_mT6_T7_P12ihipStream_tbENKUlT_T0_E_clISt17integral_constantIbLb0EESX_EEDaSS_ST_EUlSS_E_NS1_11comp_targetILNS1_3genE9ELNS1_11target_archE1100ELNS1_3gpuE3ELNS1_3repE0EEENS1_30default_config_static_selectorELNS0_4arch9wavefront6targetE1EEEvT1_,"axG",@progbits,_ZN7rocprim17ROCPRIM_400000_NS6detail17trampoline_kernelINS0_14default_configENS1_27scan_by_key_config_selectorIllEEZZNS1_16scan_by_key_implILNS1_25lookback_scan_determinismE0ELb0ES3_PKlN6hipcub16HIPCUB_304000_NS21ConstantInputIteratorIllEEPllNSB_3SumENSB_8EqualityElEE10hipError_tPvRmT2_T3_T4_T5_mT6_T7_P12ihipStream_tbENKUlT_T0_E_clISt17integral_constantIbLb0EESX_EEDaSS_ST_EUlSS_E_NS1_11comp_targetILNS1_3genE9ELNS1_11target_archE1100ELNS1_3gpuE3ELNS1_3repE0EEENS1_30default_config_static_selectorELNS0_4arch9wavefront6targetE1EEEvT1_,comdat
	.protected	_ZN7rocprim17ROCPRIM_400000_NS6detail17trampoline_kernelINS0_14default_configENS1_27scan_by_key_config_selectorIllEEZZNS1_16scan_by_key_implILNS1_25lookback_scan_determinismE0ELb0ES3_PKlN6hipcub16HIPCUB_304000_NS21ConstantInputIteratorIllEEPllNSB_3SumENSB_8EqualityElEE10hipError_tPvRmT2_T3_T4_T5_mT6_T7_P12ihipStream_tbENKUlT_T0_E_clISt17integral_constantIbLb0EESX_EEDaSS_ST_EUlSS_E_NS1_11comp_targetILNS1_3genE9ELNS1_11target_archE1100ELNS1_3gpuE3ELNS1_3repE0EEENS1_30default_config_static_selectorELNS0_4arch9wavefront6targetE1EEEvT1_ ; -- Begin function _ZN7rocprim17ROCPRIM_400000_NS6detail17trampoline_kernelINS0_14default_configENS1_27scan_by_key_config_selectorIllEEZZNS1_16scan_by_key_implILNS1_25lookback_scan_determinismE0ELb0ES3_PKlN6hipcub16HIPCUB_304000_NS21ConstantInputIteratorIllEEPllNSB_3SumENSB_8EqualityElEE10hipError_tPvRmT2_T3_T4_T5_mT6_T7_P12ihipStream_tbENKUlT_T0_E_clISt17integral_constantIbLb0EESX_EEDaSS_ST_EUlSS_E_NS1_11comp_targetILNS1_3genE9ELNS1_11target_archE1100ELNS1_3gpuE3ELNS1_3repE0EEENS1_30default_config_static_selectorELNS0_4arch9wavefront6targetE1EEEvT1_
	.globl	_ZN7rocprim17ROCPRIM_400000_NS6detail17trampoline_kernelINS0_14default_configENS1_27scan_by_key_config_selectorIllEEZZNS1_16scan_by_key_implILNS1_25lookback_scan_determinismE0ELb0ES3_PKlN6hipcub16HIPCUB_304000_NS21ConstantInputIteratorIllEEPllNSB_3SumENSB_8EqualityElEE10hipError_tPvRmT2_T3_T4_T5_mT6_T7_P12ihipStream_tbENKUlT_T0_E_clISt17integral_constantIbLb0EESX_EEDaSS_ST_EUlSS_E_NS1_11comp_targetILNS1_3genE9ELNS1_11target_archE1100ELNS1_3gpuE3ELNS1_3repE0EEENS1_30default_config_static_selectorELNS0_4arch9wavefront6targetE1EEEvT1_
	.p2align	8
	.type	_ZN7rocprim17ROCPRIM_400000_NS6detail17trampoline_kernelINS0_14default_configENS1_27scan_by_key_config_selectorIllEEZZNS1_16scan_by_key_implILNS1_25lookback_scan_determinismE0ELb0ES3_PKlN6hipcub16HIPCUB_304000_NS21ConstantInputIteratorIllEEPllNSB_3SumENSB_8EqualityElEE10hipError_tPvRmT2_T3_T4_T5_mT6_T7_P12ihipStream_tbENKUlT_T0_E_clISt17integral_constantIbLb0EESX_EEDaSS_ST_EUlSS_E_NS1_11comp_targetILNS1_3genE9ELNS1_11target_archE1100ELNS1_3gpuE3ELNS1_3repE0EEENS1_30default_config_static_selectorELNS0_4arch9wavefront6targetE1EEEvT1_,@function
_ZN7rocprim17ROCPRIM_400000_NS6detail17trampoline_kernelINS0_14default_configENS1_27scan_by_key_config_selectorIllEEZZNS1_16scan_by_key_implILNS1_25lookback_scan_determinismE0ELb0ES3_PKlN6hipcub16HIPCUB_304000_NS21ConstantInputIteratorIllEEPllNSB_3SumENSB_8EqualityElEE10hipError_tPvRmT2_T3_T4_T5_mT6_T7_P12ihipStream_tbENKUlT_T0_E_clISt17integral_constantIbLb0EESX_EEDaSS_ST_EUlSS_E_NS1_11comp_targetILNS1_3genE9ELNS1_11target_archE1100ELNS1_3gpuE3ELNS1_3repE0EEENS1_30default_config_static_selectorELNS0_4arch9wavefront6targetE1EEEvT1_: ; @_ZN7rocprim17ROCPRIM_400000_NS6detail17trampoline_kernelINS0_14default_configENS1_27scan_by_key_config_selectorIllEEZZNS1_16scan_by_key_implILNS1_25lookback_scan_determinismE0ELb0ES3_PKlN6hipcub16HIPCUB_304000_NS21ConstantInputIteratorIllEEPllNSB_3SumENSB_8EqualityElEE10hipError_tPvRmT2_T3_T4_T5_mT6_T7_P12ihipStream_tbENKUlT_T0_E_clISt17integral_constantIbLb0EESX_EEDaSS_ST_EUlSS_E_NS1_11comp_targetILNS1_3genE9ELNS1_11target_archE1100ELNS1_3gpuE3ELNS1_3repE0EEENS1_30default_config_static_selectorELNS0_4arch9wavefront6targetE1EEEvT1_
; %bb.0:
	.section	.rodata,"a",@progbits
	.p2align	6, 0x0
	.amdhsa_kernel _ZN7rocprim17ROCPRIM_400000_NS6detail17trampoline_kernelINS0_14default_configENS1_27scan_by_key_config_selectorIllEEZZNS1_16scan_by_key_implILNS1_25lookback_scan_determinismE0ELb0ES3_PKlN6hipcub16HIPCUB_304000_NS21ConstantInputIteratorIllEEPllNSB_3SumENSB_8EqualityElEE10hipError_tPvRmT2_T3_T4_T5_mT6_T7_P12ihipStream_tbENKUlT_T0_E_clISt17integral_constantIbLb0EESX_EEDaSS_ST_EUlSS_E_NS1_11comp_targetILNS1_3genE9ELNS1_11target_archE1100ELNS1_3gpuE3ELNS1_3repE0EEENS1_30default_config_static_selectorELNS0_4arch9wavefront6targetE1EEEvT1_
		.amdhsa_group_segment_fixed_size 0
		.amdhsa_private_segment_fixed_size 0
		.amdhsa_kernarg_size 144
		.amdhsa_user_sgpr_count 2
		.amdhsa_user_sgpr_dispatch_ptr 0
		.amdhsa_user_sgpr_queue_ptr 0
		.amdhsa_user_sgpr_kernarg_segment_ptr 1
		.amdhsa_user_sgpr_dispatch_id 0
		.amdhsa_user_sgpr_kernarg_preload_length 0
		.amdhsa_user_sgpr_kernarg_preload_offset 0
		.amdhsa_user_sgpr_private_segment_size 0
		.amdhsa_uses_dynamic_stack 0
		.amdhsa_enable_private_segment 0
		.amdhsa_system_sgpr_workgroup_id_x 1
		.amdhsa_system_sgpr_workgroup_id_y 0
		.amdhsa_system_sgpr_workgroup_id_z 0
		.amdhsa_system_sgpr_workgroup_info 0
		.amdhsa_system_vgpr_workitem_id 0
		.amdhsa_next_free_vgpr 1
		.amdhsa_next_free_sgpr 0
		.amdhsa_accum_offset 4
		.amdhsa_reserve_vcc 0
		.amdhsa_float_round_mode_32 0
		.amdhsa_float_round_mode_16_64 0
		.amdhsa_float_denorm_mode_32 3
		.amdhsa_float_denorm_mode_16_64 3
		.amdhsa_dx10_clamp 1
		.amdhsa_ieee_mode 1
		.amdhsa_fp16_overflow 0
		.amdhsa_tg_split 0
		.amdhsa_exception_fp_ieee_invalid_op 0
		.amdhsa_exception_fp_denorm_src 0
		.amdhsa_exception_fp_ieee_div_zero 0
		.amdhsa_exception_fp_ieee_overflow 0
		.amdhsa_exception_fp_ieee_underflow 0
		.amdhsa_exception_fp_ieee_inexact 0
		.amdhsa_exception_int_div_zero 0
	.end_amdhsa_kernel
	.section	.text._ZN7rocprim17ROCPRIM_400000_NS6detail17trampoline_kernelINS0_14default_configENS1_27scan_by_key_config_selectorIllEEZZNS1_16scan_by_key_implILNS1_25lookback_scan_determinismE0ELb0ES3_PKlN6hipcub16HIPCUB_304000_NS21ConstantInputIteratorIllEEPllNSB_3SumENSB_8EqualityElEE10hipError_tPvRmT2_T3_T4_T5_mT6_T7_P12ihipStream_tbENKUlT_T0_E_clISt17integral_constantIbLb0EESX_EEDaSS_ST_EUlSS_E_NS1_11comp_targetILNS1_3genE9ELNS1_11target_archE1100ELNS1_3gpuE3ELNS1_3repE0EEENS1_30default_config_static_selectorELNS0_4arch9wavefront6targetE1EEEvT1_,"axG",@progbits,_ZN7rocprim17ROCPRIM_400000_NS6detail17trampoline_kernelINS0_14default_configENS1_27scan_by_key_config_selectorIllEEZZNS1_16scan_by_key_implILNS1_25lookback_scan_determinismE0ELb0ES3_PKlN6hipcub16HIPCUB_304000_NS21ConstantInputIteratorIllEEPllNSB_3SumENSB_8EqualityElEE10hipError_tPvRmT2_T3_T4_T5_mT6_T7_P12ihipStream_tbENKUlT_T0_E_clISt17integral_constantIbLb0EESX_EEDaSS_ST_EUlSS_E_NS1_11comp_targetILNS1_3genE9ELNS1_11target_archE1100ELNS1_3gpuE3ELNS1_3repE0EEENS1_30default_config_static_selectorELNS0_4arch9wavefront6targetE1EEEvT1_,comdat
.Lfunc_end101:
	.size	_ZN7rocprim17ROCPRIM_400000_NS6detail17trampoline_kernelINS0_14default_configENS1_27scan_by_key_config_selectorIllEEZZNS1_16scan_by_key_implILNS1_25lookback_scan_determinismE0ELb0ES3_PKlN6hipcub16HIPCUB_304000_NS21ConstantInputIteratorIllEEPllNSB_3SumENSB_8EqualityElEE10hipError_tPvRmT2_T3_T4_T5_mT6_T7_P12ihipStream_tbENKUlT_T0_E_clISt17integral_constantIbLb0EESX_EEDaSS_ST_EUlSS_E_NS1_11comp_targetILNS1_3genE9ELNS1_11target_archE1100ELNS1_3gpuE3ELNS1_3repE0EEENS1_30default_config_static_selectorELNS0_4arch9wavefront6targetE1EEEvT1_, .Lfunc_end101-_ZN7rocprim17ROCPRIM_400000_NS6detail17trampoline_kernelINS0_14default_configENS1_27scan_by_key_config_selectorIllEEZZNS1_16scan_by_key_implILNS1_25lookback_scan_determinismE0ELb0ES3_PKlN6hipcub16HIPCUB_304000_NS21ConstantInputIteratorIllEEPllNSB_3SumENSB_8EqualityElEE10hipError_tPvRmT2_T3_T4_T5_mT6_T7_P12ihipStream_tbENKUlT_T0_E_clISt17integral_constantIbLb0EESX_EEDaSS_ST_EUlSS_E_NS1_11comp_targetILNS1_3genE9ELNS1_11target_archE1100ELNS1_3gpuE3ELNS1_3repE0EEENS1_30default_config_static_selectorELNS0_4arch9wavefront6targetE1EEEvT1_
                                        ; -- End function
	.set _ZN7rocprim17ROCPRIM_400000_NS6detail17trampoline_kernelINS0_14default_configENS1_27scan_by_key_config_selectorIllEEZZNS1_16scan_by_key_implILNS1_25lookback_scan_determinismE0ELb0ES3_PKlN6hipcub16HIPCUB_304000_NS21ConstantInputIteratorIllEEPllNSB_3SumENSB_8EqualityElEE10hipError_tPvRmT2_T3_T4_T5_mT6_T7_P12ihipStream_tbENKUlT_T0_E_clISt17integral_constantIbLb0EESX_EEDaSS_ST_EUlSS_E_NS1_11comp_targetILNS1_3genE9ELNS1_11target_archE1100ELNS1_3gpuE3ELNS1_3repE0EEENS1_30default_config_static_selectorELNS0_4arch9wavefront6targetE1EEEvT1_.num_vgpr, 0
	.set _ZN7rocprim17ROCPRIM_400000_NS6detail17trampoline_kernelINS0_14default_configENS1_27scan_by_key_config_selectorIllEEZZNS1_16scan_by_key_implILNS1_25lookback_scan_determinismE0ELb0ES3_PKlN6hipcub16HIPCUB_304000_NS21ConstantInputIteratorIllEEPllNSB_3SumENSB_8EqualityElEE10hipError_tPvRmT2_T3_T4_T5_mT6_T7_P12ihipStream_tbENKUlT_T0_E_clISt17integral_constantIbLb0EESX_EEDaSS_ST_EUlSS_E_NS1_11comp_targetILNS1_3genE9ELNS1_11target_archE1100ELNS1_3gpuE3ELNS1_3repE0EEENS1_30default_config_static_selectorELNS0_4arch9wavefront6targetE1EEEvT1_.num_agpr, 0
	.set _ZN7rocprim17ROCPRIM_400000_NS6detail17trampoline_kernelINS0_14default_configENS1_27scan_by_key_config_selectorIllEEZZNS1_16scan_by_key_implILNS1_25lookback_scan_determinismE0ELb0ES3_PKlN6hipcub16HIPCUB_304000_NS21ConstantInputIteratorIllEEPllNSB_3SumENSB_8EqualityElEE10hipError_tPvRmT2_T3_T4_T5_mT6_T7_P12ihipStream_tbENKUlT_T0_E_clISt17integral_constantIbLb0EESX_EEDaSS_ST_EUlSS_E_NS1_11comp_targetILNS1_3genE9ELNS1_11target_archE1100ELNS1_3gpuE3ELNS1_3repE0EEENS1_30default_config_static_selectorELNS0_4arch9wavefront6targetE1EEEvT1_.numbered_sgpr, 0
	.set _ZN7rocprim17ROCPRIM_400000_NS6detail17trampoline_kernelINS0_14default_configENS1_27scan_by_key_config_selectorIllEEZZNS1_16scan_by_key_implILNS1_25lookback_scan_determinismE0ELb0ES3_PKlN6hipcub16HIPCUB_304000_NS21ConstantInputIteratorIllEEPllNSB_3SumENSB_8EqualityElEE10hipError_tPvRmT2_T3_T4_T5_mT6_T7_P12ihipStream_tbENKUlT_T0_E_clISt17integral_constantIbLb0EESX_EEDaSS_ST_EUlSS_E_NS1_11comp_targetILNS1_3genE9ELNS1_11target_archE1100ELNS1_3gpuE3ELNS1_3repE0EEENS1_30default_config_static_selectorELNS0_4arch9wavefront6targetE1EEEvT1_.num_named_barrier, 0
	.set _ZN7rocprim17ROCPRIM_400000_NS6detail17trampoline_kernelINS0_14default_configENS1_27scan_by_key_config_selectorIllEEZZNS1_16scan_by_key_implILNS1_25lookback_scan_determinismE0ELb0ES3_PKlN6hipcub16HIPCUB_304000_NS21ConstantInputIteratorIllEEPllNSB_3SumENSB_8EqualityElEE10hipError_tPvRmT2_T3_T4_T5_mT6_T7_P12ihipStream_tbENKUlT_T0_E_clISt17integral_constantIbLb0EESX_EEDaSS_ST_EUlSS_E_NS1_11comp_targetILNS1_3genE9ELNS1_11target_archE1100ELNS1_3gpuE3ELNS1_3repE0EEENS1_30default_config_static_selectorELNS0_4arch9wavefront6targetE1EEEvT1_.private_seg_size, 0
	.set _ZN7rocprim17ROCPRIM_400000_NS6detail17trampoline_kernelINS0_14default_configENS1_27scan_by_key_config_selectorIllEEZZNS1_16scan_by_key_implILNS1_25lookback_scan_determinismE0ELb0ES3_PKlN6hipcub16HIPCUB_304000_NS21ConstantInputIteratorIllEEPllNSB_3SumENSB_8EqualityElEE10hipError_tPvRmT2_T3_T4_T5_mT6_T7_P12ihipStream_tbENKUlT_T0_E_clISt17integral_constantIbLb0EESX_EEDaSS_ST_EUlSS_E_NS1_11comp_targetILNS1_3genE9ELNS1_11target_archE1100ELNS1_3gpuE3ELNS1_3repE0EEENS1_30default_config_static_selectorELNS0_4arch9wavefront6targetE1EEEvT1_.uses_vcc, 0
	.set _ZN7rocprim17ROCPRIM_400000_NS6detail17trampoline_kernelINS0_14default_configENS1_27scan_by_key_config_selectorIllEEZZNS1_16scan_by_key_implILNS1_25lookback_scan_determinismE0ELb0ES3_PKlN6hipcub16HIPCUB_304000_NS21ConstantInputIteratorIllEEPllNSB_3SumENSB_8EqualityElEE10hipError_tPvRmT2_T3_T4_T5_mT6_T7_P12ihipStream_tbENKUlT_T0_E_clISt17integral_constantIbLb0EESX_EEDaSS_ST_EUlSS_E_NS1_11comp_targetILNS1_3genE9ELNS1_11target_archE1100ELNS1_3gpuE3ELNS1_3repE0EEENS1_30default_config_static_selectorELNS0_4arch9wavefront6targetE1EEEvT1_.uses_flat_scratch, 0
	.set _ZN7rocprim17ROCPRIM_400000_NS6detail17trampoline_kernelINS0_14default_configENS1_27scan_by_key_config_selectorIllEEZZNS1_16scan_by_key_implILNS1_25lookback_scan_determinismE0ELb0ES3_PKlN6hipcub16HIPCUB_304000_NS21ConstantInputIteratorIllEEPllNSB_3SumENSB_8EqualityElEE10hipError_tPvRmT2_T3_T4_T5_mT6_T7_P12ihipStream_tbENKUlT_T0_E_clISt17integral_constantIbLb0EESX_EEDaSS_ST_EUlSS_E_NS1_11comp_targetILNS1_3genE9ELNS1_11target_archE1100ELNS1_3gpuE3ELNS1_3repE0EEENS1_30default_config_static_selectorELNS0_4arch9wavefront6targetE1EEEvT1_.has_dyn_sized_stack, 0
	.set _ZN7rocprim17ROCPRIM_400000_NS6detail17trampoline_kernelINS0_14default_configENS1_27scan_by_key_config_selectorIllEEZZNS1_16scan_by_key_implILNS1_25lookback_scan_determinismE0ELb0ES3_PKlN6hipcub16HIPCUB_304000_NS21ConstantInputIteratorIllEEPllNSB_3SumENSB_8EqualityElEE10hipError_tPvRmT2_T3_T4_T5_mT6_T7_P12ihipStream_tbENKUlT_T0_E_clISt17integral_constantIbLb0EESX_EEDaSS_ST_EUlSS_E_NS1_11comp_targetILNS1_3genE9ELNS1_11target_archE1100ELNS1_3gpuE3ELNS1_3repE0EEENS1_30default_config_static_selectorELNS0_4arch9wavefront6targetE1EEEvT1_.has_recursion, 0
	.set _ZN7rocprim17ROCPRIM_400000_NS6detail17trampoline_kernelINS0_14default_configENS1_27scan_by_key_config_selectorIllEEZZNS1_16scan_by_key_implILNS1_25lookback_scan_determinismE0ELb0ES3_PKlN6hipcub16HIPCUB_304000_NS21ConstantInputIteratorIllEEPllNSB_3SumENSB_8EqualityElEE10hipError_tPvRmT2_T3_T4_T5_mT6_T7_P12ihipStream_tbENKUlT_T0_E_clISt17integral_constantIbLb0EESX_EEDaSS_ST_EUlSS_E_NS1_11comp_targetILNS1_3genE9ELNS1_11target_archE1100ELNS1_3gpuE3ELNS1_3repE0EEENS1_30default_config_static_selectorELNS0_4arch9wavefront6targetE1EEEvT1_.has_indirect_call, 0
	.section	.AMDGPU.csdata,"",@progbits
; Kernel info:
; codeLenInByte = 0
; TotalNumSgprs: 6
; NumVgprs: 0
; NumAgprs: 0
; TotalNumVgprs: 0
; ScratchSize: 0
; MemoryBound: 0
; FloatMode: 240
; IeeeMode: 1
; LDSByteSize: 0 bytes/workgroup (compile time only)
; SGPRBlocks: 0
; VGPRBlocks: 0
; NumSGPRsForWavesPerEU: 6
; NumVGPRsForWavesPerEU: 1
; AccumOffset: 4
; Occupancy: 8
; WaveLimiterHint : 0
; COMPUTE_PGM_RSRC2:SCRATCH_EN: 0
; COMPUTE_PGM_RSRC2:USER_SGPR: 2
; COMPUTE_PGM_RSRC2:TRAP_HANDLER: 0
; COMPUTE_PGM_RSRC2:TGID_X_EN: 1
; COMPUTE_PGM_RSRC2:TGID_Y_EN: 0
; COMPUTE_PGM_RSRC2:TGID_Z_EN: 0
; COMPUTE_PGM_RSRC2:TIDIG_COMP_CNT: 0
; COMPUTE_PGM_RSRC3_GFX90A:ACCUM_OFFSET: 0
; COMPUTE_PGM_RSRC3_GFX90A:TG_SPLIT: 0
	.section	.text._ZN7rocprim17ROCPRIM_400000_NS6detail17trampoline_kernelINS0_14default_configENS1_27scan_by_key_config_selectorIllEEZZNS1_16scan_by_key_implILNS1_25lookback_scan_determinismE0ELb0ES3_PKlN6hipcub16HIPCUB_304000_NS21ConstantInputIteratorIllEEPllNSB_3SumENSB_8EqualityElEE10hipError_tPvRmT2_T3_T4_T5_mT6_T7_P12ihipStream_tbENKUlT_T0_E_clISt17integral_constantIbLb0EESX_EEDaSS_ST_EUlSS_E_NS1_11comp_targetILNS1_3genE8ELNS1_11target_archE1030ELNS1_3gpuE2ELNS1_3repE0EEENS1_30default_config_static_selectorELNS0_4arch9wavefront6targetE1EEEvT1_,"axG",@progbits,_ZN7rocprim17ROCPRIM_400000_NS6detail17trampoline_kernelINS0_14default_configENS1_27scan_by_key_config_selectorIllEEZZNS1_16scan_by_key_implILNS1_25lookback_scan_determinismE0ELb0ES3_PKlN6hipcub16HIPCUB_304000_NS21ConstantInputIteratorIllEEPllNSB_3SumENSB_8EqualityElEE10hipError_tPvRmT2_T3_T4_T5_mT6_T7_P12ihipStream_tbENKUlT_T0_E_clISt17integral_constantIbLb0EESX_EEDaSS_ST_EUlSS_E_NS1_11comp_targetILNS1_3genE8ELNS1_11target_archE1030ELNS1_3gpuE2ELNS1_3repE0EEENS1_30default_config_static_selectorELNS0_4arch9wavefront6targetE1EEEvT1_,comdat
	.protected	_ZN7rocprim17ROCPRIM_400000_NS6detail17trampoline_kernelINS0_14default_configENS1_27scan_by_key_config_selectorIllEEZZNS1_16scan_by_key_implILNS1_25lookback_scan_determinismE0ELb0ES3_PKlN6hipcub16HIPCUB_304000_NS21ConstantInputIteratorIllEEPllNSB_3SumENSB_8EqualityElEE10hipError_tPvRmT2_T3_T4_T5_mT6_T7_P12ihipStream_tbENKUlT_T0_E_clISt17integral_constantIbLb0EESX_EEDaSS_ST_EUlSS_E_NS1_11comp_targetILNS1_3genE8ELNS1_11target_archE1030ELNS1_3gpuE2ELNS1_3repE0EEENS1_30default_config_static_selectorELNS0_4arch9wavefront6targetE1EEEvT1_ ; -- Begin function _ZN7rocprim17ROCPRIM_400000_NS6detail17trampoline_kernelINS0_14default_configENS1_27scan_by_key_config_selectorIllEEZZNS1_16scan_by_key_implILNS1_25lookback_scan_determinismE0ELb0ES3_PKlN6hipcub16HIPCUB_304000_NS21ConstantInputIteratorIllEEPllNSB_3SumENSB_8EqualityElEE10hipError_tPvRmT2_T3_T4_T5_mT6_T7_P12ihipStream_tbENKUlT_T0_E_clISt17integral_constantIbLb0EESX_EEDaSS_ST_EUlSS_E_NS1_11comp_targetILNS1_3genE8ELNS1_11target_archE1030ELNS1_3gpuE2ELNS1_3repE0EEENS1_30default_config_static_selectorELNS0_4arch9wavefront6targetE1EEEvT1_
	.globl	_ZN7rocprim17ROCPRIM_400000_NS6detail17trampoline_kernelINS0_14default_configENS1_27scan_by_key_config_selectorIllEEZZNS1_16scan_by_key_implILNS1_25lookback_scan_determinismE0ELb0ES3_PKlN6hipcub16HIPCUB_304000_NS21ConstantInputIteratorIllEEPllNSB_3SumENSB_8EqualityElEE10hipError_tPvRmT2_T3_T4_T5_mT6_T7_P12ihipStream_tbENKUlT_T0_E_clISt17integral_constantIbLb0EESX_EEDaSS_ST_EUlSS_E_NS1_11comp_targetILNS1_3genE8ELNS1_11target_archE1030ELNS1_3gpuE2ELNS1_3repE0EEENS1_30default_config_static_selectorELNS0_4arch9wavefront6targetE1EEEvT1_
	.p2align	8
	.type	_ZN7rocprim17ROCPRIM_400000_NS6detail17trampoline_kernelINS0_14default_configENS1_27scan_by_key_config_selectorIllEEZZNS1_16scan_by_key_implILNS1_25lookback_scan_determinismE0ELb0ES3_PKlN6hipcub16HIPCUB_304000_NS21ConstantInputIteratorIllEEPllNSB_3SumENSB_8EqualityElEE10hipError_tPvRmT2_T3_T4_T5_mT6_T7_P12ihipStream_tbENKUlT_T0_E_clISt17integral_constantIbLb0EESX_EEDaSS_ST_EUlSS_E_NS1_11comp_targetILNS1_3genE8ELNS1_11target_archE1030ELNS1_3gpuE2ELNS1_3repE0EEENS1_30default_config_static_selectorELNS0_4arch9wavefront6targetE1EEEvT1_,@function
_ZN7rocprim17ROCPRIM_400000_NS6detail17trampoline_kernelINS0_14default_configENS1_27scan_by_key_config_selectorIllEEZZNS1_16scan_by_key_implILNS1_25lookback_scan_determinismE0ELb0ES3_PKlN6hipcub16HIPCUB_304000_NS21ConstantInputIteratorIllEEPllNSB_3SumENSB_8EqualityElEE10hipError_tPvRmT2_T3_T4_T5_mT6_T7_P12ihipStream_tbENKUlT_T0_E_clISt17integral_constantIbLb0EESX_EEDaSS_ST_EUlSS_E_NS1_11comp_targetILNS1_3genE8ELNS1_11target_archE1030ELNS1_3gpuE2ELNS1_3repE0EEENS1_30default_config_static_selectorELNS0_4arch9wavefront6targetE1EEEvT1_: ; @_ZN7rocprim17ROCPRIM_400000_NS6detail17trampoline_kernelINS0_14default_configENS1_27scan_by_key_config_selectorIllEEZZNS1_16scan_by_key_implILNS1_25lookback_scan_determinismE0ELb0ES3_PKlN6hipcub16HIPCUB_304000_NS21ConstantInputIteratorIllEEPllNSB_3SumENSB_8EqualityElEE10hipError_tPvRmT2_T3_T4_T5_mT6_T7_P12ihipStream_tbENKUlT_T0_E_clISt17integral_constantIbLb0EESX_EEDaSS_ST_EUlSS_E_NS1_11comp_targetILNS1_3genE8ELNS1_11target_archE1030ELNS1_3gpuE2ELNS1_3repE0EEENS1_30default_config_static_selectorELNS0_4arch9wavefront6targetE1EEEvT1_
; %bb.0:
	.section	.rodata,"a",@progbits
	.p2align	6, 0x0
	.amdhsa_kernel _ZN7rocprim17ROCPRIM_400000_NS6detail17trampoline_kernelINS0_14default_configENS1_27scan_by_key_config_selectorIllEEZZNS1_16scan_by_key_implILNS1_25lookback_scan_determinismE0ELb0ES3_PKlN6hipcub16HIPCUB_304000_NS21ConstantInputIteratorIllEEPllNSB_3SumENSB_8EqualityElEE10hipError_tPvRmT2_T3_T4_T5_mT6_T7_P12ihipStream_tbENKUlT_T0_E_clISt17integral_constantIbLb0EESX_EEDaSS_ST_EUlSS_E_NS1_11comp_targetILNS1_3genE8ELNS1_11target_archE1030ELNS1_3gpuE2ELNS1_3repE0EEENS1_30default_config_static_selectorELNS0_4arch9wavefront6targetE1EEEvT1_
		.amdhsa_group_segment_fixed_size 0
		.amdhsa_private_segment_fixed_size 0
		.amdhsa_kernarg_size 144
		.amdhsa_user_sgpr_count 2
		.amdhsa_user_sgpr_dispatch_ptr 0
		.amdhsa_user_sgpr_queue_ptr 0
		.amdhsa_user_sgpr_kernarg_segment_ptr 1
		.amdhsa_user_sgpr_dispatch_id 0
		.amdhsa_user_sgpr_kernarg_preload_length 0
		.amdhsa_user_sgpr_kernarg_preload_offset 0
		.amdhsa_user_sgpr_private_segment_size 0
		.amdhsa_uses_dynamic_stack 0
		.amdhsa_enable_private_segment 0
		.amdhsa_system_sgpr_workgroup_id_x 1
		.amdhsa_system_sgpr_workgroup_id_y 0
		.amdhsa_system_sgpr_workgroup_id_z 0
		.amdhsa_system_sgpr_workgroup_info 0
		.amdhsa_system_vgpr_workitem_id 0
		.amdhsa_next_free_vgpr 1
		.amdhsa_next_free_sgpr 0
		.amdhsa_accum_offset 4
		.amdhsa_reserve_vcc 0
		.amdhsa_float_round_mode_32 0
		.amdhsa_float_round_mode_16_64 0
		.amdhsa_float_denorm_mode_32 3
		.amdhsa_float_denorm_mode_16_64 3
		.amdhsa_dx10_clamp 1
		.amdhsa_ieee_mode 1
		.amdhsa_fp16_overflow 0
		.amdhsa_tg_split 0
		.amdhsa_exception_fp_ieee_invalid_op 0
		.amdhsa_exception_fp_denorm_src 0
		.amdhsa_exception_fp_ieee_div_zero 0
		.amdhsa_exception_fp_ieee_overflow 0
		.amdhsa_exception_fp_ieee_underflow 0
		.amdhsa_exception_fp_ieee_inexact 0
		.amdhsa_exception_int_div_zero 0
	.end_amdhsa_kernel
	.section	.text._ZN7rocprim17ROCPRIM_400000_NS6detail17trampoline_kernelINS0_14default_configENS1_27scan_by_key_config_selectorIllEEZZNS1_16scan_by_key_implILNS1_25lookback_scan_determinismE0ELb0ES3_PKlN6hipcub16HIPCUB_304000_NS21ConstantInputIteratorIllEEPllNSB_3SumENSB_8EqualityElEE10hipError_tPvRmT2_T3_T4_T5_mT6_T7_P12ihipStream_tbENKUlT_T0_E_clISt17integral_constantIbLb0EESX_EEDaSS_ST_EUlSS_E_NS1_11comp_targetILNS1_3genE8ELNS1_11target_archE1030ELNS1_3gpuE2ELNS1_3repE0EEENS1_30default_config_static_selectorELNS0_4arch9wavefront6targetE1EEEvT1_,"axG",@progbits,_ZN7rocprim17ROCPRIM_400000_NS6detail17trampoline_kernelINS0_14default_configENS1_27scan_by_key_config_selectorIllEEZZNS1_16scan_by_key_implILNS1_25lookback_scan_determinismE0ELb0ES3_PKlN6hipcub16HIPCUB_304000_NS21ConstantInputIteratorIllEEPllNSB_3SumENSB_8EqualityElEE10hipError_tPvRmT2_T3_T4_T5_mT6_T7_P12ihipStream_tbENKUlT_T0_E_clISt17integral_constantIbLb0EESX_EEDaSS_ST_EUlSS_E_NS1_11comp_targetILNS1_3genE8ELNS1_11target_archE1030ELNS1_3gpuE2ELNS1_3repE0EEENS1_30default_config_static_selectorELNS0_4arch9wavefront6targetE1EEEvT1_,comdat
.Lfunc_end102:
	.size	_ZN7rocprim17ROCPRIM_400000_NS6detail17trampoline_kernelINS0_14default_configENS1_27scan_by_key_config_selectorIllEEZZNS1_16scan_by_key_implILNS1_25lookback_scan_determinismE0ELb0ES3_PKlN6hipcub16HIPCUB_304000_NS21ConstantInputIteratorIllEEPllNSB_3SumENSB_8EqualityElEE10hipError_tPvRmT2_T3_T4_T5_mT6_T7_P12ihipStream_tbENKUlT_T0_E_clISt17integral_constantIbLb0EESX_EEDaSS_ST_EUlSS_E_NS1_11comp_targetILNS1_3genE8ELNS1_11target_archE1030ELNS1_3gpuE2ELNS1_3repE0EEENS1_30default_config_static_selectorELNS0_4arch9wavefront6targetE1EEEvT1_, .Lfunc_end102-_ZN7rocprim17ROCPRIM_400000_NS6detail17trampoline_kernelINS0_14default_configENS1_27scan_by_key_config_selectorIllEEZZNS1_16scan_by_key_implILNS1_25lookback_scan_determinismE0ELb0ES3_PKlN6hipcub16HIPCUB_304000_NS21ConstantInputIteratorIllEEPllNSB_3SumENSB_8EqualityElEE10hipError_tPvRmT2_T3_T4_T5_mT6_T7_P12ihipStream_tbENKUlT_T0_E_clISt17integral_constantIbLb0EESX_EEDaSS_ST_EUlSS_E_NS1_11comp_targetILNS1_3genE8ELNS1_11target_archE1030ELNS1_3gpuE2ELNS1_3repE0EEENS1_30default_config_static_selectorELNS0_4arch9wavefront6targetE1EEEvT1_
                                        ; -- End function
	.set _ZN7rocprim17ROCPRIM_400000_NS6detail17trampoline_kernelINS0_14default_configENS1_27scan_by_key_config_selectorIllEEZZNS1_16scan_by_key_implILNS1_25lookback_scan_determinismE0ELb0ES3_PKlN6hipcub16HIPCUB_304000_NS21ConstantInputIteratorIllEEPllNSB_3SumENSB_8EqualityElEE10hipError_tPvRmT2_T3_T4_T5_mT6_T7_P12ihipStream_tbENKUlT_T0_E_clISt17integral_constantIbLb0EESX_EEDaSS_ST_EUlSS_E_NS1_11comp_targetILNS1_3genE8ELNS1_11target_archE1030ELNS1_3gpuE2ELNS1_3repE0EEENS1_30default_config_static_selectorELNS0_4arch9wavefront6targetE1EEEvT1_.num_vgpr, 0
	.set _ZN7rocprim17ROCPRIM_400000_NS6detail17trampoline_kernelINS0_14default_configENS1_27scan_by_key_config_selectorIllEEZZNS1_16scan_by_key_implILNS1_25lookback_scan_determinismE0ELb0ES3_PKlN6hipcub16HIPCUB_304000_NS21ConstantInputIteratorIllEEPllNSB_3SumENSB_8EqualityElEE10hipError_tPvRmT2_T3_T4_T5_mT6_T7_P12ihipStream_tbENKUlT_T0_E_clISt17integral_constantIbLb0EESX_EEDaSS_ST_EUlSS_E_NS1_11comp_targetILNS1_3genE8ELNS1_11target_archE1030ELNS1_3gpuE2ELNS1_3repE0EEENS1_30default_config_static_selectorELNS0_4arch9wavefront6targetE1EEEvT1_.num_agpr, 0
	.set _ZN7rocprim17ROCPRIM_400000_NS6detail17trampoline_kernelINS0_14default_configENS1_27scan_by_key_config_selectorIllEEZZNS1_16scan_by_key_implILNS1_25lookback_scan_determinismE0ELb0ES3_PKlN6hipcub16HIPCUB_304000_NS21ConstantInputIteratorIllEEPllNSB_3SumENSB_8EqualityElEE10hipError_tPvRmT2_T3_T4_T5_mT6_T7_P12ihipStream_tbENKUlT_T0_E_clISt17integral_constantIbLb0EESX_EEDaSS_ST_EUlSS_E_NS1_11comp_targetILNS1_3genE8ELNS1_11target_archE1030ELNS1_3gpuE2ELNS1_3repE0EEENS1_30default_config_static_selectorELNS0_4arch9wavefront6targetE1EEEvT1_.numbered_sgpr, 0
	.set _ZN7rocprim17ROCPRIM_400000_NS6detail17trampoline_kernelINS0_14default_configENS1_27scan_by_key_config_selectorIllEEZZNS1_16scan_by_key_implILNS1_25lookback_scan_determinismE0ELb0ES3_PKlN6hipcub16HIPCUB_304000_NS21ConstantInputIteratorIllEEPllNSB_3SumENSB_8EqualityElEE10hipError_tPvRmT2_T3_T4_T5_mT6_T7_P12ihipStream_tbENKUlT_T0_E_clISt17integral_constantIbLb0EESX_EEDaSS_ST_EUlSS_E_NS1_11comp_targetILNS1_3genE8ELNS1_11target_archE1030ELNS1_3gpuE2ELNS1_3repE0EEENS1_30default_config_static_selectorELNS0_4arch9wavefront6targetE1EEEvT1_.num_named_barrier, 0
	.set _ZN7rocprim17ROCPRIM_400000_NS6detail17trampoline_kernelINS0_14default_configENS1_27scan_by_key_config_selectorIllEEZZNS1_16scan_by_key_implILNS1_25lookback_scan_determinismE0ELb0ES3_PKlN6hipcub16HIPCUB_304000_NS21ConstantInputIteratorIllEEPllNSB_3SumENSB_8EqualityElEE10hipError_tPvRmT2_T3_T4_T5_mT6_T7_P12ihipStream_tbENKUlT_T0_E_clISt17integral_constantIbLb0EESX_EEDaSS_ST_EUlSS_E_NS1_11comp_targetILNS1_3genE8ELNS1_11target_archE1030ELNS1_3gpuE2ELNS1_3repE0EEENS1_30default_config_static_selectorELNS0_4arch9wavefront6targetE1EEEvT1_.private_seg_size, 0
	.set _ZN7rocprim17ROCPRIM_400000_NS6detail17trampoline_kernelINS0_14default_configENS1_27scan_by_key_config_selectorIllEEZZNS1_16scan_by_key_implILNS1_25lookback_scan_determinismE0ELb0ES3_PKlN6hipcub16HIPCUB_304000_NS21ConstantInputIteratorIllEEPllNSB_3SumENSB_8EqualityElEE10hipError_tPvRmT2_T3_T4_T5_mT6_T7_P12ihipStream_tbENKUlT_T0_E_clISt17integral_constantIbLb0EESX_EEDaSS_ST_EUlSS_E_NS1_11comp_targetILNS1_3genE8ELNS1_11target_archE1030ELNS1_3gpuE2ELNS1_3repE0EEENS1_30default_config_static_selectorELNS0_4arch9wavefront6targetE1EEEvT1_.uses_vcc, 0
	.set _ZN7rocprim17ROCPRIM_400000_NS6detail17trampoline_kernelINS0_14default_configENS1_27scan_by_key_config_selectorIllEEZZNS1_16scan_by_key_implILNS1_25lookback_scan_determinismE0ELb0ES3_PKlN6hipcub16HIPCUB_304000_NS21ConstantInputIteratorIllEEPllNSB_3SumENSB_8EqualityElEE10hipError_tPvRmT2_T3_T4_T5_mT6_T7_P12ihipStream_tbENKUlT_T0_E_clISt17integral_constantIbLb0EESX_EEDaSS_ST_EUlSS_E_NS1_11comp_targetILNS1_3genE8ELNS1_11target_archE1030ELNS1_3gpuE2ELNS1_3repE0EEENS1_30default_config_static_selectorELNS0_4arch9wavefront6targetE1EEEvT1_.uses_flat_scratch, 0
	.set _ZN7rocprim17ROCPRIM_400000_NS6detail17trampoline_kernelINS0_14default_configENS1_27scan_by_key_config_selectorIllEEZZNS1_16scan_by_key_implILNS1_25lookback_scan_determinismE0ELb0ES3_PKlN6hipcub16HIPCUB_304000_NS21ConstantInputIteratorIllEEPllNSB_3SumENSB_8EqualityElEE10hipError_tPvRmT2_T3_T4_T5_mT6_T7_P12ihipStream_tbENKUlT_T0_E_clISt17integral_constantIbLb0EESX_EEDaSS_ST_EUlSS_E_NS1_11comp_targetILNS1_3genE8ELNS1_11target_archE1030ELNS1_3gpuE2ELNS1_3repE0EEENS1_30default_config_static_selectorELNS0_4arch9wavefront6targetE1EEEvT1_.has_dyn_sized_stack, 0
	.set _ZN7rocprim17ROCPRIM_400000_NS6detail17trampoline_kernelINS0_14default_configENS1_27scan_by_key_config_selectorIllEEZZNS1_16scan_by_key_implILNS1_25lookback_scan_determinismE0ELb0ES3_PKlN6hipcub16HIPCUB_304000_NS21ConstantInputIteratorIllEEPllNSB_3SumENSB_8EqualityElEE10hipError_tPvRmT2_T3_T4_T5_mT6_T7_P12ihipStream_tbENKUlT_T0_E_clISt17integral_constantIbLb0EESX_EEDaSS_ST_EUlSS_E_NS1_11comp_targetILNS1_3genE8ELNS1_11target_archE1030ELNS1_3gpuE2ELNS1_3repE0EEENS1_30default_config_static_selectorELNS0_4arch9wavefront6targetE1EEEvT1_.has_recursion, 0
	.set _ZN7rocprim17ROCPRIM_400000_NS6detail17trampoline_kernelINS0_14default_configENS1_27scan_by_key_config_selectorIllEEZZNS1_16scan_by_key_implILNS1_25lookback_scan_determinismE0ELb0ES3_PKlN6hipcub16HIPCUB_304000_NS21ConstantInputIteratorIllEEPllNSB_3SumENSB_8EqualityElEE10hipError_tPvRmT2_T3_T4_T5_mT6_T7_P12ihipStream_tbENKUlT_T0_E_clISt17integral_constantIbLb0EESX_EEDaSS_ST_EUlSS_E_NS1_11comp_targetILNS1_3genE8ELNS1_11target_archE1030ELNS1_3gpuE2ELNS1_3repE0EEENS1_30default_config_static_selectorELNS0_4arch9wavefront6targetE1EEEvT1_.has_indirect_call, 0
	.section	.AMDGPU.csdata,"",@progbits
; Kernel info:
; codeLenInByte = 0
; TotalNumSgprs: 6
; NumVgprs: 0
; NumAgprs: 0
; TotalNumVgprs: 0
; ScratchSize: 0
; MemoryBound: 0
; FloatMode: 240
; IeeeMode: 1
; LDSByteSize: 0 bytes/workgroup (compile time only)
; SGPRBlocks: 0
; VGPRBlocks: 0
; NumSGPRsForWavesPerEU: 6
; NumVGPRsForWavesPerEU: 1
; AccumOffset: 4
; Occupancy: 8
; WaveLimiterHint : 0
; COMPUTE_PGM_RSRC2:SCRATCH_EN: 0
; COMPUTE_PGM_RSRC2:USER_SGPR: 2
; COMPUTE_PGM_RSRC2:TRAP_HANDLER: 0
; COMPUTE_PGM_RSRC2:TGID_X_EN: 1
; COMPUTE_PGM_RSRC2:TGID_Y_EN: 0
; COMPUTE_PGM_RSRC2:TGID_Z_EN: 0
; COMPUTE_PGM_RSRC2:TIDIG_COMP_CNT: 0
; COMPUTE_PGM_RSRC3_GFX90A:ACCUM_OFFSET: 0
; COMPUTE_PGM_RSRC3_GFX90A:TG_SPLIT: 0
	.section	.text._ZN7rocprim17ROCPRIM_400000_NS6detail30init_device_scan_by_key_kernelINS1_19lookback_scan_stateINS0_5tupleIJlbEEELb1ELb0EEEPKljNS1_16block_id_wrapperIjLb1EEEEEvT_jjPNSB_10value_typeET0_PNSt15iterator_traitsISE_E10value_typeEmT1_T2_,"axG",@progbits,_ZN7rocprim17ROCPRIM_400000_NS6detail30init_device_scan_by_key_kernelINS1_19lookback_scan_stateINS0_5tupleIJlbEEELb1ELb0EEEPKljNS1_16block_id_wrapperIjLb1EEEEEvT_jjPNSB_10value_typeET0_PNSt15iterator_traitsISE_E10value_typeEmT1_T2_,comdat
	.protected	_ZN7rocprim17ROCPRIM_400000_NS6detail30init_device_scan_by_key_kernelINS1_19lookback_scan_stateINS0_5tupleIJlbEEELb1ELb0EEEPKljNS1_16block_id_wrapperIjLb1EEEEEvT_jjPNSB_10value_typeET0_PNSt15iterator_traitsISE_E10value_typeEmT1_T2_ ; -- Begin function _ZN7rocprim17ROCPRIM_400000_NS6detail30init_device_scan_by_key_kernelINS1_19lookback_scan_stateINS0_5tupleIJlbEEELb1ELb0EEEPKljNS1_16block_id_wrapperIjLb1EEEEEvT_jjPNSB_10value_typeET0_PNSt15iterator_traitsISE_E10value_typeEmT1_T2_
	.globl	_ZN7rocprim17ROCPRIM_400000_NS6detail30init_device_scan_by_key_kernelINS1_19lookback_scan_stateINS0_5tupleIJlbEEELb1ELb0EEEPKljNS1_16block_id_wrapperIjLb1EEEEEvT_jjPNSB_10value_typeET0_PNSt15iterator_traitsISE_E10value_typeEmT1_T2_
	.p2align	8
	.type	_ZN7rocprim17ROCPRIM_400000_NS6detail30init_device_scan_by_key_kernelINS1_19lookback_scan_stateINS0_5tupleIJlbEEELb1ELb0EEEPKljNS1_16block_id_wrapperIjLb1EEEEEvT_jjPNSB_10value_typeET0_PNSt15iterator_traitsISE_E10value_typeEmT1_T2_,@function
_ZN7rocprim17ROCPRIM_400000_NS6detail30init_device_scan_by_key_kernelINS1_19lookback_scan_stateINS0_5tupleIJlbEEELb1ELb0EEEPKljNS1_16block_id_wrapperIjLb1EEEEEvT_jjPNSB_10value_typeET0_PNSt15iterator_traitsISE_E10value_typeEmT1_T2_: ; @_ZN7rocprim17ROCPRIM_400000_NS6detail30init_device_scan_by_key_kernelINS1_19lookback_scan_stateINS0_5tupleIJlbEEELb1ELb0EEEPKljNS1_16block_id_wrapperIjLb1EEEEEvT_jjPNSB_10value_typeET0_PNSt15iterator_traitsISE_E10value_typeEmT1_T2_
; %bb.0:
	s_load_dword s3, s[0:1], 0x5c
	s_load_dwordx8 s[4:11], s[0:1], 0x10
	s_load_dword s20, s[0:1], 0x50
	s_waitcnt lgkmcnt(0)
	s_and_b32 s21, s3, 0xffff
	s_mul_i32 s2, s2, s21
	s_cmp_eq_u64 s[8:9], 0
	v_add_u32_e32 v0, s2, v0
	s_cbranch_scc1 .LBB103_9
; %bb.1:
	s_cmp_lt_u32 s7, s6
	s_cselect_b32 s2, s7, 0
	s_mov_b32 s17, 0
	v_cmp_eq_u32_e32 vcc, s2, v0
	s_and_saveexec_b64 s[2:3], vcc
	s_cbranch_execz .LBB103_8
; %bb.2:
	s_add_i32 s16, s7, 64
	v_mov_b32_e32 v1, s16
	global_load_ubyte v2, v1, s[4:5] sc1
	s_load_dwordx4 s[12:15], s[0:1], 0x0
	v_mov_b32_e32 v1, 0
	s_add_u32 s18, s4, s16
	s_addc_u32 s19, s5, 0
	s_waitcnt vmcnt(0)
	v_cmp_ne_u32_sdwa s[22:23], v2, v1 src0_sel:WORD_0 src1_sel:DWORD
	s_and_b64 vcc, exec, s[22:23]
	v_readfirstlane_b32 s22, v2
	s_cbranch_vccnz .LBB103_7
; %bb.3:
	s_mov_b32 s7, 1
.LBB103_4:                              ; =>This Loop Header: Depth=1
                                        ;     Child Loop BB103_5 Depth 2
	s_mov_b32 s22, s7
.LBB103_5:                              ;   Parent Loop BB103_4 Depth=1
                                        ; =>  This Inner Loop Header: Depth=2
	s_add_i32 s22, s22, -1
	s_cmp_eq_u32 s22, 0
	s_sleep 1
	s_cbranch_scc0 .LBB103_5
; %bb.6:                                ;   in Loop: Header=BB103_4 Depth=1
	global_load_ubyte v2, v1, s[18:19] sc1
	s_cmp_lt_u32 s7, 32
	s_cselect_b64 s[22:23], -1, 0
	s_cmp_lg_u64 s[22:23], 0
	s_addc_u32 s7, s7, 0
	s_waitcnt vmcnt(0)
	v_cmp_ne_u32_sdwa s[22:23], v2, v1 src0_sel:WORD_0 src1_sel:DWORD
	s_and_b64 vcc, exec, s[22:23]
	v_readfirstlane_b32 s22, v2
	s_cbranch_vccz .LBB103_4
.LBB103_7:
	s_and_b32 s7, 0xffff, s22
	s_cmp_eq_u32 s7, 1
	s_waitcnt lgkmcnt(0)
	s_cselect_b32 s7, s13, s15
	s_cselect_b32 s14, s12, s14
	s_lshl_b64 s[12:13], s[16:17], 4
	s_add_u32 s12, s14, s12
	s_addc_u32 s13, s7, s13
	v_mov_b32_e32 v1, 0
	s_waitcnt vmcnt(0)
	global_load_dword v4, v1, s[12:13] sc1
	global_load_dword v5, v1, s[12:13] offset:4 sc1
	global_load_dword v2, v1, s[12:13] offset:8 sc1
	;; [unrolled: 1-line block ×3, first 2 shown]
	s_waitcnt vmcnt(2)
	global_store_dwordx2 v1, v[4:5], s[8:9]
	s_waitcnt vmcnt(2)
	global_store_byte v1, v2, s[8:9] offset:8
.LBB103_8:
	s_or_b64 exec, exec, s[2:3]
.LBB103_9:
	v_cmp_eq_u32_e32 vcc, 0, v0
	s_and_saveexec_b64 s[2:3], vcc
	s_cbranch_execz .LBB103_11
; %bb.10:
	s_load_dwordx2 s[8:9], s[0:1], 0x48
	v_mov_b32_e32 v1, 0
	s_waitcnt lgkmcnt(0)
	global_store_dword v1, v1, s[8:9]
.LBB103_11:
	s_or_b64 exec, exec, s[2:3]
	v_cmp_gt_u32_e32 vcc, s6, v0
	s_and_saveexec_b64 s[2:3], vcc
	s_cbranch_execz .LBB103_13
; %bb.12:
	v_add_u32_e32 v1, 64, v0
	v_mov_b32_e32 v2, 0
	global_store_byte v1, v2, s[4:5]
.LBB103_13:
	s_or_b64 exec, exec, s[2:3]
	v_cmp_gt_u32_e32 vcc, 64, v0
	v_mov_b32_e32 v1, 0
	s_and_saveexec_b64 s[2:3], vcc
	s_cbranch_execz .LBB103_15
; %bb.14:
	s_waitcnt vmcnt(2)
	v_lshl_add_u64 v[2:3], s[4:5], 0, v[0:1]
	v_mov_b32_e32 v4, 0xff
	global_store_byte v[2:3], v4, off
.LBB103_15:
	s_or_b64 exec, exec, s[2:3]
	s_load_dwordx2 s[2:3], s[0:1], 0x38
	s_waitcnt lgkmcnt(0)
	v_cmp_gt_u64_e32 vcc, s[2:3], v[0:1]
	s_and_saveexec_b64 s[4:5], vcc
	s_cbranch_execz .LBB103_18
; %bb.16:
	s_load_dword s12, s[0:1], 0x40
	s_load_dwordx2 s[6:7], s[0:1], 0x30
	s_mov_b32 s5, 0
	s_mov_b32 s1, s5
	s_mul_i32 s0, s20, s21
	s_waitcnt lgkmcnt(0)
	s_add_i32 s4, s12, -1
	s_lshl_b64 s[4:5], s[4:5], 3
	s_add_u32 s4, s10, s4
	s_waitcnt vmcnt(2)
	v_mad_u64_u32 v[2:3], s[8:9], s12, v0, 0
	s_addc_u32 s5, s11, s5
	v_lshl_add_u64 v[2:3], v[2:3], 3, s[4:5]
	s_mul_hi_u32 s5, s12, s0
	s_mul_i32 s4, s12, s0
	s_lshl_b64 s[4:5], s[4:5], 3
	v_lshl_add_u64 v[4:5], v[0:1], 3, s[6:7]
	s_lshl_b64 s[6:7], s[0:1], 3
	s_mov_b64 s[8:9], 0
.LBB103_17:                             ; =>This Inner Loop Header: Depth=1
	global_load_dwordx2 v[6:7], v[2:3], off
	v_lshl_add_u64 v[0:1], v[0:1], 0, s[0:1]
	v_cmp_le_u64_e32 vcc, s[2:3], v[0:1]
	v_lshl_add_u64 v[2:3], v[2:3], 0, s[4:5]
	s_or_b64 s[8:9], vcc, s[8:9]
	s_waitcnt vmcnt(0)
	global_store_dwordx2 v[4:5], v[6:7], off
	v_lshl_add_u64 v[4:5], v[4:5], 0, s[6:7]
	s_andn2_b64 exec, exec, s[8:9]
	s_cbranch_execnz .LBB103_17
.LBB103_18:
	s_endpgm
	.section	.rodata,"a",@progbits
	.p2align	6, 0x0
	.amdhsa_kernel _ZN7rocprim17ROCPRIM_400000_NS6detail30init_device_scan_by_key_kernelINS1_19lookback_scan_stateINS0_5tupleIJlbEEELb1ELb0EEEPKljNS1_16block_id_wrapperIjLb1EEEEEvT_jjPNSB_10value_typeET0_PNSt15iterator_traitsISE_E10value_typeEmT1_T2_
		.amdhsa_group_segment_fixed_size 0
		.amdhsa_private_segment_fixed_size 0
		.amdhsa_kernarg_size 336
		.amdhsa_user_sgpr_count 2
		.amdhsa_user_sgpr_dispatch_ptr 0
		.amdhsa_user_sgpr_queue_ptr 0
		.amdhsa_user_sgpr_kernarg_segment_ptr 1
		.amdhsa_user_sgpr_dispatch_id 0
		.amdhsa_user_sgpr_kernarg_preload_length 0
		.amdhsa_user_sgpr_kernarg_preload_offset 0
		.amdhsa_user_sgpr_private_segment_size 0
		.amdhsa_uses_dynamic_stack 0
		.amdhsa_enable_private_segment 0
		.amdhsa_system_sgpr_workgroup_id_x 1
		.amdhsa_system_sgpr_workgroup_id_y 0
		.amdhsa_system_sgpr_workgroup_id_z 0
		.amdhsa_system_sgpr_workgroup_info 0
		.amdhsa_system_vgpr_workitem_id 0
		.amdhsa_next_free_vgpr 8
		.amdhsa_next_free_sgpr 24
		.amdhsa_accum_offset 8
		.amdhsa_reserve_vcc 1
		.amdhsa_float_round_mode_32 0
		.amdhsa_float_round_mode_16_64 0
		.amdhsa_float_denorm_mode_32 3
		.amdhsa_float_denorm_mode_16_64 3
		.amdhsa_dx10_clamp 1
		.amdhsa_ieee_mode 1
		.amdhsa_fp16_overflow 0
		.amdhsa_tg_split 0
		.amdhsa_exception_fp_ieee_invalid_op 0
		.amdhsa_exception_fp_denorm_src 0
		.amdhsa_exception_fp_ieee_div_zero 0
		.amdhsa_exception_fp_ieee_overflow 0
		.amdhsa_exception_fp_ieee_underflow 0
		.amdhsa_exception_fp_ieee_inexact 0
		.amdhsa_exception_int_div_zero 0
	.end_amdhsa_kernel
	.section	.text._ZN7rocprim17ROCPRIM_400000_NS6detail30init_device_scan_by_key_kernelINS1_19lookback_scan_stateINS0_5tupleIJlbEEELb1ELb0EEEPKljNS1_16block_id_wrapperIjLb1EEEEEvT_jjPNSB_10value_typeET0_PNSt15iterator_traitsISE_E10value_typeEmT1_T2_,"axG",@progbits,_ZN7rocprim17ROCPRIM_400000_NS6detail30init_device_scan_by_key_kernelINS1_19lookback_scan_stateINS0_5tupleIJlbEEELb1ELb0EEEPKljNS1_16block_id_wrapperIjLb1EEEEEvT_jjPNSB_10value_typeET0_PNSt15iterator_traitsISE_E10value_typeEmT1_T2_,comdat
.Lfunc_end103:
	.size	_ZN7rocprim17ROCPRIM_400000_NS6detail30init_device_scan_by_key_kernelINS1_19lookback_scan_stateINS0_5tupleIJlbEEELb1ELb0EEEPKljNS1_16block_id_wrapperIjLb1EEEEEvT_jjPNSB_10value_typeET0_PNSt15iterator_traitsISE_E10value_typeEmT1_T2_, .Lfunc_end103-_ZN7rocprim17ROCPRIM_400000_NS6detail30init_device_scan_by_key_kernelINS1_19lookback_scan_stateINS0_5tupleIJlbEEELb1ELb0EEEPKljNS1_16block_id_wrapperIjLb1EEEEEvT_jjPNSB_10value_typeET0_PNSt15iterator_traitsISE_E10value_typeEmT1_T2_
                                        ; -- End function
	.set _ZN7rocprim17ROCPRIM_400000_NS6detail30init_device_scan_by_key_kernelINS1_19lookback_scan_stateINS0_5tupleIJlbEEELb1ELb0EEEPKljNS1_16block_id_wrapperIjLb1EEEEEvT_jjPNSB_10value_typeET0_PNSt15iterator_traitsISE_E10value_typeEmT1_T2_.num_vgpr, 8
	.set _ZN7rocprim17ROCPRIM_400000_NS6detail30init_device_scan_by_key_kernelINS1_19lookback_scan_stateINS0_5tupleIJlbEEELb1ELb0EEEPKljNS1_16block_id_wrapperIjLb1EEEEEvT_jjPNSB_10value_typeET0_PNSt15iterator_traitsISE_E10value_typeEmT1_T2_.num_agpr, 0
	.set _ZN7rocprim17ROCPRIM_400000_NS6detail30init_device_scan_by_key_kernelINS1_19lookback_scan_stateINS0_5tupleIJlbEEELb1ELb0EEEPKljNS1_16block_id_wrapperIjLb1EEEEEvT_jjPNSB_10value_typeET0_PNSt15iterator_traitsISE_E10value_typeEmT1_T2_.numbered_sgpr, 24
	.set _ZN7rocprim17ROCPRIM_400000_NS6detail30init_device_scan_by_key_kernelINS1_19lookback_scan_stateINS0_5tupleIJlbEEELb1ELb0EEEPKljNS1_16block_id_wrapperIjLb1EEEEEvT_jjPNSB_10value_typeET0_PNSt15iterator_traitsISE_E10value_typeEmT1_T2_.num_named_barrier, 0
	.set _ZN7rocprim17ROCPRIM_400000_NS6detail30init_device_scan_by_key_kernelINS1_19lookback_scan_stateINS0_5tupleIJlbEEELb1ELb0EEEPKljNS1_16block_id_wrapperIjLb1EEEEEvT_jjPNSB_10value_typeET0_PNSt15iterator_traitsISE_E10value_typeEmT1_T2_.private_seg_size, 0
	.set _ZN7rocprim17ROCPRIM_400000_NS6detail30init_device_scan_by_key_kernelINS1_19lookback_scan_stateINS0_5tupleIJlbEEELb1ELb0EEEPKljNS1_16block_id_wrapperIjLb1EEEEEvT_jjPNSB_10value_typeET0_PNSt15iterator_traitsISE_E10value_typeEmT1_T2_.uses_vcc, 1
	.set _ZN7rocprim17ROCPRIM_400000_NS6detail30init_device_scan_by_key_kernelINS1_19lookback_scan_stateINS0_5tupleIJlbEEELb1ELb0EEEPKljNS1_16block_id_wrapperIjLb1EEEEEvT_jjPNSB_10value_typeET0_PNSt15iterator_traitsISE_E10value_typeEmT1_T2_.uses_flat_scratch, 0
	.set _ZN7rocprim17ROCPRIM_400000_NS6detail30init_device_scan_by_key_kernelINS1_19lookback_scan_stateINS0_5tupleIJlbEEELb1ELb0EEEPKljNS1_16block_id_wrapperIjLb1EEEEEvT_jjPNSB_10value_typeET0_PNSt15iterator_traitsISE_E10value_typeEmT1_T2_.has_dyn_sized_stack, 0
	.set _ZN7rocprim17ROCPRIM_400000_NS6detail30init_device_scan_by_key_kernelINS1_19lookback_scan_stateINS0_5tupleIJlbEEELb1ELb0EEEPKljNS1_16block_id_wrapperIjLb1EEEEEvT_jjPNSB_10value_typeET0_PNSt15iterator_traitsISE_E10value_typeEmT1_T2_.has_recursion, 0
	.set _ZN7rocprim17ROCPRIM_400000_NS6detail30init_device_scan_by_key_kernelINS1_19lookback_scan_stateINS0_5tupleIJlbEEELb1ELb0EEEPKljNS1_16block_id_wrapperIjLb1EEEEEvT_jjPNSB_10value_typeET0_PNSt15iterator_traitsISE_E10value_typeEmT1_T2_.has_indirect_call, 0
	.section	.AMDGPU.csdata,"",@progbits
; Kernel info:
; codeLenInByte = 616
; TotalNumSgprs: 30
; NumVgprs: 8
; NumAgprs: 0
; TotalNumVgprs: 8
; ScratchSize: 0
; MemoryBound: 0
; FloatMode: 240
; IeeeMode: 1
; LDSByteSize: 0 bytes/workgroup (compile time only)
; SGPRBlocks: 3
; VGPRBlocks: 0
; NumSGPRsForWavesPerEU: 30
; NumVGPRsForWavesPerEU: 8
; AccumOffset: 8
; Occupancy: 8
; WaveLimiterHint : 0
; COMPUTE_PGM_RSRC2:SCRATCH_EN: 0
; COMPUTE_PGM_RSRC2:USER_SGPR: 2
; COMPUTE_PGM_RSRC2:TRAP_HANDLER: 0
; COMPUTE_PGM_RSRC2:TGID_X_EN: 1
; COMPUTE_PGM_RSRC2:TGID_Y_EN: 0
; COMPUTE_PGM_RSRC2:TGID_Z_EN: 0
; COMPUTE_PGM_RSRC2:TIDIG_COMP_CNT: 0
; COMPUTE_PGM_RSRC3_GFX90A:ACCUM_OFFSET: 1
; COMPUTE_PGM_RSRC3_GFX90A:TG_SPLIT: 0
	.section	.text._ZN7rocprim17ROCPRIM_400000_NS6detail30init_device_scan_by_key_kernelINS1_19lookback_scan_stateINS0_5tupleIJlbEEELb1ELb0EEENS1_16block_id_wrapperIjLb1EEEEEvT_jjPNS9_10value_typeET0_,"axG",@progbits,_ZN7rocprim17ROCPRIM_400000_NS6detail30init_device_scan_by_key_kernelINS1_19lookback_scan_stateINS0_5tupleIJlbEEELb1ELb0EEENS1_16block_id_wrapperIjLb1EEEEEvT_jjPNS9_10value_typeET0_,comdat
	.protected	_ZN7rocprim17ROCPRIM_400000_NS6detail30init_device_scan_by_key_kernelINS1_19lookback_scan_stateINS0_5tupleIJlbEEELb1ELb0EEENS1_16block_id_wrapperIjLb1EEEEEvT_jjPNS9_10value_typeET0_ ; -- Begin function _ZN7rocprim17ROCPRIM_400000_NS6detail30init_device_scan_by_key_kernelINS1_19lookback_scan_stateINS0_5tupleIJlbEEELb1ELb0EEENS1_16block_id_wrapperIjLb1EEEEEvT_jjPNS9_10value_typeET0_
	.globl	_ZN7rocprim17ROCPRIM_400000_NS6detail30init_device_scan_by_key_kernelINS1_19lookback_scan_stateINS0_5tupleIJlbEEELb1ELb0EEENS1_16block_id_wrapperIjLb1EEEEEvT_jjPNS9_10value_typeET0_
	.p2align	8
	.type	_ZN7rocprim17ROCPRIM_400000_NS6detail30init_device_scan_by_key_kernelINS1_19lookback_scan_stateINS0_5tupleIJlbEEELb1ELb0EEENS1_16block_id_wrapperIjLb1EEEEEvT_jjPNS9_10value_typeET0_,@function
_ZN7rocprim17ROCPRIM_400000_NS6detail30init_device_scan_by_key_kernelINS1_19lookback_scan_stateINS0_5tupleIJlbEEELb1ELb0EEENS1_16block_id_wrapperIjLb1EEEEEvT_jjPNS9_10value_typeET0_: ; @_ZN7rocprim17ROCPRIM_400000_NS6detail30init_device_scan_by_key_kernelINS1_19lookback_scan_stateINS0_5tupleIJlbEEELb1ELb0EEENS1_16block_id_wrapperIjLb1EEEEEvT_jjPNS9_10value_typeET0_
; %bb.0:
	s_load_dword s3, s[0:1], 0x3c
	s_load_dwordx8 s[4:11], s[0:1], 0x10
	s_waitcnt lgkmcnt(0)
	s_and_b32 s3, s3, 0xffff
	s_mul_i32 s2, s2, s3
	s_cmp_eq_u64 s[8:9], 0
	v_add_u32_e32 v0, s2, v0
	s_cbranch_scc1 .LBB104_9
; %bb.1:
	s_cmp_lt_u32 s7, s6
	s_cselect_b32 s2, s7, 0
	s_mov_b32 s17, 0
	v_cmp_eq_u32_e32 vcc, s2, v0
	s_and_saveexec_b64 s[2:3], vcc
	s_cbranch_execz .LBB104_8
; %bb.2:
	s_add_i32 s16, s7, 64
	v_mov_b32_e32 v1, s16
	global_load_ubyte v2, v1, s[4:5] sc1
	s_load_dwordx4 s[12:15], s[0:1], 0x0
	v_mov_b32_e32 v1, 0
	s_add_u32 s0, s4, s16
	s_addc_u32 s1, s5, 0
	s_waitcnt vmcnt(0)
	v_cmp_ne_u32_sdwa s[18:19], v2, v1 src0_sel:WORD_0 src1_sel:DWORD
	s_and_b64 vcc, exec, s[18:19]
	v_readfirstlane_b32 s18, v2
	s_cbranch_vccnz .LBB104_7
; %bb.3:
	s_mov_b32 s7, 1
.LBB104_4:                              ; =>This Loop Header: Depth=1
                                        ;     Child Loop BB104_5 Depth 2
	s_mov_b32 s18, s7
.LBB104_5:                              ;   Parent Loop BB104_4 Depth=1
                                        ; =>  This Inner Loop Header: Depth=2
	s_add_i32 s18, s18, -1
	s_cmp_eq_u32 s18, 0
	s_sleep 1
	s_cbranch_scc0 .LBB104_5
; %bb.6:                                ;   in Loop: Header=BB104_4 Depth=1
	global_load_ubyte v2, v1, s[0:1] sc1
	s_cmp_lt_u32 s7, 32
	s_cselect_b64 s[18:19], -1, 0
	s_cmp_lg_u64 s[18:19], 0
	s_addc_u32 s7, s7, 0
	s_waitcnt vmcnt(0)
	v_cmp_ne_u32_sdwa s[18:19], v2, v1 src0_sel:WORD_0 src1_sel:DWORD
	s_and_b64 vcc, exec, s[18:19]
	v_readfirstlane_b32 s18, v2
	s_cbranch_vccz .LBB104_4
.LBB104_7:
	s_and_b32 s0, 0xffff, s18
	s_cmp_eq_u32 s0, 1
	s_waitcnt lgkmcnt(0)
	s_cselect_b32 s7, s13, s15
	s_cselect_b32 s12, s12, s14
	s_lshl_b64 s[0:1], s[16:17], 4
	s_add_u32 s0, s12, s0
	s_addc_u32 s1, s7, s1
	v_mov_b32_e32 v1, 0
	s_waitcnt vmcnt(0)
	global_load_dword v4, v1, s[0:1] sc1
	global_load_dword v5, v1, s[0:1] offset:4 sc1
	global_load_dword v2, v1, s[0:1] offset:8 sc1
	;; [unrolled: 1-line block ×3, first 2 shown]
	s_waitcnt vmcnt(2)
	global_store_dwordx2 v1, v[4:5], s[8:9]
	s_waitcnt vmcnt(2)
	global_store_byte v1, v2, s[8:9] offset:8
.LBB104_8:
	s_or_b64 exec, exec, s[2:3]
.LBB104_9:
	v_cmp_eq_u32_e32 vcc, 0, v0
	s_and_saveexec_b64 s[0:1], vcc
	s_cbranch_execnz .LBB104_13
; %bb.10:
	s_or_b64 exec, exec, s[0:1]
	v_cmp_gt_u32_e32 vcc, s6, v0
	s_and_saveexec_b64 s[0:1], vcc
	s_cbranch_execnz .LBB104_14
.LBB104_11:
	s_or_b64 exec, exec, s[0:1]
	v_cmp_gt_u32_e32 vcc, 64, v0
	s_and_saveexec_b64 s[0:1], vcc
	s_cbranch_execnz .LBB104_15
.LBB104_12:
	s_endpgm
.LBB104_13:
	v_mov_b32_e32 v1, 0
	global_store_dword v1, v1, s[10:11]
	s_or_b64 exec, exec, s[0:1]
	v_cmp_gt_u32_e32 vcc, s6, v0
	s_and_saveexec_b64 s[0:1], vcc
	s_cbranch_execz .LBB104_11
.LBB104_14:
	v_add_u32_e32 v1, 64, v0
	v_mov_b32_e32 v2, 0
	global_store_byte v1, v2, s[4:5]
	s_or_b64 exec, exec, s[0:1]
	v_cmp_gt_u32_e32 vcc, 64, v0
	s_and_saveexec_b64 s[0:1], vcc
	s_cbranch_execz .LBB104_12
.LBB104_15:
	v_mov_b32_e32 v1, 0xff
	global_store_byte v0, v1, s[4:5]
	s_endpgm
	.section	.rodata,"a",@progbits
	.p2align	6, 0x0
	.amdhsa_kernel _ZN7rocprim17ROCPRIM_400000_NS6detail30init_device_scan_by_key_kernelINS1_19lookback_scan_stateINS0_5tupleIJlbEEELb1ELb0EEENS1_16block_id_wrapperIjLb1EEEEEvT_jjPNS9_10value_typeET0_
		.amdhsa_group_segment_fixed_size 0
		.amdhsa_private_segment_fixed_size 0
		.amdhsa_kernarg_size 304
		.amdhsa_user_sgpr_count 2
		.amdhsa_user_sgpr_dispatch_ptr 0
		.amdhsa_user_sgpr_queue_ptr 0
		.amdhsa_user_sgpr_kernarg_segment_ptr 1
		.amdhsa_user_sgpr_dispatch_id 0
		.amdhsa_user_sgpr_kernarg_preload_length 0
		.amdhsa_user_sgpr_kernarg_preload_offset 0
		.amdhsa_user_sgpr_private_segment_size 0
		.amdhsa_uses_dynamic_stack 0
		.amdhsa_enable_private_segment 0
		.amdhsa_system_sgpr_workgroup_id_x 1
		.amdhsa_system_sgpr_workgroup_id_y 0
		.amdhsa_system_sgpr_workgroup_id_z 0
		.amdhsa_system_sgpr_workgroup_info 0
		.amdhsa_system_vgpr_workitem_id 0
		.amdhsa_next_free_vgpr 6
		.amdhsa_next_free_sgpr 20
		.amdhsa_accum_offset 8
		.amdhsa_reserve_vcc 1
		.amdhsa_float_round_mode_32 0
		.amdhsa_float_round_mode_16_64 0
		.amdhsa_float_denorm_mode_32 3
		.amdhsa_float_denorm_mode_16_64 3
		.amdhsa_dx10_clamp 1
		.amdhsa_ieee_mode 1
		.amdhsa_fp16_overflow 0
		.amdhsa_tg_split 0
		.amdhsa_exception_fp_ieee_invalid_op 0
		.amdhsa_exception_fp_denorm_src 0
		.amdhsa_exception_fp_ieee_div_zero 0
		.amdhsa_exception_fp_ieee_overflow 0
		.amdhsa_exception_fp_ieee_underflow 0
		.amdhsa_exception_fp_ieee_inexact 0
		.amdhsa_exception_int_div_zero 0
	.end_amdhsa_kernel
	.section	.text._ZN7rocprim17ROCPRIM_400000_NS6detail30init_device_scan_by_key_kernelINS1_19lookback_scan_stateINS0_5tupleIJlbEEELb1ELb0EEENS1_16block_id_wrapperIjLb1EEEEEvT_jjPNS9_10value_typeET0_,"axG",@progbits,_ZN7rocprim17ROCPRIM_400000_NS6detail30init_device_scan_by_key_kernelINS1_19lookback_scan_stateINS0_5tupleIJlbEEELb1ELb0EEENS1_16block_id_wrapperIjLb1EEEEEvT_jjPNS9_10value_typeET0_,comdat
.Lfunc_end104:
	.size	_ZN7rocprim17ROCPRIM_400000_NS6detail30init_device_scan_by_key_kernelINS1_19lookback_scan_stateINS0_5tupleIJlbEEELb1ELb0EEENS1_16block_id_wrapperIjLb1EEEEEvT_jjPNS9_10value_typeET0_, .Lfunc_end104-_ZN7rocprim17ROCPRIM_400000_NS6detail30init_device_scan_by_key_kernelINS1_19lookback_scan_stateINS0_5tupleIJlbEEELb1ELb0EEENS1_16block_id_wrapperIjLb1EEEEEvT_jjPNS9_10value_typeET0_
                                        ; -- End function
	.set _ZN7rocprim17ROCPRIM_400000_NS6detail30init_device_scan_by_key_kernelINS1_19lookback_scan_stateINS0_5tupleIJlbEEELb1ELb0EEENS1_16block_id_wrapperIjLb1EEEEEvT_jjPNS9_10value_typeET0_.num_vgpr, 6
	.set _ZN7rocprim17ROCPRIM_400000_NS6detail30init_device_scan_by_key_kernelINS1_19lookback_scan_stateINS0_5tupleIJlbEEELb1ELb0EEENS1_16block_id_wrapperIjLb1EEEEEvT_jjPNS9_10value_typeET0_.num_agpr, 0
	.set _ZN7rocprim17ROCPRIM_400000_NS6detail30init_device_scan_by_key_kernelINS1_19lookback_scan_stateINS0_5tupleIJlbEEELb1ELb0EEENS1_16block_id_wrapperIjLb1EEEEEvT_jjPNS9_10value_typeET0_.numbered_sgpr, 20
	.set _ZN7rocprim17ROCPRIM_400000_NS6detail30init_device_scan_by_key_kernelINS1_19lookback_scan_stateINS0_5tupleIJlbEEELb1ELb0EEENS1_16block_id_wrapperIjLb1EEEEEvT_jjPNS9_10value_typeET0_.num_named_barrier, 0
	.set _ZN7rocprim17ROCPRIM_400000_NS6detail30init_device_scan_by_key_kernelINS1_19lookback_scan_stateINS0_5tupleIJlbEEELb1ELb0EEENS1_16block_id_wrapperIjLb1EEEEEvT_jjPNS9_10value_typeET0_.private_seg_size, 0
	.set _ZN7rocprim17ROCPRIM_400000_NS6detail30init_device_scan_by_key_kernelINS1_19lookback_scan_stateINS0_5tupleIJlbEEELb1ELb0EEENS1_16block_id_wrapperIjLb1EEEEEvT_jjPNS9_10value_typeET0_.uses_vcc, 1
	.set _ZN7rocprim17ROCPRIM_400000_NS6detail30init_device_scan_by_key_kernelINS1_19lookback_scan_stateINS0_5tupleIJlbEEELb1ELb0EEENS1_16block_id_wrapperIjLb1EEEEEvT_jjPNS9_10value_typeET0_.uses_flat_scratch, 0
	.set _ZN7rocprim17ROCPRIM_400000_NS6detail30init_device_scan_by_key_kernelINS1_19lookback_scan_stateINS0_5tupleIJlbEEELb1ELb0EEENS1_16block_id_wrapperIjLb1EEEEEvT_jjPNS9_10value_typeET0_.has_dyn_sized_stack, 0
	.set _ZN7rocprim17ROCPRIM_400000_NS6detail30init_device_scan_by_key_kernelINS1_19lookback_scan_stateINS0_5tupleIJlbEEELb1ELb0EEENS1_16block_id_wrapperIjLb1EEEEEvT_jjPNS9_10value_typeET0_.has_recursion, 0
	.set _ZN7rocprim17ROCPRIM_400000_NS6detail30init_device_scan_by_key_kernelINS1_19lookback_scan_stateINS0_5tupleIJlbEEELb1ELb0EEENS1_16block_id_wrapperIjLb1EEEEEvT_jjPNS9_10value_typeET0_.has_indirect_call, 0
	.section	.AMDGPU.csdata,"",@progbits
; Kernel info:
; codeLenInByte = 432
; TotalNumSgprs: 26
; NumVgprs: 6
; NumAgprs: 0
; TotalNumVgprs: 6
; ScratchSize: 0
; MemoryBound: 0
; FloatMode: 240
; IeeeMode: 1
; LDSByteSize: 0 bytes/workgroup (compile time only)
; SGPRBlocks: 3
; VGPRBlocks: 0
; NumSGPRsForWavesPerEU: 26
; NumVGPRsForWavesPerEU: 6
; AccumOffset: 8
; Occupancy: 8
; WaveLimiterHint : 0
; COMPUTE_PGM_RSRC2:SCRATCH_EN: 0
; COMPUTE_PGM_RSRC2:USER_SGPR: 2
; COMPUTE_PGM_RSRC2:TRAP_HANDLER: 0
; COMPUTE_PGM_RSRC2:TGID_X_EN: 1
; COMPUTE_PGM_RSRC2:TGID_Y_EN: 0
; COMPUTE_PGM_RSRC2:TGID_Z_EN: 0
; COMPUTE_PGM_RSRC2:TIDIG_COMP_CNT: 0
; COMPUTE_PGM_RSRC3_GFX90A:ACCUM_OFFSET: 1
; COMPUTE_PGM_RSRC3_GFX90A:TG_SPLIT: 0
	.section	.text._ZN7rocprim17ROCPRIM_400000_NS6detail17trampoline_kernelINS0_14default_configENS1_27scan_by_key_config_selectorIllEEZZNS1_16scan_by_key_implILNS1_25lookback_scan_determinismE0ELb0ES3_PKlN6hipcub16HIPCUB_304000_NS21ConstantInputIteratorIllEEPllNSB_3SumENSB_8EqualityElEE10hipError_tPvRmT2_T3_T4_T5_mT6_T7_P12ihipStream_tbENKUlT_T0_E_clISt17integral_constantIbLb1EESX_EEDaSS_ST_EUlSS_E_NS1_11comp_targetILNS1_3genE0ELNS1_11target_archE4294967295ELNS1_3gpuE0ELNS1_3repE0EEENS1_30default_config_static_selectorELNS0_4arch9wavefront6targetE1EEEvT1_,"axG",@progbits,_ZN7rocprim17ROCPRIM_400000_NS6detail17trampoline_kernelINS0_14default_configENS1_27scan_by_key_config_selectorIllEEZZNS1_16scan_by_key_implILNS1_25lookback_scan_determinismE0ELb0ES3_PKlN6hipcub16HIPCUB_304000_NS21ConstantInputIteratorIllEEPllNSB_3SumENSB_8EqualityElEE10hipError_tPvRmT2_T3_T4_T5_mT6_T7_P12ihipStream_tbENKUlT_T0_E_clISt17integral_constantIbLb1EESX_EEDaSS_ST_EUlSS_E_NS1_11comp_targetILNS1_3genE0ELNS1_11target_archE4294967295ELNS1_3gpuE0ELNS1_3repE0EEENS1_30default_config_static_selectorELNS0_4arch9wavefront6targetE1EEEvT1_,comdat
	.protected	_ZN7rocprim17ROCPRIM_400000_NS6detail17trampoline_kernelINS0_14default_configENS1_27scan_by_key_config_selectorIllEEZZNS1_16scan_by_key_implILNS1_25lookback_scan_determinismE0ELb0ES3_PKlN6hipcub16HIPCUB_304000_NS21ConstantInputIteratorIllEEPllNSB_3SumENSB_8EqualityElEE10hipError_tPvRmT2_T3_T4_T5_mT6_T7_P12ihipStream_tbENKUlT_T0_E_clISt17integral_constantIbLb1EESX_EEDaSS_ST_EUlSS_E_NS1_11comp_targetILNS1_3genE0ELNS1_11target_archE4294967295ELNS1_3gpuE0ELNS1_3repE0EEENS1_30default_config_static_selectorELNS0_4arch9wavefront6targetE1EEEvT1_ ; -- Begin function _ZN7rocprim17ROCPRIM_400000_NS6detail17trampoline_kernelINS0_14default_configENS1_27scan_by_key_config_selectorIllEEZZNS1_16scan_by_key_implILNS1_25lookback_scan_determinismE0ELb0ES3_PKlN6hipcub16HIPCUB_304000_NS21ConstantInputIteratorIllEEPllNSB_3SumENSB_8EqualityElEE10hipError_tPvRmT2_T3_T4_T5_mT6_T7_P12ihipStream_tbENKUlT_T0_E_clISt17integral_constantIbLb1EESX_EEDaSS_ST_EUlSS_E_NS1_11comp_targetILNS1_3genE0ELNS1_11target_archE4294967295ELNS1_3gpuE0ELNS1_3repE0EEENS1_30default_config_static_selectorELNS0_4arch9wavefront6targetE1EEEvT1_
	.globl	_ZN7rocprim17ROCPRIM_400000_NS6detail17trampoline_kernelINS0_14default_configENS1_27scan_by_key_config_selectorIllEEZZNS1_16scan_by_key_implILNS1_25lookback_scan_determinismE0ELb0ES3_PKlN6hipcub16HIPCUB_304000_NS21ConstantInputIteratorIllEEPllNSB_3SumENSB_8EqualityElEE10hipError_tPvRmT2_T3_T4_T5_mT6_T7_P12ihipStream_tbENKUlT_T0_E_clISt17integral_constantIbLb1EESX_EEDaSS_ST_EUlSS_E_NS1_11comp_targetILNS1_3genE0ELNS1_11target_archE4294967295ELNS1_3gpuE0ELNS1_3repE0EEENS1_30default_config_static_selectorELNS0_4arch9wavefront6targetE1EEEvT1_
	.p2align	8
	.type	_ZN7rocprim17ROCPRIM_400000_NS6detail17trampoline_kernelINS0_14default_configENS1_27scan_by_key_config_selectorIllEEZZNS1_16scan_by_key_implILNS1_25lookback_scan_determinismE0ELb0ES3_PKlN6hipcub16HIPCUB_304000_NS21ConstantInputIteratorIllEEPllNSB_3SumENSB_8EqualityElEE10hipError_tPvRmT2_T3_T4_T5_mT6_T7_P12ihipStream_tbENKUlT_T0_E_clISt17integral_constantIbLb1EESX_EEDaSS_ST_EUlSS_E_NS1_11comp_targetILNS1_3genE0ELNS1_11target_archE4294967295ELNS1_3gpuE0ELNS1_3repE0EEENS1_30default_config_static_selectorELNS0_4arch9wavefront6targetE1EEEvT1_,@function
_ZN7rocprim17ROCPRIM_400000_NS6detail17trampoline_kernelINS0_14default_configENS1_27scan_by_key_config_selectorIllEEZZNS1_16scan_by_key_implILNS1_25lookback_scan_determinismE0ELb0ES3_PKlN6hipcub16HIPCUB_304000_NS21ConstantInputIteratorIllEEPllNSB_3SumENSB_8EqualityElEE10hipError_tPvRmT2_T3_T4_T5_mT6_T7_P12ihipStream_tbENKUlT_T0_E_clISt17integral_constantIbLb1EESX_EEDaSS_ST_EUlSS_E_NS1_11comp_targetILNS1_3genE0ELNS1_11target_archE4294967295ELNS1_3gpuE0ELNS1_3repE0EEENS1_30default_config_static_selectorELNS0_4arch9wavefront6targetE1EEEvT1_: ; @_ZN7rocprim17ROCPRIM_400000_NS6detail17trampoline_kernelINS0_14default_configENS1_27scan_by_key_config_selectorIllEEZZNS1_16scan_by_key_implILNS1_25lookback_scan_determinismE0ELb0ES3_PKlN6hipcub16HIPCUB_304000_NS21ConstantInputIteratorIllEEPllNSB_3SumENSB_8EqualityElEE10hipError_tPvRmT2_T3_T4_T5_mT6_T7_P12ihipStream_tbENKUlT_T0_E_clISt17integral_constantIbLb1EESX_EEDaSS_ST_EUlSS_E_NS1_11comp_targetILNS1_3genE0ELNS1_11target_archE4294967295ELNS1_3gpuE0ELNS1_3repE0EEENS1_30default_config_static_selectorELNS0_4arch9wavefront6targetE1EEEvT1_
; %bb.0:
	s_endpgm
	.section	.rodata,"a",@progbits
	.p2align	6, 0x0
	.amdhsa_kernel _ZN7rocprim17ROCPRIM_400000_NS6detail17trampoline_kernelINS0_14default_configENS1_27scan_by_key_config_selectorIllEEZZNS1_16scan_by_key_implILNS1_25lookback_scan_determinismE0ELb0ES3_PKlN6hipcub16HIPCUB_304000_NS21ConstantInputIteratorIllEEPllNSB_3SumENSB_8EqualityElEE10hipError_tPvRmT2_T3_T4_T5_mT6_T7_P12ihipStream_tbENKUlT_T0_E_clISt17integral_constantIbLb1EESX_EEDaSS_ST_EUlSS_E_NS1_11comp_targetILNS1_3genE0ELNS1_11target_archE4294967295ELNS1_3gpuE0ELNS1_3repE0EEENS1_30default_config_static_selectorELNS0_4arch9wavefront6targetE1EEEvT1_
		.amdhsa_group_segment_fixed_size 0
		.amdhsa_private_segment_fixed_size 0
		.amdhsa_kernarg_size 144
		.amdhsa_user_sgpr_count 2
		.amdhsa_user_sgpr_dispatch_ptr 0
		.amdhsa_user_sgpr_queue_ptr 0
		.amdhsa_user_sgpr_kernarg_segment_ptr 1
		.amdhsa_user_sgpr_dispatch_id 0
		.amdhsa_user_sgpr_kernarg_preload_length 0
		.amdhsa_user_sgpr_kernarg_preload_offset 0
		.amdhsa_user_sgpr_private_segment_size 0
		.amdhsa_uses_dynamic_stack 0
		.amdhsa_enable_private_segment 0
		.amdhsa_system_sgpr_workgroup_id_x 1
		.amdhsa_system_sgpr_workgroup_id_y 0
		.amdhsa_system_sgpr_workgroup_id_z 0
		.amdhsa_system_sgpr_workgroup_info 0
		.amdhsa_system_vgpr_workitem_id 0
		.amdhsa_next_free_vgpr 1
		.amdhsa_next_free_sgpr 0
		.amdhsa_accum_offset 4
		.amdhsa_reserve_vcc 0
		.amdhsa_float_round_mode_32 0
		.amdhsa_float_round_mode_16_64 0
		.amdhsa_float_denorm_mode_32 3
		.amdhsa_float_denorm_mode_16_64 3
		.amdhsa_dx10_clamp 1
		.amdhsa_ieee_mode 1
		.amdhsa_fp16_overflow 0
		.amdhsa_tg_split 0
		.amdhsa_exception_fp_ieee_invalid_op 0
		.amdhsa_exception_fp_denorm_src 0
		.amdhsa_exception_fp_ieee_div_zero 0
		.amdhsa_exception_fp_ieee_overflow 0
		.amdhsa_exception_fp_ieee_underflow 0
		.amdhsa_exception_fp_ieee_inexact 0
		.amdhsa_exception_int_div_zero 0
	.end_amdhsa_kernel
	.section	.text._ZN7rocprim17ROCPRIM_400000_NS6detail17trampoline_kernelINS0_14default_configENS1_27scan_by_key_config_selectorIllEEZZNS1_16scan_by_key_implILNS1_25lookback_scan_determinismE0ELb0ES3_PKlN6hipcub16HIPCUB_304000_NS21ConstantInputIteratorIllEEPllNSB_3SumENSB_8EqualityElEE10hipError_tPvRmT2_T3_T4_T5_mT6_T7_P12ihipStream_tbENKUlT_T0_E_clISt17integral_constantIbLb1EESX_EEDaSS_ST_EUlSS_E_NS1_11comp_targetILNS1_3genE0ELNS1_11target_archE4294967295ELNS1_3gpuE0ELNS1_3repE0EEENS1_30default_config_static_selectorELNS0_4arch9wavefront6targetE1EEEvT1_,"axG",@progbits,_ZN7rocprim17ROCPRIM_400000_NS6detail17trampoline_kernelINS0_14default_configENS1_27scan_by_key_config_selectorIllEEZZNS1_16scan_by_key_implILNS1_25lookback_scan_determinismE0ELb0ES3_PKlN6hipcub16HIPCUB_304000_NS21ConstantInputIteratorIllEEPllNSB_3SumENSB_8EqualityElEE10hipError_tPvRmT2_T3_T4_T5_mT6_T7_P12ihipStream_tbENKUlT_T0_E_clISt17integral_constantIbLb1EESX_EEDaSS_ST_EUlSS_E_NS1_11comp_targetILNS1_3genE0ELNS1_11target_archE4294967295ELNS1_3gpuE0ELNS1_3repE0EEENS1_30default_config_static_selectorELNS0_4arch9wavefront6targetE1EEEvT1_,comdat
.Lfunc_end105:
	.size	_ZN7rocprim17ROCPRIM_400000_NS6detail17trampoline_kernelINS0_14default_configENS1_27scan_by_key_config_selectorIllEEZZNS1_16scan_by_key_implILNS1_25lookback_scan_determinismE0ELb0ES3_PKlN6hipcub16HIPCUB_304000_NS21ConstantInputIteratorIllEEPllNSB_3SumENSB_8EqualityElEE10hipError_tPvRmT2_T3_T4_T5_mT6_T7_P12ihipStream_tbENKUlT_T0_E_clISt17integral_constantIbLb1EESX_EEDaSS_ST_EUlSS_E_NS1_11comp_targetILNS1_3genE0ELNS1_11target_archE4294967295ELNS1_3gpuE0ELNS1_3repE0EEENS1_30default_config_static_selectorELNS0_4arch9wavefront6targetE1EEEvT1_, .Lfunc_end105-_ZN7rocprim17ROCPRIM_400000_NS6detail17trampoline_kernelINS0_14default_configENS1_27scan_by_key_config_selectorIllEEZZNS1_16scan_by_key_implILNS1_25lookback_scan_determinismE0ELb0ES3_PKlN6hipcub16HIPCUB_304000_NS21ConstantInputIteratorIllEEPllNSB_3SumENSB_8EqualityElEE10hipError_tPvRmT2_T3_T4_T5_mT6_T7_P12ihipStream_tbENKUlT_T0_E_clISt17integral_constantIbLb1EESX_EEDaSS_ST_EUlSS_E_NS1_11comp_targetILNS1_3genE0ELNS1_11target_archE4294967295ELNS1_3gpuE0ELNS1_3repE0EEENS1_30default_config_static_selectorELNS0_4arch9wavefront6targetE1EEEvT1_
                                        ; -- End function
	.set _ZN7rocprim17ROCPRIM_400000_NS6detail17trampoline_kernelINS0_14default_configENS1_27scan_by_key_config_selectorIllEEZZNS1_16scan_by_key_implILNS1_25lookback_scan_determinismE0ELb0ES3_PKlN6hipcub16HIPCUB_304000_NS21ConstantInputIteratorIllEEPllNSB_3SumENSB_8EqualityElEE10hipError_tPvRmT2_T3_T4_T5_mT6_T7_P12ihipStream_tbENKUlT_T0_E_clISt17integral_constantIbLb1EESX_EEDaSS_ST_EUlSS_E_NS1_11comp_targetILNS1_3genE0ELNS1_11target_archE4294967295ELNS1_3gpuE0ELNS1_3repE0EEENS1_30default_config_static_selectorELNS0_4arch9wavefront6targetE1EEEvT1_.num_vgpr, 0
	.set _ZN7rocprim17ROCPRIM_400000_NS6detail17trampoline_kernelINS0_14default_configENS1_27scan_by_key_config_selectorIllEEZZNS1_16scan_by_key_implILNS1_25lookback_scan_determinismE0ELb0ES3_PKlN6hipcub16HIPCUB_304000_NS21ConstantInputIteratorIllEEPllNSB_3SumENSB_8EqualityElEE10hipError_tPvRmT2_T3_T4_T5_mT6_T7_P12ihipStream_tbENKUlT_T0_E_clISt17integral_constantIbLb1EESX_EEDaSS_ST_EUlSS_E_NS1_11comp_targetILNS1_3genE0ELNS1_11target_archE4294967295ELNS1_3gpuE0ELNS1_3repE0EEENS1_30default_config_static_selectorELNS0_4arch9wavefront6targetE1EEEvT1_.num_agpr, 0
	.set _ZN7rocprim17ROCPRIM_400000_NS6detail17trampoline_kernelINS0_14default_configENS1_27scan_by_key_config_selectorIllEEZZNS1_16scan_by_key_implILNS1_25lookback_scan_determinismE0ELb0ES3_PKlN6hipcub16HIPCUB_304000_NS21ConstantInputIteratorIllEEPllNSB_3SumENSB_8EqualityElEE10hipError_tPvRmT2_T3_T4_T5_mT6_T7_P12ihipStream_tbENKUlT_T0_E_clISt17integral_constantIbLb1EESX_EEDaSS_ST_EUlSS_E_NS1_11comp_targetILNS1_3genE0ELNS1_11target_archE4294967295ELNS1_3gpuE0ELNS1_3repE0EEENS1_30default_config_static_selectorELNS0_4arch9wavefront6targetE1EEEvT1_.numbered_sgpr, 0
	.set _ZN7rocprim17ROCPRIM_400000_NS6detail17trampoline_kernelINS0_14default_configENS1_27scan_by_key_config_selectorIllEEZZNS1_16scan_by_key_implILNS1_25lookback_scan_determinismE0ELb0ES3_PKlN6hipcub16HIPCUB_304000_NS21ConstantInputIteratorIllEEPllNSB_3SumENSB_8EqualityElEE10hipError_tPvRmT2_T3_T4_T5_mT6_T7_P12ihipStream_tbENKUlT_T0_E_clISt17integral_constantIbLb1EESX_EEDaSS_ST_EUlSS_E_NS1_11comp_targetILNS1_3genE0ELNS1_11target_archE4294967295ELNS1_3gpuE0ELNS1_3repE0EEENS1_30default_config_static_selectorELNS0_4arch9wavefront6targetE1EEEvT1_.num_named_barrier, 0
	.set _ZN7rocprim17ROCPRIM_400000_NS6detail17trampoline_kernelINS0_14default_configENS1_27scan_by_key_config_selectorIllEEZZNS1_16scan_by_key_implILNS1_25lookback_scan_determinismE0ELb0ES3_PKlN6hipcub16HIPCUB_304000_NS21ConstantInputIteratorIllEEPllNSB_3SumENSB_8EqualityElEE10hipError_tPvRmT2_T3_T4_T5_mT6_T7_P12ihipStream_tbENKUlT_T0_E_clISt17integral_constantIbLb1EESX_EEDaSS_ST_EUlSS_E_NS1_11comp_targetILNS1_3genE0ELNS1_11target_archE4294967295ELNS1_3gpuE0ELNS1_3repE0EEENS1_30default_config_static_selectorELNS0_4arch9wavefront6targetE1EEEvT1_.private_seg_size, 0
	.set _ZN7rocprim17ROCPRIM_400000_NS6detail17trampoline_kernelINS0_14default_configENS1_27scan_by_key_config_selectorIllEEZZNS1_16scan_by_key_implILNS1_25lookback_scan_determinismE0ELb0ES3_PKlN6hipcub16HIPCUB_304000_NS21ConstantInputIteratorIllEEPllNSB_3SumENSB_8EqualityElEE10hipError_tPvRmT2_T3_T4_T5_mT6_T7_P12ihipStream_tbENKUlT_T0_E_clISt17integral_constantIbLb1EESX_EEDaSS_ST_EUlSS_E_NS1_11comp_targetILNS1_3genE0ELNS1_11target_archE4294967295ELNS1_3gpuE0ELNS1_3repE0EEENS1_30default_config_static_selectorELNS0_4arch9wavefront6targetE1EEEvT1_.uses_vcc, 0
	.set _ZN7rocprim17ROCPRIM_400000_NS6detail17trampoline_kernelINS0_14default_configENS1_27scan_by_key_config_selectorIllEEZZNS1_16scan_by_key_implILNS1_25lookback_scan_determinismE0ELb0ES3_PKlN6hipcub16HIPCUB_304000_NS21ConstantInputIteratorIllEEPllNSB_3SumENSB_8EqualityElEE10hipError_tPvRmT2_T3_T4_T5_mT6_T7_P12ihipStream_tbENKUlT_T0_E_clISt17integral_constantIbLb1EESX_EEDaSS_ST_EUlSS_E_NS1_11comp_targetILNS1_3genE0ELNS1_11target_archE4294967295ELNS1_3gpuE0ELNS1_3repE0EEENS1_30default_config_static_selectorELNS0_4arch9wavefront6targetE1EEEvT1_.uses_flat_scratch, 0
	.set _ZN7rocprim17ROCPRIM_400000_NS6detail17trampoline_kernelINS0_14default_configENS1_27scan_by_key_config_selectorIllEEZZNS1_16scan_by_key_implILNS1_25lookback_scan_determinismE0ELb0ES3_PKlN6hipcub16HIPCUB_304000_NS21ConstantInputIteratorIllEEPllNSB_3SumENSB_8EqualityElEE10hipError_tPvRmT2_T3_T4_T5_mT6_T7_P12ihipStream_tbENKUlT_T0_E_clISt17integral_constantIbLb1EESX_EEDaSS_ST_EUlSS_E_NS1_11comp_targetILNS1_3genE0ELNS1_11target_archE4294967295ELNS1_3gpuE0ELNS1_3repE0EEENS1_30default_config_static_selectorELNS0_4arch9wavefront6targetE1EEEvT1_.has_dyn_sized_stack, 0
	.set _ZN7rocprim17ROCPRIM_400000_NS6detail17trampoline_kernelINS0_14default_configENS1_27scan_by_key_config_selectorIllEEZZNS1_16scan_by_key_implILNS1_25lookback_scan_determinismE0ELb0ES3_PKlN6hipcub16HIPCUB_304000_NS21ConstantInputIteratorIllEEPllNSB_3SumENSB_8EqualityElEE10hipError_tPvRmT2_T3_T4_T5_mT6_T7_P12ihipStream_tbENKUlT_T0_E_clISt17integral_constantIbLb1EESX_EEDaSS_ST_EUlSS_E_NS1_11comp_targetILNS1_3genE0ELNS1_11target_archE4294967295ELNS1_3gpuE0ELNS1_3repE0EEENS1_30default_config_static_selectorELNS0_4arch9wavefront6targetE1EEEvT1_.has_recursion, 0
	.set _ZN7rocprim17ROCPRIM_400000_NS6detail17trampoline_kernelINS0_14default_configENS1_27scan_by_key_config_selectorIllEEZZNS1_16scan_by_key_implILNS1_25lookback_scan_determinismE0ELb0ES3_PKlN6hipcub16HIPCUB_304000_NS21ConstantInputIteratorIllEEPllNSB_3SumENSB_8EqualityElEE10hipError_tPvRmT2_T3_T4_T5_mT6_T7_P12ihipStream_tbENKUlT_T0_E_clISt17integral_constantIbLb1EESX_EEDaSS_ST_EUlSS_E_NS1_11comp_targetILNS1_3genE0ELNS1_11target_archE4294967295ELNS1_3gpuE0ELNS1_3repE0EEENS1_30default_config_static_selectorELNS0_4arch9wavefront6targetE1EEEvT1_.has_indirect_call, 0
	.section	.AMDGPU.csdata,"",@progbits
; Kernel info:
; codeLenInByte = 4
; TotalNumSgprs: 6
; NumVgprs: 0
; NumAgprs: 0
; TotalNumVgprs: 0
; ScratchSize: 0
; MemoryBound: 0
; FloatMode: 240
; IeeeMode: 1
; LDSByteSize: 0 bytes/workgroup (compile time only)
; SGPRBlocks: 0
; VGPRBlocks: 0
; NumSGPRsForWavesPerEU: 6
; NumVGPRsForWavesPerEU: 1
; AccumOffset: 4
; Occupancy: 8
; WaveLimiterHint : 0
; COMPUTE_PGM_RSRC2:SCRATCH_EN: 0
; COMPUTE_PGM_RSRC2:USER_SGPR: 2
; COMPUTE_PGM_RSRC2:TRAP_HANDLER: 0
; COMPUTE_PGM_RSRC2:TGID_X_EN: 1
; COMPUTE_PGM_RSRC2:TGID_Y_EN: 0
; COMPUTE_PGM_RSRC2:TGID_Z_EN: 0
; COMPUTE_PGM_RSRC2:TIDIG_COMP_CNT: 0
; COMPUTE_PGM_RSRC3_GFX90A:ACCUM_OFFSET: 0
; COMPUTE_PGM_RSRC3_GFX90A:TG_SPLIT: 0
	.section	.text._ZN7rocprim17ROCPRIM_400000_NS6detail17trampoline_kernelINS0_14default_configENS1_27scan_by_key_config_selectorIllEEZZNS1_16scan_by_key_implILNS1_25lookback_scan_determinismE0ELb0ES3_PKlN6hipcub16HIPCUB_304000_NS21ConstantInputIteratorIllEEPllNSB_3SumENSB_8EqualityElEE10hipError_tPvRmT2_T3_T4_T5_mT6_T7_P12ihipStream_tbENKUlT_T0_E_clISt17integral_constantIbLb1EESX_EEDaSS_ST_EUlSS_E_NS1_11comp_targetILNS1_3genE10ELNS1_11target_archE1201ELNS1_3gpuE5ELNS1_3repE0EEENS1_30default_config_static_selectorELNS0_4arch9wavefront6targetE1EEEvT1_,"axG",@progbits,_ZN7rocprim17ROCPRIM_400000_NS6detail17trampoline_kernelINS0_14default_configENS1_27scan_by_key_config_selectorIllEEZZNS1_16scan_by_key_implILNS1_25lookback_scan_determinismE0ELb0ES3_PKlN6hipcub16HIPCUB_304000_NS21ConstantInputIteratorIllEEPllNSB_3SumENSB_8EqualityElEE10hipError_tPvRmT2_T3_T4_T5_mT6_T7_P12ihipStream_tbENKUlT_T0_E_clISt17integral_constantIbLb1EESX_EEDaSS_ST_EUlSS_E_NS1_11comp_targetILNS1_3genE10ELNS1_11target_archE1201ELNS1_3gpuE5ELNS1_3repE0EEENS1_30default_config_static_selectorELNS0_4arch9wavefront6targetE1EEEvT1_,comdat
	.protected	_ZN7rocprim17ROCPRIM_400000_NS6detail17trampoline_kernelINS0_14default_configENS1_27scan_by_key_config_selectorIllEEZZNS1_16scan_by_key_implILNS1_25lookback_scan_determinismE0ELb0ES3_PKlN6hipcub16HIPCUB_304000_NS21ConstantInputIteratorIllEEPllNSB_3SumENSB_8EqualityElEE10hipError_tPvRmT2_T3_T4_T5_mT6_T7_P12ihipStream_tbENKUlT_T0_E_clISt17integral_constantIbLb1EESX_EEDaSS_ST_EUlSS_E_NS1_11comp_targetILNS1_3genE10ELNS1_11target_archE1201ELNS1_3gpuE5ELNS1_3repE0EEENS1_30default_config_static_selectorELNS0_4arch9wavefront6targetE1EEEvT1_ ; -- Begin function _ZN7rocprim17ROCPRIM_400000_NS6detail17trampoline_kernelINS0_14default_configENS1_27scan_by_key_config_selectorIllEEZZNS1_16scan_by_key_implILNS1_25lookback_scan_determinismE0ELb0ES3_PKlN6hipcub16HIPCUB_304000_NS21ConstantInputIteratorIllEEPllNSB_3SumENSB_8EqualityElEE10hipError_tPvRmT2_T3_T4_T5_mT6_T7_P12ihipStream_tbENKUlT_T0_E_clISt17integral_constantIbLb1EESX_EEDaSS_ST_EUlSS_E_NS1_11comp_targetILNS1_3genE10ELNS1_11target_archE1201ELNS1_3gpuE5ELNS1_3repE0EEENS1_30default_config_static_selectorELNS0_4arch9wavefront6targetE1EEEvT1_
	.globl	_ZN7rocprim17ROCPRIM_400000_NS6detail17trampoline_kernelINS0_14default_configENS1_27scan_by_key_config_selectorIllEEZZNS1_16scan_by_key_implILNS1_25lookback_scan_determinismE0ELb0ES3_PKlN6hipcub16HIPCUB_304000_NS21ConstantInputIteratorIllEEPllNSB_3SumENSB_8EqualityElEE10hipError_tPvRmT2_T3_T4_T5_mT6_T7_P12ihipStream_tbENKUlT_T0_E_clISt17integral_constantIbLb1EESX_EEDaSS_ST_EUlSS_E_NS1_11comp_targetILNS1_3genE10ELNS1_11target_archE1201ELNS1_3gpuE5ELNS1_3repE0EEENS1_30default_config_static_selectorELNS0_4arch9wavefront6targetE1EEEvT1_
	.p2align	8
	.type	_ZN7rocprim17ROCPRIM_400000_NS6detail17trampoline_kernelINS0_14default_configENS1_27scan_by_key_config_selectorIllEEZZNS1_16scan_by_key_implILNS1_25lookback_scan_determinismE0ELb0ES3_PKlN6hipcub16HIPCUB_304000_NS21ConstantInputIteratorIllEEPllNSB_3SumENSB_8EqualityElEE10hipError_tPvRmT2_T3_T4_T5_mT6_T7_P12ihipStream_tbENKUlT_T0_E_clISt17integral_constantIbLb1EESX_EEDaSS_ST_EUlSS_E_NS1_11comp_targetILNS1_3genE10ELNS1_11target_archE1201ELNS1_3gpuE5ELNS1_3repE0EEENS1_30default_config_static_selectorELNS0_4arch9wavefront6targetE1EEEvT1_,@function
_ZN7rocprim17ROCPRIM_400000_NS6detail17trampoline_kernelINS0_14default_configENS1_27scan_by_key_config_selectorIllEEZZNS1_16scan_by_key_implILNS1_25lookback_scan_determinismE0ELb0ES3_PKlN6hipcub16HIPCUB_304000_NS21ConstantInputIteratorIllEEPllNSB_3SumENSB_8EqualityElEE10hipError_tPvRmT2_T3_T4_T5_mT6_T7_P12ihipStream_tbENKUlT_T0_E_clISt17integral_constantIbLb1EESX_EEDaSS_ST_EUlSS_E_NS1_11comp_targetILNS1_3genE10ELNS1_11target_archE1201ELNS1_3gpuE5ELNS1_3repE0EEENS1_30default_config_static_selectorELNS0_4arch9wavefront6targetE1EEEvT1_: ; @_ZN7rocprim17ROCPRIM_400000_NS6detail17trampoline_kernelINS0_14default_configENS1_27scan_by_key_config_selectorIllEEZZNS1_16scan_by_key_implILNS1_25lookback_scan_determinismE0ELb0ES3_PKlN6hipcub16HIPCUB_304000_NS21ConstantInputIteratorIllEEPllNSB_3SumENSB_8EqualityElEE10hipError_tPvRmT2_T3_T4_T5_mT6_T7_P12ihipStream_tbENKUlT_T0_E_clISt17integral_constantIbLb1EESX_EEDaSS_ST_EUlSS_E_NS1_11comp_targetILNS1_3genE10ELNS1_11target_archE1201ELNS1_3gpuE5ELNS1_3repE0EEENS1_30default_config_static_selectorELNS0_4arch9wavefront6targetE1EEEvT1_
; %bb.0:
	.section	.rodata,"a",@progbits
	.p2align	6, 0x0
	.amdhsa_kernel _ZN7rocprim17ROCPRIM_400000_NS6detail17trampoline_kernelINS0_14default_configENS1_27scan_by_key_config_selectorIllEEZZNS1_16scan_by_key_implILNS1_25lookback_scan_determinismE0ELb0ES3_PKlN6hipcub16HIPCUB_304000_NS21ConstantInputIteratorIllEEPllNSB_3SumENSB_8EqualityElEE10hipError_tPvRmT2_T3_T4_T5_mT6_T7_P12ihipStream_tbENKUlT_T0_E_clISt17integral_constantIbLb1EESX_EEDaSS_ST_EUlSS_E_NS1_11comp_targetILNS1_3genE10ELNS1_11target_archE1201ELNS1_3gpuE5ELNS1_3repE0EEENS1_30default_config_static_selectorELNS0_4arch9wavefront6targetE1EEEvT1_
		.amdhsa_group_segment_fixed_size 0
		.amdhsa_private_segment_fixed_size 0
		.amdhsa_kernarg_size 144
		.amdhsa_user_sgpr_count 2
		.amdhsa_user_sgpr_dispatch_ptr 0
		.amdhsa_user_sgpr_queue_ptr 0
		.amdhsa_user_sgpr_kernarg_segment_ptr 1
		.amdhsa_user_sgpr_dispatch_id 0
		.amdhsa_user_sgpr_kernarg_preload_length 0
		.amdhsa_user_sgpr_kernarg_preload_offset 0
		.amdhsa_user_sgpr_private_segment_size 0
		.amdhsa_uses_dynamic_stack 0
		.amdhsa_enable_private_segment 0
		.amdhsa_system_sgpr_workgroup_id_x 1
		.amdhsa_system_sgpr_workgroup_id_y 0
		.amdhsa_system_sgpr_workgroup_id_z 0
		.amdhsa_system_sgpr_workgroup_info 0
		.amdhsa_system_vgpr_workitem_id 0
		.amdhsa_next_free_vgpr 1
		.amdhsa_next_free_sgpr 0
		.amdhsa_accum_offset 4
		.amdhsa_reserve_vcc 0
		.amdhsa_float_round_mode_32 0
		.amdhsa_float_round_mode_16_64 0
		.amdhsa_float_denorm_mode_32 3
		.amdhsa_float_denorm_mode_16_64 3
		.amdhsa_dx10_clamp 1
		.amdhsa_ieee_mode 1
		.amdhsa_fp16_overflow 0
		.amdhsa_tg_split 0
		.amdhsa_exception_fp_ieee_invalid_op 0
		.amdhsa_exception_fp_denorm_src 0
		.amdhsa_exception_fp_ieee_div_zero 0
		.amdhsa_exception_fp_ieee_overflow 0
		.amdhsa_exception_fp_ieee_underflow 0
		.amdhsa_exception_fp_ieee_inexact 0
		.amdhsa_exception_int_div_zero 0
	.end_amdhsa_kernel
	.section	.text._ZN7rocprim17ROCPRIM_400000_NS6detail17trampoline_kernelINS0_14default_configENS1_27scan_by_key_config_selectorIllEEZZNS1_16scan_by_key_implILNS1_25lookback_scan_determinismE0ELb0ES3_PKlN6hipcub16HIPCUB_304000_NS21ConstantInputIteratorIllEEPllNSB_3SumENSB_8EqualityElEE10hipError_tPvRmT2_T3_T4_T5_mT6_T7_P12ihipStream_tbENKUlT_T0_E_clISt17integral_constantIbLb1EESX_EEDaSS_ST_EUlSS_E_NS1_11comp_targetILNS1_3genE10ELNS1_11target_archE1201ELNS1_3gpuE5ELNS1_3repE0EEENS1_30default_config_static_selectorELNS0_4arch9wavefront6targetE1EEEvT1_,"axG",@progbits,_ZN7rocprim17ROCPRIM_400000_NS6detail17trampoline_kernelINS0_14default_configENS1_27scan_by_key_config_selectorIllEEZZNS1_16scan_by_key_implILNS1_25lookback_scan_determinismE0ELb0ES3_PKlN6hipcub16HIPCUB_304000_NS21ConstantInputIteratorIllEEPllNSB_3SumENSB_8EqualityElEE10hipError_tPvRmT2_T3_T4_T5_mT6_T7_P12ihipStream_tbENKUlT_T0_E_clISt17integral_constantIbLb1EESX_EEDaSS_ST_EUlSS_E_NS1_11comp_targetILNS1_3genE10ELNS1_11target_archE1201ELNS1_3gpuE5ELNS1_3repE0EEENS1_30default_config_static_selectorELNS0_4arch9wavefront6targetE1EEEvT1_,comdat
.Lfunc_end106:
	.size	_ZN7rocprim17ROCPRIM_400000_NS6detail17trampoline_kernelINS0_14default_configENS1_27scan_by_key_config_selectorIllEEZZNS1_16scan_by_key_implILNS1_25lookback_scan_determinismE0ELb0ES3_PKlN6hipcub16HIPCUB_304000_NS21ConstantInputIteratorIllEEPllNSB_3SumENSB_8EqualityElEE10hipError_tPvRmT2_T3_T4_T5_mT6_T7_P12ihipStream_tbENKUlT_T0_E_clISt17integral_constantIbLb1EESX_EEDaSS_ST_EUlSS_E_NS1_11comp_targetILNS1_3genE10ELNS1_11target_archE1201ELNS1_3gpuE5ELNS1_3repE0EEENS1_30default_config_static_selectorELNS0_4arch9wavefront6targetE1EEEvT1_, .Lfunc_end106-_ZN7rocprim17ROCPRIM_400000_NS6detail17trampoline_kernelINS0_14default_configENS1_27scan_by_key_config_selectorIllEEZZNS1_16scan_by_key_implILNS1_25lookback_scan_determinismE0ELb0ES3_PKlN6hipcub16HIPCUB_304000_NS21ConstantInputIteratorIllEEPllNSB_3SumENSB_8EqualityElEE10hipError_tPvRmT2_T3_T4_T5_mT6_T7_P12ihipStream_tbENKUlT_T0_E_clISt17integral_constantIbLb1EESX_EEDaSS_ST_EUlSS_E_NS1_11comp_targetILNS1_3genE10ELNS1_11target_archE1201ELNS1_3gpuE5ELNS1_3repE0EEENS1_30default_config_static_selectorELNS0_4arch9wavefront6targetE1EEEvT1_
                                        ; -- End function
	.set _ZN7rocprim17ROCPRIM_400000_NS6detail17trampoline_kernelINS0_14default_configENS1_27scan_by_key_config_selectorIllEEZZNS1_16scan_by_key_implILNS1_25lookback_scan_determinismE0ELb0ES3_PKlN6hipcub16HIPCUB_304000_NS21ConstantInputIteratorIllEEPllNSB_3SumENSB_8EqualityElEE10hipError_tPvRmT2_T3_T4_T5_mT6_T7_P12ihipStream_tbENKUlT_T0_E_clISt17integral_constantIbLb1EESX_EEDaSS_ST_EUlSS_E_NS1_11comp_targetILNS1_3genE10ELNS1_11target_archE1201ELNS1_3gpuE5ELNS1_3repE0EEENS1_30default_config_static_selectorELNS0_4arch9wavefront6targetE1EEEvT1_.num_vgpr, 0
	.set _ZN7rocprim17ROCPRIM_400000_NS6detail17trampoline_kernelINS0_14default_configENS1_27scan_by_key_config_selectorIllEEZZNS1_16scan_by_key_implILNS1_25lookback_scan_determinismE0ELb0ES3_PKlN6hipcub16HIPCUB_304000_NS21ConstantInputIteratorIllEEPllNSB_3SumENSB_8EqualityElEE10hipError_tPvRmT2_T3_T4_T5_mT6_T7_P12ihipStream_tbENKUlT_T0_E_clISt17integral_constantIbLb1EESX_EEDaSS_ST_EUlSS_E_NS1_11comp_targetILNS1_3genE10ELNS1_11target_archE1201ELNS1_3gpuE5ELNS1_3repE0EEENS1_30default_config_static_selectorELNS0_4arch9wavefront6targetE1EEEvT1_.num_agpr, 0
	.set _ZN7rocprim17ROCPRIM_400000_NS6detail17trampoline_kernelINS0_14default_configENS1_27scan_by_key_config_selectorIllEEZZNS1_16scan_by_key_implILNS1_25lookback_scan_determinismE0ELb0ES3_PKlN6hipcub16HIPCUB_304000_NS21ConstantInputIteratorIllEEPllNSB_3SumENSB_8EqualityElEE10hipError_tPvRmT2_T3_T4_T5_mT6_T7_P12ihipStream_tbENKUlT_T0_E_clISt17integral_constantIbLb1EESX_EEDaSS_ST_EUlSS_E_NS1_11comp_targetILNS1_3genE10ELNS1_11target_archE1201ELNS1_3gpuE5ELNS1_3repE0EEENS1_30default_config_static_selectorELNS0_4arch9wavefront6targetE1EEEvT1_.numbered_sgpr, 0
	.set _ZN7rocprim17ROCPRIM_400000_NS6detail17trampoline_kernelINS0_14default_configENS1_27scan_by_key_config_selectorIllEEZZNS1_16scan_by_key_implILNS1_25lookback_scan_determinismE0ELb0ES3_PKlN6hipcub16HIPCUB_304000_NS21ConstantInputIteratorIllEEPllNSB_3SumENSB_8EqualityElEE10hipError_tPvRmT2_T3_T4_T5_mT6_T7_P12ihipStream_tbENKUlT_T0_E_clISt17integral_constantIbLb1EESX_EEDaSS_ST_EUlSS_E_NS1_11comp_targetILNS1_3genE10ELNS1_11target_archE1201ELNS1_3gpuE5ELNS1_3repE0EEENS1_30default_config_static_selectorELNS0_4arch9wavefront6targetE1EEEvT1_.num_named_barrier, 0
	.set _ZN7rocprim17ROCPRIM_400000_NS6detail17trampoline_kernelINS0_14default_configENS1_27scan_by_key_config_selectorIllEEZZNS1_16scan_by_key_implILNS1_25lookback_scan_determinismE0ELb0ES3_PKlN6hipcub16HIPCUB_304000_NS21ConstantInputIteratorIllEEPllNSB_3SumENSB_8EqualityElEE10hipError_tPvRmT2_T3_T4_T5_mT6_T7_P12ihipStream_tbENKUlT_T0_E_clISt17integral_constantIbLb1EESX_EEDaSS_ST_EUlSS_E_NS1_11comp_targetILNS1_3genE10ELNS1_11target_archE1201ELNS1_3gpuE5ELNS1_3repE0EEENS1_30default_config_static_selectorELNS0_4arch9wavefront6targetE1EEEvT1_.private_seg_size, 0
	.set _ZN7rocprim17ROCPRIM_400000_NS6detail17trampoline_kernelINS0_14default_configENS1_27scan_by_key_config_selectorIllEEZZNS1_16scan_by_key_implILNS1_25lookback_scan_determinismE0ELb0ES3_PKlN6hipcub16HIPCUB_304000_NS21ConstantInputIteratorIllEEPllNSB_3SumENSB_8EqualityElEE10hipError_tPvRmT2_T3_T4_T5_mT6_T7_P12ihipStream_tbENKUlT_T0_E_clISt17integral_constantIbLb1EESX_EEDaSS_ST_EUlSS_E_NS1_11comp_targetILNS1_3genE10ELNS1_11target_archE1201ELNS1_3gpuE5ELNS1_3repE0EEENS1_30default_config_static_selectorELNS0_4arch9wavefront6targetE1EEEvT1_.uses_vcc, 0
	.set _ZN7rocprim17ROCPRIM_400000_NS6detail17trampoline_kernelINS0_14default_configENS1_27scan_by_key_config_selectorIllEEZZNS1_16scan_by_key_implILNS1_25lookback_scan_determinismE0ELb0ES3_PKlN6hipcub16HIPCUB_304000_NS21ConstantInputIteratorIllEEPllNSB_3SumENSB_8EqualityElEE10hipError_tPvRmT2_T3_T4_T5_mT6_T7_P12ihipStream_tbENKUlT_T0_E_clISt17integral_constantIbLb1EESX_EEDaSS_ST_EUlSS_E_NS1_11comp_targetILNS1_3genE10ELNS1_11target_archE1201ELNS1_3gpuE5ELNS1_3repE0EEENS1_30default_config_static_selectorELNS0_4arch9wavefront6targetE1EEEvT1_.uses_flat_scratch, 0
	.set _ZN7rocprim17ROCPRIM_400000_NS6detail17trampoline_kernelINS0_14default_configENS1_27scan_by_key_config_selectorIllEEZZNS1_16scan_by_key_implILNS1_25lookback_scan_determinismE0ELb0ES3_PKlN6hipcub16HIPCUB_304000_NS21ConstantInputIteratorIllEEPllNSB_3SumENSB_8EqualityElEE10hipError_tPvRmT2_T3_T4_T5_mT6_T7_P12ihipStream_tbENKUlT_T0_E_clISt17integral_constantIbLb1EESX_EEDaSS_ST_EUlSS_E_NS1_11comp_targetILNS1_3genE10ELNS1_11target_archE1201ELNS1_3gpuE5ELNS1_3repE0EEENS1_30default_config_static_selectorELNS0_4arch9wavefront6targetE1EEEvT1_.has_dyn_sized_stack, 0
	.set _ZN7rocprim17ROCPRIM_400000_NS6detail17trampoline_kernelINS0_14default_configENS1_27scan_by_key_config_selectorIllEEZZNS1_16scan_by_key_implILNS1_25lookback_scan_determinismE0ELb0ES3_PKlN6hipcub16HIPCUB_304000_NS21ConstantInputIteratorIllEEPllNSB_3SumENSB_8EqualityElEE10hipError_tPvRmT2_T3_T4_T5_mT6_T7_P12ihipStream_tbENKUlT_T0_E_clISt17integral_constantIbLb1EESX_EEDaSS_ST_EUlSS_E_NS1_11comp_targetILNS1_3genE10ELNS1_11target_archE1201ELNS1_3gpuE5ELNS1_3repE0EEENS1_30default_config_static_selectorELNS0_4arch9wavefront6targetE1EEEvT1_.has_recursion, 0
	.set _ZN7rocprim17ROCPRIM_400000_NS6detail17trampoline_kernelINS0_14default_configENS1_27scan_by_key_config_selectorIllEEZZNS1_16scan_by_key_implILNS1_25lookback_scan_determinismE0ELb0ES3_PKlN6hipcub16HIPCUB_304000_NS21ConstantInputIteratorIllEEPllNSB_3SumENSB_8EqualityElEE10hipError_tPvRmT2_T3_T4_T5_mT6_T7_P12ihipStream_tbENKUlT_T0_E_clISt17integral_constantIbLb1EESX_EEDaSS_ST_EUlSS_E_NS1_11comp_targetILNS1_3genE10ELNS1_11target_archE1201ELNS1_3gpuE5ELNS1_3repE0EEENS1_30default_config_static_selectorELNS0_4arch9wavefront6targetE1EEEvT1_.has_indirect_call, 0
	.section	.AMDGPU.csdata,"",@progbits
; Kernel info:
; codeLenInByte = 0
; TotalNumSgprs: 6
; NumVgprs: 0
; NumAgprs: 0
; TotalNumVgprs: 0
; ScratchSize: 0
; MemoryBound: 0
; FloatMode: 240
; IeeeMode: 1
; LDSByteSize: 0 bytes/workgroup (compile time only)
; SGPRBlocks: 0
; VGPRBlocks: 0
; NumSGPRsForWavesPerEU: 6
; NumVGPRsForWavesPerEU: 1
; AccumOffset: 4
; Occupancy: 8
; WaveLimiterHint : 0
; COMPUTE_PGM_RSRC2:SCRATCH_EN: 0
; COMPUTE_PGM_RSRC2:USER_SGPR: 2
; COMPUTE_PGM_RSRC2:TRAP_HANDLER: 0
; COMPUTE_PGM_RSRC2:TGID_X_EN: 1
; COMPUTE_PGM_RSRC2:TGID_Y_EN: 0
; COMPUTE_PGM_RSRC2:TGID_Z_EN: 0
; COMPUTE_PGM_RSRC2:TIDIG_COMP_CNT: 0
; COMPUTE_PGM_RSRC3_GFX90A:ACCUM_OFFSET: 0
; COMPUTE_PGM_RSRC3_GFX90A:TG_SPLIT: 0
	.section	.text._ZN7rocprim17ROCPRIM_400000_NS6detail17trampoline_kernelINS0_14default_configENS1_27scan_by_key_config_selectorIllEEZZNS1_16scan_by_key_implILNS1_25lookback_scan_determinismE0ELb0ES3_PKlN6hipcub16HIPCUB_304000_NS21ConstantInputIteratorIllEEPllNSB_3SumENSB_8EqualityElEE10hipError_tPvRmT2_T3_T4_T5_mT6_T7_P12ihipStream_tbENKUlT_T0_E_clISt17integral_constantIbLb1EESX_EEDaSS_ST_EUlSS_E_NS1_11comp_targetILNS1_3genE5ELNS1_11target_archE942ELNS1_3gpuE9ELNS1_3repE0EEENS1_30default_config_static_selectorELNS0_4arch9wavefront6targetE1EEEvT1_,"axG",@progbits,_ZN7rocprim17ROCPRIM_400000_NS6detail17trampoline_kernelINS0_14default_configENS1_27scan_by_key_config_selectorIllEEZZNS1_16scan_by_key_implILNS1_25lookback_scan_determinismE0ELb0ES3_PKlN6hipcub16HIPCUB_304000_NS21ConstantInputIteratorIllEEPllNSB_3SumENSB_8EqualityElEE10hipError_tPvRmT2_T3_T4_T5_mT6_T7_P12ihipStream_tbENKUlT_T0_E_clISt17integral_constantIbLb1EESX_EEDaSS_ST_EUlSS_E_NS1_11comp_targetILNS1_3genE5ELNS1_11target_archE942ELNS1_3gpuE9ELNS1_3repE0EEENS1_30default_config_static_selectorELNS0_4arch9wavefront6targetE1EEEvT1_,comdat
	.protected	_ZN7rocprim17ROCPRIM_400000_NS6detail17trampoline_kernelINS0_14default_configENS1_27scan_by_key_config_selectorIllEEZZNS1_16scan_by_key_implILNS1_25lookback_scan_determinismE0ELb0ES3_PKlN6hipcub16HIPCUB_304000_NS21ConstantInputIteratorIllEEPllNSB_3SumENSB_8EqualityElEE10hipError_tPvRmT2_T3_T4_T5_mT6_T7_P12ihipStream_tbENKUlT_T0_E_clISt17integral_constantIbLb1EESX_EEDaSS_ST_EUlSS_E_NS1_11comp_targetILNS1_3genE5ELNS1_11target_archE942ELNS1_3gpuE9ELNS1_3repE0EEENS1_30default_config_static_selectorELNS0_4arch9wavefront6targetE1EEEvT1_ ; -- Begin function _ZN7rocprim17ROCPRIM_400000_NS6detail17trampoline_kernelINS0_14default_configENS1_27scan_by_key_config_selectorIllEEZZNS1_16scan_by_key_implILNS1_25lookback_scan_determinismE0ELb0ES3_PKlN6hipcub16HIPCUB_304000_NS21ConstantInputIteratorIllEEPllNSB_3SumENSB_8EqualityElEE10hipError_tPvRmT2_T3_T4_T5_mT6_T7_P12ihipStream_tbENKUlT_T0_E_clISt17integral_constantIbLb1EESX_EEDaSS_ST_EUlSS_E_NS1_11comp_targetILNS1_3genE5ELNS1_11target_archE942ELNS1_3gpuE9ELNS1_3repE0EEENS1_30default_config_static_selectorELNS0_4arch9wavefront6targetE1EEEvT1_
	.globl	_ZN7rocprim17ROCPRIM_400000_NS6detail17trampoline_kernelINS0_14default_configENS1_27scan_by_key_config_selectorIllEEZZNS1_16scan_by_key_implILNS1_25lookback_scan_determinismE0ELb0ES3_PKlN6hipcub16HIPCUB_304000_NS21ConstantInputIteratorIllEEPllNSB_3SumENSB_8EqualityElEE10hipError_tPvRmT2_T3_T4_T5_mT6_T7_P12ihipStream_tbENKUlT_T0_E_clISt17integral_constantIbLb1EESX_EEDaSS_ST_EUlSS_E_NS1_11comp_targetILNS1_3genE5ELNS1_11target_archE942ELNS1_3gpuE9ELNS1_3repE0EEENS1_30default_config_static_selectorELNS0_4arch9wavefront6targetE1EEEvT1_
	.p2align	8
	.type	_ZN7rocprim17ROCPRIM_400000_NS6detail17trampoline_kernelINS0_14default_configENS1_27scan_by_key_config_selectorIllEEZZNS1_16scan_by_key_implILNS1_25lookback_scan_determinismE0ELb0ES3_PKlN6hipcub16HIPCUB_304000_NS21ConstantInputIteratorIllEEPllNSB_3SumENSB_8EqualityElEE10hipError_tPvRmT2_T3_T4_T5_mT6_T7_P12ihipStream_tbENKUlT_T0_E_clISt17integral_constantIbLb1EESX_EEDaSS_ST_EUlSS_E_NS1_11comp_targetILNS1_3genE5ELNS1_11target_archE942ELNS1_3gpuE9ELNS1_3repE0EEENS1_30default_config_static_selectorELNS0_4arch9wavefront6targetE1EEEvT1_,@function
_ZN7rocprim17ROCPRIM_400000_NS6detail17trampoline_kernelINS0_14default_configENS1_27scan_by_key_config_selectorIllEEZZNS1_16scan_by_key_implILNS1_25lookback_scan_determinismE0ELb0ES3_PKlN6hipcub16HIPCUB_304000_NS21ConstantInputIteratorIllEEPllNSB_3SumENSB_8EqualityElEE10hipError_tPvRmT2_T3_T4_T5_mT6_T7_P12ihipStream_tbENKUlT_T0_E_clISt17integral_constantIbLb1EESX_EEDaSS_ST_EUlSS_E_NS1_11comp_targetILNS1_3genE5ELNS1_11target_archE942ELNS1_3gpuE9ELNS1_3repE0EEENS1_30default_config_static_selectorELNS0_4arch9wavefront6targetE1EEEvT1_: ; @_ZN7rocprim17ROCPRIM_400000_NS6detail17trampoline_kernelINS0_14default_configENS1_27scan_by_key_config_selectorIllEEZZNS1_16scan_by_key_implILNS1_25lookback_scan_determinismE0ELb0ES3_PKlN6hipcub16HIPCUB_304000_NS21ConstantInputIteratorIllEEPllNSB_3SumENSB_8EqualityElEE10hipError_tPvRmT2_T3_T4_T5_mT6_T7_P12ihipStream_tbENKUlT_T0_E_clISt17integral_constantIbLb1EESX_EEDaSS_ST_EUlSS_E_NS1_11comp_targetILNS1_3genE5ELNS1_11target_archE942ELNS1_3gpuE9ELNS1_3repE0EEENS1_30default_config_static_selectorELNS0_4arch9wavefront6targetE1EEEvT1_
; %bb.0:
	.section	.rodata,"a",@progbits
	.p2align	6, 0x0
	.amdhsa_kernel _ZN7rocprim17ROCPRIM_400000_NS6detail17trampoline_kernelINS0_14default_configENS1_27scan_by_key_config_selectorIllEEZZNS1_16scan_by_key_implILNS1_25lookback_scan_determinismE0ELb0ES3_PKlN6hipcub16HIPCUB_304000_NS21ConstantInputIteratorIllEEPllNSB_3SumENSB_8EqualityElEE10hipError_tPvRmT2_T3_T4_T5_mT6_T7_P12ihipStream_tbENKUlT_T0_E_clISt17integral_constantIbLb1EESX_EEDaSS_ST_EUlSS_E_NS1_11comp_targetILNS1_3genE5ELNS1_11target_archE942ELNS1_3gpuE9ELNS1_3repE0EEENS1_30default_config_static_selectorELNS0_4arch9wavefront6targetE1EEEvT1_
		.amdhsa_group_segment_fixed_size 0
		.amdhsa_private_segment_fixed_size 0
		.amdhsa_kernarg_size 144
		.amdhsa_user_sgpr_count 2
		.amdhsa_user_sgpr_dispatch_ptr 0
		.amdhsa_user_sgpr_queue_ptr 0
		.amdhsa_user_sgpr_kernarg_segment_ptr 1
		.amdhsa_user_sgpr_dispatch_id 0
		.amdhsa_user_sgpr_kernarg_preload_length 0
		.amdhsa_user_sgpr_kernarg_preload_offset 0
		.amdhsa_user_sgpr_private_segment_size 0
		.amdhsa_uses_dynamic_stack 0
		.amdhsa_enable_private_segment 0
		.amdhsa_system_sgpr_workgroup_id_x 1
		.amdhsa_system_sgpr_workgroup_id_y 0
		.amdhsa_system_sgpr_workgroup_id_z 0
		.amdhsa_system_sgpr_workgroup_info 0
		.amdhsa_system_vgpr_workitem_id 0
		.amdhsa_next_free_vgpr 1
		.amdhsa_next_free_sgpr 0
		.amdhsa_accum_offset 4
		.amdhsa_reserve_vcc 0
		.amdhsa_float_round_mode_32 0
		.amdhsa_float_round_mode_16_64 0
		.amdhsa_float_denorm_mode_32 3
		.amdhsa_float_denorm_mode_16_64 3
		.amdhsa_dx10_clamp 1
		.amdhsa_ieee_mode 1
		.amdhsa_fp16_overflow 0
		.amdhsa_tg_split 0
		.amdhsa_exception_fp_ieee_invalid_op 0
		.amdhsa_exception_fp_denorm_src 0
		.amdhsa_exception_fp_ieee_div_zero 0
		.amdhsa_exception_fp_ieee_overflow 0
		.amdhsa_exception_fp_ieee_underflow 0
		.amdhsa_exception_fp_ieee_inexact 0
		.amdhsa_exception_int_div_zero 0
	.end_amdhsa_kernel
	.section	.text._ZN7rocprim17ROCPRIM_400000_NS6detail17trampoline_kernelINS0_14default_configENS1_27scan_by_key_config_selectorIllEEZZNS1_16scan_by_key_implILNS1_25lookback_scan_determinismE0ELb0ES3_PKlN6hipcub16HIPCUB_304000_NS21ConstantInputIteratorIllEEPllNSB_3SumENSB_8EqualityElEE10hipError_tPvRmT2_T3_T4_T5_mT6_T7_P12ihipStream_tbENKUlT_T0_E_clISt17integral_constantIbLb1EESX_EEDaSS_ST_EUlSS_E_NS1_11comp_targetILNS1_3genE5ELNS1_11target_archE942ELNS1_3gpuE9ELNS1_3repE0EEENS1_30default_config_static_selectorELNS0_4arch9wavefront6targetE1EEEvT1_,"axG",@progbits,_ZN7rocprim17ROCPRIM_400000_NS6detail17trampoline_kernelINS0_14default_configENS1_27scan_by_key_config_selectorIllEEZZNS1_16scan_by_key_implILNS1_25lookback_scan_determinismE0ELb0ES3_PKlN6hipcub16HIPCUB_304000_NS21ConstantInputIteratorIllEEPllNSB_3SumENSB_8EqualityElEE10hipError_tPvRmT2_T3_T4_T5_mT6_T7_P12ihipStream_tbENKUlT_T0_E_clISt17integral_constantIbLb1EESX_EEDaSS_ST_EUlSS_E_NS1_11comp_targetILNS1_3genE5ELNS1_11target_archE942ELNS1_3gpuE9ELNS1_3repE0EEENS1_30default_config_static_selectorELNS0_4arch9wavefront6targetE1EEEvT1_,comdat
.Lfunc_end107:
	.size	_ZN7rocprim17ROCPRIM_400000_NS6detail17trampoline_kernelINS0_14default_configENS1_27scan_by_key_config_selectorIllEEZZNS1_16scan_by_key_implILNS1_25lookback_scan_determinismE0ELb0ES3_PKlN6hipcub16HIPCUB_304000_NS21ConstantInputIteratorIllEEPllNSB_3SumENSB_8EqualityElEE10hipError_tPvRmT2_T3_T4_T5_mT6_T7_P12ihipStream_tbENKUlT_T0_E_clISt17integral_constantIbLb1EESX_EEDaSS_ST_EUlSS_E_NS1_11comp_targetILNS1_3genE5ELNS1_11target_archE942ELNS1_3gpuE9ELNS1_3repE0EEENS1_30default_config_static_selectorELNS0_4arch9wavefront6targetE1EEEvT1_, .Lfunc_end107-_ZN7rocprim17ROCPRIM_400000_NS6detail17trampoline_kernelINS0_14default_configENS1_27scan_by_key_config_selectorIllEEZZNS1_16scan_by_key_implILNS1_25lookback_scan_determinismE0ELb0ES3_PKlN6hipcub16HIPCUB_304000_NS21ConstantInputIteratorIllEEPllNSB_3SumENSB_8EqualityElEE10hipError_tPvRmT2_T3_T4_T5_mT6_T7_P12ihipStream_tbENKUlT_T0_E_clISt17integral_constantIbLb1EESX_EEDaSS_ST_EUlSS_E_NS1_11comp_targetILNS1_3genE5ELNS1_11target_archE942ELNS1_3gpuE9ELNS1_3repE0EEENS1_30default_config_static_selectorELNS0_4arch9wavefront6targetE1EEEvT1_
                                        ; -- End function
	.set _ZN7rocprim17ROCPRIM_400000_NS6detail17trampoline_kernelINS0_14default_configENS1_27scan_by_key_config_selectorIllEEZZNS1_16scan_by_key_implILNS1_25lookback_scan_determinismE0ELb0ES3_PKlN6hipcub16HIPCUB_304000_NS21ConstantInputIteratorIllEEPllNSB_3SumENSB_8EqualityElEE10hipError_tPvRmT2_T3_T4_T5_mT6_T7_P12ihipStream_tbENKUlT_T0_E_clISt17integral_constantIbLb1EESX_EEDaSS_ST_EUlSS_E_NS1_11comp_targetILNS1_3genE5ELNS1_11target_archE942ELNS1_3gpuE9ELNS1_3repE0EEENS1_30default_config_static_selectorELNS0_4arch9wavefront6targetE1EEEvT1_.num_vgpr, 0
	.set _ZN7rocprim17ROCPRIM_400000_NS6detail17trampoline_kernelINS0_14default_configENS1_27scan_by_key_config_selectorIllEEZZNS1_16scan_by_key_implILNS1_25lookback_scan_determinismE0ELb0ES3_PKlN6hipcub16HIPCUB_304000_NS21ConstantInputIteratorIllEEPllNSB_3SumENSB_8EqualityElEE10hipError_tPvRmT2_T3_T4_T5_mT6_T7_P12ihipStream_tbENKUlT_T0_E_clISt17integral_constantIbLb1EESX_EEDaSS_ST_EUlSS_E_NS1_11comp_targetILNS1_3genE5ELNS1_11target_archE942ELNS1_3gpuE9ELNS1_3repE0EEENS1_30default_config_static_selectorELNS0_4arch9wavefront6targetE1EEEvT1_.num_agpr, 0
	.set _ZN7rocprim17ROCPRIM_400000_NS6detail17trampoline_kernelINS0_14default_configENS1_27scan_by_key_config_selectorIllEEZZNS1_16scan_by_key_implILNS1_25lookback_scan_determinismE0ELb0ES3_PKlN6hipcub16HIPCUB_304000_NS21ConstantInputIteratorIllEEPllNSB_3SumENSB_8EqualityElEE10hipError_tPvRmT2_T3_T4_T5_mT6_T7_P12ihipStream_tbENKUlT_T0_E_clISt17integral_constantIbLb1EESX_EEDaSS_ST_EUlSS_E_NS1_11comp_targetILNS1_3genE5ELNS1_11target_archE942ELNS1_3gpuE9ELNS1_3repE0EEENS1_30default_config_static_selectorELNS0_4arch9wavefront6targetE1EEEvT1_.numbered_sgpr, 0
	.set _ZN7rocprim17ROCPRIM_400000_NS6detail17trampoline_kernelINS0_14default_configENS1_27scan_by_key_config_selectorIllEEZZNS1_16scan_by_key_implILNS1_25lookback_scan_determinismE0ELb0ES3_PKlN6hipcub16HIPCUB_304000_NS21ConstantInputIteratorIllEEPllNSB_3SumENSB_8EqualityElEE10hipError_tPvRmT2_T3_T4_T5_mT6_T7_P12ihipStream_tbENKUlT_T0_E_clISt17integral_constantIbLb1EESX_EEDaSS_ST_EUlSS_E_NS1_11comp_targetILNS1_3genE5ELNS1_11target_archE942ELNS1_3gpuE9ELNS1_3repE0EEENS1_30default_config_static_selectorELNS0_4arch9wavefront6targetE1EEEvT1_.num_named_barrier, 0
	.set _ZN7rocprim17ROCPRIM_400000_NS6detail17trampoline_kernelINS0_14default_configENS1_27scan_by_key_config_selectorIllEEZZNS1_16scan_by_key_implILNS1_25lookback_scan_determinismE0ELb0ES3_PKlN6hipcub16HIPCUB_304000_NS21ConstantInputIteratorIllEEPllNSB_3SumENSB_8EqualityElEE10hipError_tPvRmT2_T3_T4_T5_mT6_T7_P12ihipStream_tbENKUlT_T0_E_clISt17integral_constantIbLb1EESX_EEDaSS_ST_EUlSS_E_NS1_11comp_targetILNS1_3genE5ELNS1_11target_archE942ELNS1_3gpuE9ELNS1_3repE0EEENS1_30default_config_static_selectorELNS0_4arch9wavefront6targetE1EEEvT1_.private_seg_size, 0
	.set _ZN7rocprim17ROCPRIM_400000_NS6detail17trampoline_kernelINS0_14default_configENS1_27scan_by_key_config_selectorIllEEZZNS1_16scan_by_key_implILNS1_25lookback_scan_determinismE0ELb0ES3_PKlN6hipcub16HIPCUB_304000_NS21ConstantInputIteratorIllEEPllNSB_3SumENSB_8EqualityElEE10hipError_tPvRmT2_T3_T4_T5_mT6_T7_P12ihipStream_tbENKUlT_T0_E_clISt17integral_constantIbLb1EESX_EEDaSS_ST_EUlSS_E_NS1_11comp_targetILNS1_3genE5ELNS1_11target_archE942ELNS1_3gpuE9ELNS1_3repE0EEENS1_30default_config_static_selectorELNS0_4arch9wavefront6targetE1EEEvT1_.uses_vcc, 0
	.set _ZN7rocprim17ROCPRIM_400000_NS6detail17trampoline_kernelINS0_14default_configENS1_27scan_by_key_config_selectorIllEEZZNS1_16scan_by_key_implILNS1_25lookback_scan_determinismE0ELb0ES3_PKlN6hipcub16HIPCUB_304000_NS21ConstantInputIteratorIllEEPllNSB_3SumENSB_8EqualityElEE10hipError_tPvRmT2_T3_T4_T5_mT6_T7_P12ihipStream_tbENKUlT_T0_E_clISt17integral_constantIbLb1EESX_EEDaSS_ST_EUlSS_E_NS1_11comp_targetILNS1_3genE5ELNS1_11target_archE942ELNS1_3gpuE9ELNS1_3repE0EEENS1_30default_config_static_selectorELNS0_4arch9wavefront6targetE1EEEvT1_.uses_flat_scratch, 0
	.set _ZN7rocprim17ROCPRIM_400000_NS6detail17trampoline_kernelINS0_14default_configENS1_27scan_by_key_config_selectorIllEEZZNS1_16scan_by_key_implILNS1_25lookback_scan_determinismE0ELb0ES3_PKlN6hipcub16HIPCUB_304000_NS21ConstantInputIteratorIllEEPllNSB_3SumENSB_8EqualityElEE10hipError_tPvRmT2_T3_T4_T5_mT6_T7_P12ihipStream_tbENKUlT_T0_E_clISt17integral_constantIbLb1EESX_EEDaSS_ST_EUlSS_E_NS1_11comp_targetILNS1_3genE5ELNS1_11target_archE942ELNS1_3gpuE9ELNS1_3repE0EEENS1_30default_config_static_selectorELNS0_4arch9wavefront6targetE1EEEvT1_.has_dyn_sized_stack, 0
	.set _ZN7rocprim17ROCPRIM_400000_NS6detail17trampoline_kernelINS0_14default_configENS1_27scan_by_key_config_selectorIllEEZZNS1_16scan_by_key_implILNS1_25lookback_scan_determinismE0ELb0ES3_PKlN6hipcub16HIPCUB_304000_NS21ConstantInputIteratorIllEEPllNSB_3SumENSB_8EqualityElEE10hipError_tPvRmT2_T3_T4_T5_mT6_T7_P12ihipStream_tbENKUlT_T0_E_clISt17integral_constantIbLb1EESX_EEDaSS_ST_EUlSS_E_NS1_11comp_targetILNS1_3genE5ELNS1_11target_archE942ELNS1_3gpuE9ELNS1_3repE0EEENS1_30default_config_static_selectorELNS0_4arch9wavefront6targetE1EEEvT1_.has_recursion, 0
	.set _ZN7rocprim17ROCPRIM_400000_NS6detail17trampoline_kernelINS0_14default_configENS1_27scan_by_key_config_selectorIllEEZZNS1_16scan_by_key_implILNS1_25lookback_scan_determinismE0ELb0ES3_PKlN6hipcub16HIPCUB_304000_NS21ConstantInputIteratorIllEEPllNSB_3SumENSB_8EqualityElEE10hipError_tPvRmT2_T3_T4_T5_mT6_T7_P12ihipStream_tbENKUlT_T0_E_clISt17integral_constantIbLb1EESX_EEDaSS_ST_EUlSS_E_NS1_11comp_targetILNS1_3genE5ELNS1_11target_archE942ELNS1_3gpuE9ELNS1_3repE0EEENS1_30default_config_static_selectorELNS0_4arch9wavefront6targetE1EEEvT1_.has_indirect_call, 0
	.section	.AMDGPU.csdata,"",@progbits
; Kernel info:
; codeLenInByte = 0
; TotalNumSgprs: 6
; NumVgprs: 0
; NumAgprs: 0
; TotalNumVgprs: 0
; ScratchSize: 0
; MemoryBound: 0
; FloatMode: 240
; IeeeMode: 1
; LDSByteSize: 0 bytes/workgroup (compile time only)
; SGPRBlocks: 0
; VGPRBlocks: 0
; NumSGPRsForWavesPerEU: 6
; NumVGPRsForWavesPerEU: 1
; AccumOffset: 4
; Occupancy: 8
; WaveLimiterHint : 0
; COMPUTE_PGM_RSRC2:SCRATCH_EN: 0
; COMPUTE_PGM_RSRC2:USER_SGPR: 2
; COMPUTE_PGM_RSRC2:TRAP_HANDLER: 0
; COMPUTE_PGM_RSRC2:TGID_X_EN: 1
; COMPUTE_PGM_RSRC2:TGID_Y_EN: 0
; COMPUTE_PGM_RSRC2:TGID_Z_EN: 0
; COMPUTE_PGM_RSRC2:TIDIG_COMP_CNT: 0
; COMPUTE_PGM_RSRC3_GFX90A:ACCUM_OFFSET: 0
; COMPUTE_PGM_RSRC3_GFX90A:TG_SPLIT: 0
	.section	.text._ZN7rocprim17ROCPRIM_400000_NS6detail17trampoline_kernelINS0_14default_configENS1_27scan_by_key_config_selectorIllEEZZNS1_16scan_by_key_implILNS1_25lookback_scan_determinismE0ELb0ES3_PKlN6hipcub16HIPCUB_304000_NS21ConstantInputIteratorIllEEPllNSB_3SumENSB_8EqualityElEE10hipError_tPvRmT2_T3_T4_T5_mT6_T7_P12ihipStream_tbENKUlT_T0_E_clISt17integral_constantIbLb1EESX_EEDaSS_ST_EUlSS_E_NS1_11comp_targetILNS1_3genE4ELNS1_11target_archE910ELNS1_3gpuE8ELNS1_3repE0EEENS1_30default_config_static_selectorELNS0_4arch9wavefront6targetE1EEEvT1_,"axG",@progbits,_ZN7rocprim17ROCPRIM_400000_NS6detail17trampoline_kernelINS0_14default_configENS1_27scan_by_key_config_selectorIllEEZZNS1_16scan_by_key_implILNS1_25lookback_scan_determinismE0ELb0ES3_PKlN6hipcub16HIPCUB_304000_NS21ConstantInputIteratorIllEEPllNSB_3SumENSB_8EqualityElEE10hipError_tPvRmT2_T3_T4_T5_mT6_T7_P12ihipStream_tbENKUlT_T0_E_clISt17integral_constantIbLb1EESX_EEDaSS_ST_EUlSS_E_NS1_11comp_targetILNS1_3genE4ELNS1_11target_archE910ELNS1_3gpuE8ELNS1_3repE0EEENS1_30default_config_static_selectorELNS0_4arch9wavefront6targetE1EEEvT1_,comdat
	.protected	_ZN7rocprim17ROCPRIM_400000_NS6detail17trampoline_kernelINS0_14default_configENS1_27scan_by_key_config_selectorIllEEZZNS1_16scan_by_key_implILNS1_25lookback_scan_determinismE0ELb0ES3_PKlN6hipcub16HIPCUB_304000_NS21ConstantInputIteratorIllEEPllNSB_3SumENSB_8EqualityElEE10hipError_tPvRmT2_T3_T4_T5_mT6_T7_P12ihipStream_tbENKUlT_T0_E_clISt17integral_constantIbLb1EESX_EEDaSS_ST_EUlSS_E_NS1_11comp_targetILNS1_3genE4ELNS1_11target_archE910ELNS1_3gpuE8ELNS1_3repE0EEENS1_30default_config_static_selectorELNS0_4arch9wavefront6targetE1EEEvT1_ ; -- Begin function _ZN7rocprim17ROCPRIM_400000_NS6detail17trampoline_kernelINS0_14default_configENS1_27scan_by_key_config_selectorIllEEZZNS1_16scan_by_key_implILNS1_25lookback_scan_determinismE0ELb0ES3_PKlN6hipcub16HIPCUB_304000_NS21ConstantInputIteratorIllEEPllNSB_3SumENSB_8EqualityElEE10hipError_tPvRmT2_T3_T4_T5_mT6_T7_P12ihipStream_tbENKUlT_T0_E_clISt17integral_constantIbLb1EESX_EEDaSS_ST_EUlSS_E_NS1_11comp_targetILNS1_3genE4ELNS1_11target_archE910ELNS1_3gpuE8ELNS1_3repE0EEENS1_30default_config_static_selectorELNS0_4arch9wavefront6targetE1EEEvT1_
	.globl	_ZN7rocprim17ROCPRIM_400000_NS6detail17trampoline_kernelINS0_14default_configENS1_27scan_by_key_config_selectorIllEEZZNS1_16scan_by_key_implILNS1_25lookback_scan_determinismE0ELb0ES3_PKlN6hipcub16HIPCUB_304000_NS21ConstantInputIteratorIllEEPllNSB_3SumENSB_8EqualityElEE10hipError_tPvRmT2_T3_T4_T5_mT6_T7_P12ihipStream_tbENKUlT_T0_E_clISt17integral_constantIbLb1EESX_EEDaSS_ST_EUlSS_E_NS1_11comp_targetILNS1_3genE4ELNS1_11target_archE910ELNS1_3gpuE8ELNS1_3repE0EEENS1_30default_config_static_selectorELNS0_4arch9wavefront6targetE1EEEvT1_
	.p2align	8
	.type	_ZN7rocprim17ROCPRIM_400000_NS6detail17trampoline_kernelINS0_14default_configENS1_27scan_by_key_config_selectorIllEEZZNS1_16scan_by_key_implILNS1_25lookback_scan_determinismE0ELb0ES3_PKlN6hipcub16HIPCUB_304000_NS21ConstantInputIteratorIllEEPllNSB_3SumENSB_8EqualityElEE10hipError_tPvRmT2_T3_T4_T5_mT6_T7_P12ihipStream_tbENKUlT_T0_E_clISt17integral_constantIbLb1EESX_EEDaSS_ST_EUlSS_E_NS1_11comp_targetILNS1_3genE4ELNS1_11target_archE910ELNS1_3gpuE8ELNS1_3repE0EEENS1_30default_config_static_selectorELNS0_4arch9wavefront6targetE1EEEvT1_,@function
_ZN7rocprim17ROCPRIM_400000_NS6detail17trampoline_kernelINS0_14default_configENS1_27scan_by_key_config_selectorIllEEZZNS1_16scan_by_key_implILNS1_25lookback_scan_determinismE0ELb0ES3_PKlN6hipcub16HIPCUB_304000_NS21ConstantInputIteratorIllEEPllNSB_3SumENSB_8EqualityElEE10hipError_tPvRmT2_T3_T4_T5_mT6_T7_P12ihipStream_tbENKUlT_T0_E_clISt17integral_constantIbLb1EESX_EEDaSS_ST_EUlSS_E_NS1_11comp_targetILNS1_3genE4ELNS1_11target_archE910ELNS1_3gpuE8ELNS1_3repE0EEENS1_30default_config_static_selectorELNS0_4arch9wavefront6targetE1EEEvT1_: ; @_ZN7rocprim17ROCPRIM_400000_NS6detail17trampoline_kernelINS0_14default_configENS1_27scan_by_key_config_selectorIllEEZZNS1_16scan_by_key_implILNS1_25lookback_scan_determinismE0ELb0ES3_PKlN6hipcub16HIPCUB_304000_NS21ConstantInputIteratorIllEEPllNSB_3SumENSB_8EqualityElEE10hipError_tPvRmT2_T3_T4_T5_mT6_T7_P12ihipStream_tbENKUlT_T0_E_clISt17integral_constantIbLb1EESX_EEDaSS_ST_EUlSS_E_NS1_11comp_targetILNS1_3genE4ELNS1_11target_archE910ELNS1_3gpuE8ELNS1_3repE0EEENS1_30default_config_static_selectorELNS0_4arch9wavefront6targetE1EEEvT1_
; %bb.0:
	.section	.rodata,"a",@progbits
	.p2align	6, 0x0
	.amdhsa_kernel _ZN7rocprim17ROCPRIM_400000_NS6detail17trampoline_kernelINS0_14default_configENS1_27scan_by_key_config_selectorIllEEZZNS1_16scan_by_key_implILNS1_25lookback_scan_determinismE0ELb0ES3_PKlN6hipcub16HIPCUB_304000_NS21ConstantInputIteratorIllEEPllNSB_3SumENSB_8EqualityElEE10hipError_tPvRmT2_T3_T4_T5_mT6_T7_P12ihipStream_tbENKUlT_T0_E_clISt17integral_constantIbLb1EESX_EEDaSS_ST_EUlSS_E_NS1_11comp_targetILNS1_3genE4ELNS1_11target_archE910ELNS1_3gpuE8ELNS1_3repE0EEENS1_30default_config_static_selectorELNS0_4arch9wavefront6targetE1EEEvT1_
		.amdhsa_group_segment_fixed_size 0
		.amdhsa_private_segment_fixed_size 0
		.amdhsa_kernarg_size 144
		.amdhsa_user_sgpr_count 2
		.amdhsa_user_sgpr_dispatch_ptr 0
		.amdhsa_user_sgpr_queue_ptr 0
		.amdhsa_user_sgpr_kernarg_segment_ptr 1
		.amdhsa_user_sgpr_dispatch_id 0
		.amdhsa_user_sgpr_kernarg_preload_length 0
		.amdhsa_user_sgpr_kernarg_preload_offset 0
		.amdhsa_user_sgpr_private_segment_size 0
		.amdhsa_uses_dynamic_stack 0
		.amdhsa_enable_private_segment 0
		.amdhsa_system_sgpr_workgroup_id_x 1
		.amdhsa_system_sgpr_workgroup_id_y 0
		.amdhsa_system_sgpr_workgroup_id_z 0
		.amdhsa_system_sgpr_workgroup_info 0
		.amdhsa_system_vgpr_workitem_id 0
		.amdhsa_next_free_vgpr 1
		.amdhsa_next_free_sgpr 0
		.amdhsa_accum_offset 4
		.amdhsa_reserve_vcc 0
		.amdhsa_float_round_mode_32 0
		.amdhsa_float_round_mode_16_64 0
		.amdhsa_float_denorm_mode_32 3
		.amdhsa_float_denorm_mode_16_64 3
		.amdhsa_dx10_clamp 1
		.amdhsa_ieee_mode 1
		.amdhsa_fp16_overflow 0
		.amdhsa_tg_split 0
		.amdhsa_exception_fp_ieee_invalid_op 0
		.amdhsa_exception_fp_denorm_src 0
		.amdhsa_exception_fp_ieee_div_zero 0
		.amdhsa_exception_fp_ieee_overflow 0
		.amdhsa_exception_fp_ieee_underflow 0
		.amdhsa_exception_fp_ieee_inexact 0
		.amdhsa_exception_int_div_zero 0
	.end_amdhsa_kernel
	.section	.text._ZN7rocprim17ROCPRIM_400000_NS6detail17trampoline_kernelINS0_14default_configENS1_27scan_by_key_config_selectorIllEEZZNS1_16scan_by_key_implILNS1_25lookback_scan_determinismE0ELb0ES3_PKlN6hipcub16HIPCUB_304000_NS21ConstantInputIteratorIllEEPllNSB_3SumENSB_8EqualityElEE10hipError_tPvRmT2_T3_T4_T5_mT6_T7_P12ihipStream_tbENKUlT_T0_E_clISt17integral_constantIbLb1EESX_EEDaSS_ST_EUlSS_E_NS1_11comp_targetILNS1_3genE4ELNS1_11target_archE910ELNS1_3gpuE8ELNS1_3repE0EEENS1_30default_config_static_selectorELNS0_4arch9wavefront6targetE1EEEvT1_,"axG",@progbits,_ZN7rocprim17ROCPRIM_400000_NS6detail17trampoline_kernelINS0_14default_configENS1_27scan_by_key_config_selectorIllEEZZNS1_16scan_by_key_implILNS1_25lookback_scan_determinismE0ELb0ES3_PKlN6hipcub16HIPCUB_304000_NS21ConstantInputIteratorIllEEPllNSB_3SumENSB_8EqualityElEE10hipError_tPvRmT2_T3_T4_T5_mT6_T7_P12ihipStream_tbENKUlT_T0_E_clISt17integral_constantIbLb1EESX_EEDaSS_ST_EUlSS_E_NS1_11comp_targetILNS1_3genE4ELNS1_11target_archE910ELNS1_3gpuE8ELNS1_3repE0EEENS1_30default_config_static_selectorELNS0_4arch9wavefront6targetE1EEEvT1_,comdat
.Lfunc_end108:
	.size	_ZN7rocprim17ROCPRIM_400000_NS6detail17trampoline_kernelINS0_14default_configENS1_27scan_by_key_config_selectorIllEEZZNS1_16scan_by_key_implILNS1_25lookback_scan_determinismE0ELb0ES3_PKlN6hipcub16HIPCUB_304000_NS21ConstantInputIteratorIllEEPllNSB_3SumENSB_8EqualityElEE10hipError_tPvRmT2_T3_T4_T5_mT6_T7_P12ihipStream_tbENKUlT_T0_E_clISt17integral_constantIbLb1EESX_EEDaSS_ST_EUlSS_E_NS1_11comp_targetILNS1_3genE4ELNS1_11target_archE910ELNS1_3gpuE8ELNS1_3repE0EEENS1_30default_config_static_selectorELNS0_4arch9wavefront6targetE1EEEvT1_, .Lfunc_end108-_ZN7rocprim17ROCPRIM_400000_NS6detail17trampoline_kernelINS0_14default_configENS1_27scan_by_key_config_selectorIllEEZZNS1_16scan_by_key_implILNS1_25lookback_scan_determinismE0ELb0ES3_PKlN6hipcub16HIPCUB_304000_NS21ConstantInputIteratorIllEEPllNSB_3SumENSB_8EqualityElEE10hipError_tPvRmT2_T3_T4_T5_mT6_T7_P12ihipStream_tbENKUlT_T0_E_clISt17integral_constantIbLb1EESX_EEDaSS_ST_EUlSS_E_NS1_11comp_targetILNS1_3genE4ELNS1_11target_archE910ELNS1_3gpuE8ELNS1_3repE0EEENS1_30default_config_static_selectorELNS0_4arch9wavefront6targetE1EEEvT1_
                                        ; -- End function
	.set _ZN7rocprim17ROCPRIM_400000_NS6detail17trampoline_kernelINS0_14default_configENS1_27scan_by_key_config_selectorIllEEZZNS1_16scan_by_key_implILNS1_25lookback_scan_determinismE0ELb0ES3_PKlN6hipcub16HIPCUB_304000_NS21ConstantInputIteratorIllEEPllNSB_3SumENSB_8EqualityElEE10hipError_tPvRmT2_T3_T4_T5_mT6_T7_P12ihipStream_tbENKUlT_T0_E_clISt17integral_constantIbLb1EESX_EEDaSS_ST_EUlSS_E_NS1_11comp_targetILNS1_3genE4ELNS1_11target_archE910ELNS1_3gpuE8ELNS1_3repE0EEENS1_30default_config_static_selectorELNS0_4arch9wavefront6targetE1EEEvT1_.num_vgpr, 0
	.set _ZN7rocprim17ROCPRIM_400000_NS6detail17trampoline_kernelINS0_14default_configENS1_27scan_by_key_config_selectorIllEEZZNS1_16scan_by_key_implILNS1_25lookback_scan_determinismE0ELb0ES3_PKlN6hipcub16HIPCUB_304000_NS21ConstantInputIteratorIllEEPllNSB_3SumENSB_8EqualityElEE10hipError_tPvRmT2_T3_T4_T5_mT6_T7_P12ihipStream_tbENKUlT_T0_E_clISt17integral_constantIbLb1EESX_EEDaSS_ST_EUlSS_E_NS1_11comp_targetILNS1_3genE4ELNS1_11target_archE910ELNS1_3gpuE8ELNS1_3repE0EEENS1_30default_config_static_selectorELNS0_4arch9wavefront6targetE1EEEvT1_.num_agpr, 0
	.set _ZN7rocprim17ROCPRIM_400000_NS6detail17trampoline_kernelINS0_14default_configENS1_27scan_by_key_config_selectorIllEEZZNS1_16scan_by_key_implILNS1_25lookback_scan_determinismE0ELb0ES3_PKlN6hipcub16HIPCUB_304000_NS21ConstantInputIteratorIllEEPllNSB_3SumENSB_8EqualityElEE10hipError_tPvRmT2_T3_T4_T5_mT6_T7_P12ihipStream_tbENKUlT_T0_E_clISt17integral_constantIbLb1EESX_EEDaSS_ST_EUlSS_E_NS1_11comp_targetILNS1_3genE4ELNS1_11target_archE910ELNS1_3gpuE8ELNS1_3repE0EEENS1_30default_config_static_selectorELNS0_4arch9wavefront6targetE1EEEvT1_.numbered_sgpr, 0
	.set _ZN7rocprim17ROCPRIM_400000_NS6detail17trampoline_kernelINS0_14default_configENS1_27scan_by_key_config_selectorIllEEZZNS1_16scan_by_key_implILNS1_25lookback_scan_determinismE0ELb0ES3_PKlN6hipcub16HIPCUB_304000_NS21ConstantInputIteratorIllEEPllNSB_3SumENSB_8EqualityElEE10hipError_tPvRmT2_T3_T4_T5_mT6_T7_P12ihipStream_tbENKUlT_T0_E_clISt17integral_constantIbLb1EESX_EEDaSS_ST_EUlSS_E_NS1_11comp_targetILNS1_3genE4ELNS1_11target_archE910ELNS1_3gpuE8ELNS1_3repE0EEENS1_30default_config_static_selectorELNS0_4arch9wavefront6targetE1EEEvT1_.num_named_barrier, 0
	.set _ZN7rocprim17ROCPRIM_400000_NS6detail17trampoline_kernelINS0_14default_configENS1_27scan_by_key_config_selectorIllEEZZNS1_16scan_by_key_implILNS1_25lookback_scan_determinismE0ELb0ES3_PKlN6hipcub16HIPCUB_304000_NS21ConstantInputIteratorIllEEPllNSB_3SumENSB_8EqualityElEE10hipError_tPvRmT2_T3_T4_T5_mT6_T7_P12ihipStream_tbENKUlT_T0_E_clISt17integral_constantIbLb1EESX_EEDaSS_ST_EUlSS_E_NS1_11comp_targetILNS1_3genE4ELNS1_11target_archE910ELNS1_3gpuE8ELNS1_3repE0EEENS1_30default_config_static_selectorELNS0_4arch9wavefront6targetE1EEEvT1_.private_seg_size, 0
	.set _ZN7rocprim17ROCPRIM_400000_NS6detail17trampoline_kernelINS0_14default_configENS1_27scan_by_key_config_selectorIllEEZZNS1_16scan_by_key_implILNS1_25lookback_scan_determinismE0ELb0ES3_PKlN6hipcub16HIPCUB_304000_NS21ConstantInputIteratorIllEEPllNSB_3SumENSB_8EqualityElEE10hipError_tPvRmT2_T3_T4_T5_mT6_T7_P12ihipStream_tbENKUlT_T0_E_clISt17integral_constantIbLb1EESX_EEDaSS_ST_EUlSS_E_NS1_11comp_targetILNS1_3genE4ELNS1_11target_archE910ELNS1_3gpuE8ELNS1_3repE0EEENS1_30default_config_static_selectorELNS0_4arch9wavefront6targetE1EEEvT1_.uses_vcc, 0
	.set _ZN7rocprim17ROCPRIM_400000_NS6detail17trampoline_kernelINS0_14default_configENS1_27scan_by_key_config_selectorIllEEZZNS1_16scan_by_key_implILNS1_25lookback_scan_determinismE0ELb0ES3_PKlN6hipcub16HIPCUB_304000_NS21ConstantInputIteratorIllEEPllNSB_3SumENSB_8EqualityElEE10hipError_tPvRmT2_T3_T4_T5_mT6_T7_P12ihipStream_tbENKUlT_T0_E_clISt17integral_constantIbLb1EESX_EEDaSS_ST_EUlSS_E_NS1_11comp_targetILNS1_3genE4ELNS1_11target_archE910ELNS1_3gpuE8ELNS1_3repE0EEENS1_30default_config_static_selectorELNS0_4arch9wavefront6targetE1EEEvT1_.uses_flat_scratch, 0
	.set _ZN7rocprim17ROCPRIM_400000_NS6detail17trampoline_kernelINS0_14default_configENS1_27scan_by_key_config_selectorIllEEZZNS1_16scan_by_key_implILNS1_25lookback_scan_determinismE0ELb0ES3_PKlN6hipcub16HIPCUB_304000_NS21ConstantInputIteratorIllEEPllNSB_3SumENSB_8EqualityElEE10hipError_tPvRmT2_T3_T4_T5_mT6_T7_P12ihipStream_tbENKUlT_T0_E_clISt17integral_constantIbLb1EESX_EEDaSS_ST_EUlSS_E_NS1_11comp_targetILNS1_3genE4ELNS1_11target_archE910ELNS1_3gpuE8ELNS1_3repE0EEENS1_30default_config_static_selectorELNS0_4arch9wavefront6targetE1EEEvT1_.has_dyn_sized_stack, 0
	.set _ZN7rocprim17ROCPRIM_400000_NS6detail17trampoline_kernelINS0_14default_configENS1_27scan_by_key_config_selectorIllEEZZNS1_16scan_by_key_implILNS1_25lookback_scan_determinismE0ELb0ES3_PKlN6hipcub16HIPCUB_304000_NS21ConstantInputIteratorIllEEPllNSB_3SumENSB_8EqualityElEE10hipError_tPvRmT2_T3_T4_T5_mT6_T7_P12ihipStream_tbENKUlT_T0_E_clISt17integral_constantIbLb1EESX_EEDaSS_ST_EUlSS_E_NS1_11comp_targetILNS1_3genE4ELNS1_11target_archE910ELNS1_3gpuE8ELNS1_3repE0EEENS1_30default_config_static_selectorELNS0_4arch9wavefront6targetE1EEEvT1_.has_recursion, 0
	.set _ZN7rocprim17ROCPRIM_400000_NS6detail17trampoline_kernelINS0_14default_configENS1_27scan_by_key_config_selectorIllEEZZNS1_16scan_by_key_implILNS1_25lookback_scan_determinismE0ELb0ES3_PKlN6hipcub16HIPCUB_304000_NS21ConstantInputIteratorIllEEPllNSB_3SumENSB_8EqualityElEE10hipError_tPvRmT2_T3_T4_T5_mT6_T7_P12ihipStream_tbENKUlT_T0_E_clISt17integral_constantIbLb1EESX_EEDaSS_ST_EUlSS_E_NS1_11comp_targetILNS1_3genE4ELNS1_11target_archE910ELNS1_3gpuE8ELNS1_3repE0EEENS1_30default_config_static_selectorELNS0_4arch9wavefront6targetE1EEEvT1_.has_indirect_call, 0
	.section	.AMDGPU.csdata,"",@progbits
; Kernel info:
; codeLenInByte = 0
; TotalNumSgprs: 6
; NumVgprs: 0
; NumAgprs: 0
; TotalNumVgprs: 0
; ScratchSize: 0
; MemoryBound: 0
; FloatMode: 240
; IeeeMode: 1
; LDSByteSize: 0 bytes/workgroup (compile time only)
; SGPRBlocks: 0
; VGPRBlocks: 0
; NumSGPRsForWavesPerEU: 6
; NumVGPRsForWavesPerEU: 1
; AccumOffset: 4
; Occupancy: 8
; WaveLimiterHint : 0
; COMPUTE_PGM_RSRC2:SCRATCH_EN: 0
; COMPUTE_PGM_RSRC2:USER_SGPR: 2
; COMPUTE_PGM_RSRC2:TRAP_HANDLER: 0
; COMPUTE_PGM_RSRC2:TGID_X_EN: 1
; COMPUTE_PGM_RSRC2:TGID_Y_EN: 0
; COMPUTE_PGM_RSRC2:TGID_Z_EN: 0
; COMPUTE_PGM_RSRC2:TIDIG_COMP_CNT: 0
; COMPUTE_PGM_RSRC3_GFX90A:ACCUM_OFFSET: 0
; COMPUTE_PGM_RSRC3_GFX90A:TG_SPLIT: 0
	.section	.text._ZN7rocprim17ROCPRIM_400000_NS6detail17trampoline_kernelINS0_14default_configENS1_27scan_by_key_config_selectorIllEEZZNS1_16scan_by_key_implILNS1_25lookback_scan_determinismE0ELb0ES3_PKlN6hipcub16HIPCUB_304000_NS21ConstantInputIteratorIllEEPllNSB_3SumENSB_8EqualityElEE10hipError_tPvRmT2_T3_T4_T5_mT6_T7_P12ihipStream_tbENKUlT_T0_E_clISt17integral_constantIbLb1EESX_EEDaSS_ST_EUlSS_E_NS1_11comp_targetILNS1_3genE3ELNS1_11target_archE908ELNS1_3gpuE7ELNS1_3repE0EEENS1_30default_config_static_selectorELNS0_4arch9wavefront6targetE1EEEvT1_,"axG",@progbits,_ZN7rocprim17ROCPRIM_400000_NS6detail17trampoline_kernelINS0_14default_configENS1_27scan_by_key_config_selectorIllEEZZNS1_16scan_by_key_implILNS1_25lookback_scan_determinismE0ELb0ES3_PKlN6hipcub16HIPCUB_304000_NS21ConstantInputIteratorIllEEPllNSB_3SumENSB_8EqualityElEE10hipError_tPvRmT2_T3_T4_T5_mT6_T7_P12ihipStream_tbENKUlT_T0_E_clISt17integral_constantIbLb1EESX_EEDaSS_ST_EUlSS_E_NS1_11comp_targetILNS1_3genE3ELNS1_11target_archE908ELNS1_3gpuE7ELNS1_3repE0EEENS1_30default_config_static_selectorELNS0_4arch9wavefront6targetE1EEEvT1_,comdat
	.protected	_ZN7rocprim17ROCPRIM_400000_NS6detail17trampoline_kernelINS0_14default_configENS1_27scan_by_key_config_selectorIllEEZZNS1_16scan_by_key_implILNS1_25lookback_scan_determinismE0ELb0ES3_PKlN6hipcub16HIPCUB_304000_NS21ConstantInputIteratorIllEEPllNSB_3SumENSB_8EqualityElEE10hipError_tPvRmT2_T3_T4_T5_mT6_T7_P12ihipStream_tbENKUlT_T0_E_clISt17integral_constantIbLb1EESX_EEDaSS_ST_EUlSS_E_NS1_11comp_targetILNS1_3genE3ELNS1_11target_archE908ELNS1_3gpuE7ELNS1_3repE0EEENS1_30default_config_static_selectorELNS0_4arch9wavefront6targetE1EEEvT1_ ; -- Begin function _ZN7rocprim17ROCPRIM_400000_NS6detail17trampoline_kernelINS0_14default_configENS1_27scan_by_key_config_selectorIllEEZZNS1_16scan_by_key_implILNS1_25lookback_scan_determinismE0ELb0ES3_PKlN6hipcub16HIPCUB_304000_NS21ConstantInputIteratorIllEEPllNSB_3SumENSB_8EqualityElEE10hipError_tPvRmT2_T3_T4_T5_mT6_T7_P12ihipStream_tbENKUlT_T0_E_clISt17integral_constantIbLb1EESX_EEDaSS_ST_EUlSS_E_NS1_11comp_targetILNS1_3genE3ELNS1_11target_archE908ELNS1_3gpuE7ELNS1_3repE0EEENS1_30default_config_static_selectorELNS0_4arch9wavefront6targetE1EEEvT1_
	.globl	_ZN7rocprim17ROCPRIM_400000_NS6detail17trampoline_kernelINS0_14default_configENS1_27scan_by_key_config_selectorIllEEZZNS1_16scan_by_key_implILNS1_25lookback_scan_determinismE0ELb0ES3_PKlN6hipcub16HIPCUB_304000_NS21ConstantInputIteratorIllEEPllNSB_3SumENSB_8EqualityElEE10hipError_tPvRmT2_T3_T4_T5_mT6_T7_P12ihipStream_tbENKUlT_T0_E_clISt17integral_constantIbLb1EESX_EEDaSS_ST_EUlSS_E_NS1_11comp_targetILNS1_3genE3ELNS1_11target_archE908ELNS1_3gpuE7ELNS1_3repE0EEENS1_30default_config_static_selectorELNS0_4arch9wavefront6targetE1EEEvT1_
	.p2align	8
	.type	_ZN7rocprim17ROCPRIM_400000_NS6detail17trampoline_kernelINS0_14default_configENS1_27scan_by_key_config_selectorIllEEZZNS1_16scan_by_key_implILNS1_25lookback_scan_determinismE0ELb0ES3_PKlN6hipcub16HIPCUB_304000_NS21ConstantInputIteratorIllEEPllNSB_3SumENSB_8EqualityElEE10hipError_tPvRmT2_T3_T4_T5_mT6_T7_P12ihipStream_tbENKUlT_T0_E_clISt17integral_constantIbLb1EESX_EEDaSS_ST_EUlSS_E_NS1_11comp_targetILNS1_3genE3ELNS1_11target_archE908ELNS1_3gpuE7ELNS1_3repE0EEENS1_30default_config_static_selectorELNS0_4arch9wavefront6targetE1EEEvT1_,@function
_ZN7rocprim17ROCPRIM_400000_NS6detail17trampoline_kernelINS0_14default_configENS1_27scan_by_key_config_selectorIllEEZZNS1_16scan_by_key_implILNS1_25lookback_scan_determinismE0ELb0ES3_PKlN6hipcub16HIPCUB_304000_NS21ConstantInputIteratorIllEEPllNSB_3SumENSB_8EqualityElEE10hipError_tPvRmT2_T3_T4_T5_mT6_T7_P12ihipStream_tbENKUlT_T0_E_clISt17integral_constantIbLb1EESX_EEDaSS_ST_EUlSS_E_NS1_11comp_targetILNS1_3genE3ELNS1_11target_archE908ELNS1_3gpuE7ELNS1_3repE0EEENS1_30default_config_static_selectorELNS0_4arch9wavefront6targetE1EEEvT1_: ; @_ZN7rocprim17ROCPRIM_400000_NS6detail17trampoline_kernelINS0_14default_configENS1_27scan_by_key_config_selectorIllEEZZNS1_16scan_by_key_implILNS1_25lookback_scan_determinismE0ELb0ES3_PKlN6hipcub16HIPCUB_304000_NS21ConstantInputIteratorIllEEPllNSB_3SumENSB_8EqualityElEE10hipError_tPvRmT2_T3_T4_T5_mT6_T7_P12ihipStream_tbENKUlT_T0_E_clISt17integral_constantIbLb1EESX_EEDaSS_ST_EUlSS_E_NS1_11comp_targetILNS1_3genE3ELNS1_11target_archE908ELNS1_3gpuE7ELNS1_3repE0EEENS1_30default_config_static_selectorELNS0_4arch9wavefront6targetE1EEEvT1_
; %bb.0:
	.section	.rodata,"a",@progbits
	.p2align	6, 0x0
	.amdhsa_kernel _ZN7rocprim17ROCPRIM_400000_NS6detail17trampoline_kernelINS0_14default_configENS1_27scan_by_key_config_selectorIllEEZZNS1_16scan_by_key_implILNS1_25lookback_scan_determinismE0ELb0ES3_PKlN6hipcub16HIPCUB_304000_NS21ConstantInputIteratorIllEEPllNSB_3SumENSB_8EqualityElEE10hipError_tPvRmT2_T3_T4_T5_mT6_T7_P12ihipStream_tbENKUlT_T0_E_clISt17integral_constantIbLb1EESX_EEDaSS_ST_EUlSS_E_NS1_11comp_targetILNS1_3genE3ELNS1_11target_archE908ELNS1_3gpuE7ELNS1_3repE0EEENS1_30default_config_static_selectorELNS0_4arch9wavefront6targetE1EEEvT1_
		.amdhsa_group_segment_fixed_size 0
		.amdhsa_private_segment_fixed_size 0
		.amdhsa_kernarg_size 144
		.amdhsa_user_sgpr_count 2
		.amdhsa_user_sgpr_dispatch_ptr 0
		.amdhsa_user_sgpr_queue_ptr 0
		.amdhsa_user_sgpr_kernarg_segment_ptr 1
		.amdhsa_user_sgpr_dispatch_id 0
		.amdhsa_user_sgpr_kernarg_preload_length 0
		.amdhsa_user_sgpr_kernarg_preload_offset 0
		.amdhsa_user_sgpr_private_segment_size 0
		.amdhsa_uses_dynamic_stack 0
		.amdhsa_enable_private_segment 0
		.amdhsa_system_sgpr_workgroup_id_x 1
		.amdhsa_system_sgpr_workgroup_id_y 0
		.amdhsa_system_sgpr_workgroup_id_z 0
		.amdhsa_system_sgpr_workgroup_info 0
		.amdhsa_system_vgpr_workitem_id 0
		.amdhsa_next_free_vgpr 1
		.amdhsa_next_free_sgpr 0
		.amdhsa_accum_offset 4
		.amdhsa_reserve_vcc 0
		.amdhsa_float_round_mode_32 0
		.amdhsa_float_round_mode_16_64 0
		.amdhsa_float_denorm_mode_32 3
		.amdhsa_float_denorm_mode_16_64 3
		.amdhsa_dx10_clamp 1
		.amdhsa_ieee_mode 1
		.amdhsa_fp16_overflow 0
		.amdhsa_tg_split 0
		.amdhsa_exception_fp_ieee_invalid_op 0
		.amdhsa_exception_fp_denorm_src 0
		.amdhsa_exception_fp_ieee_div_zero 0
		.amdhsa_exception_fp_ieee_overflow 0
		.amdhsa_exception_fp_ieee_underflow 0
		.amdhsa_exception_fp_ieee_inexact 0
		.amdhsa_exception_int_div_zero 0
	.end_amdhsa_kernel
	.section	.text._ZN7rocprim17ROCPRIM_400000_NS6detail17trampoline_kernelINS0_14default_configENS1_27scan_by_key_config_selectorIllEEZZNS1_16scan_by_key_implILNS1_25lookback_scan_determinismE0ELb0ES3_PKlN6hipcub16HIPCUB_304000_NS21ConstantInputIteratorIllEEPllNSB_3SumENSB_8EqualityElEE10hipError_tPvRmT2_T3_T4_T5_mT6_T7_P12ihipStream_tbENKUlT_T0_E_clISt17integral_constantIbLb1EESX_EEDaSS_ST_EUlSS_E_NS1_11comp_targetILNS1_3genE3ELNS1_11target_archE908ELNS1_3gpuE7ELNS1_3repE0EEENS1_30default_config_static_selectorELNS0_4arch9wavefront6targetE1EEEvT1_,"axG",@progbits,_ZN7rocprim17ROCPRIM_400000_NS6detail17trampoline_kernelINS0_14default_configENS1_27scan_by_key_config_selectorIllEEZZNS1_16scan_by_key_implILNS1_25lookback_scan_determinismE0ELb0ES3_PKlN6hipcub16HIPCUB_304000_NS21ConstantInputIteratorIllEEPllNSB_3SumENSB_8EqualityElEE10hipError_tPvRmT2_T3_T4_T5_mT6_T7_P12ihipStream_tbENKUlT_T0_E_clISt17integral_constantIbLb1EESX_EEDaSS_ST_EUlSS_E_NS1_11comp_targetILNS1_3genE3ELNS1_11target_archE908ELNS1_3gpuE7ELNS1_3repE0EEENS1_30default_config_static_selectorELNS0_4arch9wavefront6targetE1EEEvT1_,comdat
.Lfunc_end109:
	.size	_ZN7rocprim17ROCPRIM_400000_NS6detail17trampoline_kernelINS0_14default_configENS1_27scan_by_key_config_selectorIllEEZZNS1_16scan_by_key_implILNS1_25lookback_scan_determinismE0ELb0ES3_PKlN6hipcub16HIPCUB_304000_NS21ConstantInputIteratorIllEEPllNSB_3SumENSB_8EqualityElEE10hipError_tPvRmT2_T3_T4_T5_mT6_T7_P12ihipStream_tbENKUlT_T0_E_clISt17integral_constantIbLb1EESX_EEDaSS_ST_EUlSS_E_NS1_11comp_targetILNS1_3genE3ELNS1_11target_archE908ELNS1_3gpuE7ELNS1_3repE0EEENS1_30default_config_static_selectorELNS0_4arch9wavefront6targetE1EEEvT1_, .Lfunc_end109-_ZN7rocprim17ROCPRIM_400000_NS6detail17trampoline_kernelINS0_14default_configENS1_27scan_by_key_config_selectorIllEEZZNS1_16scan_by_key_implILNS1_25lookback_scan_determinismE0ELb0ES3_PKlN6hipcub16HIPCUB_304000_NS21ConstantInputIteratorIllEEPllNSB_3SumENSB_8EqualityElEE10hipError_tPvRmT2_T3_T4_T5_mT6_T7_P12ihipStream_tbENKUlT_T0_E_clISt17integral_constantIbLb1EESX_EEDaSS_ST_EUlSS_E_NS1_11comp_targetILNS1_3genE3ELNS1_11target_archE908ELNS1_3gpuE7ELNS1_3repE0EEENS1_30default_config_static_selectorELNS0_4arch9wavefront6targetE1EEEvT1_
                                        ; -- End function
	.set _ZN7rocprim17ROCPRIM_400000_NS6detail17trampoline_kernelINS0_14default_configENS1_27scan_by_key_config_selectorIllEEZZNS1_16scan_by_key_implILNS1_25lookback_scan_determinismE0ELb0ES3_PKlN6hipcub16HIPCUB_304000_NS21ConstantInputIteratorIllEEPllNSB_3SumENSB_8EqualityElEE10hipError_tPvRmT2_T3_T4_T5_mT6_T7_P12ihipStream_tbENKUlT_T0_E_clISt17integral_constantIbLb1EESX_EEDaSS_ST_EUlSS_E_NS1_11comp_targetILNS1_3genE3ELNS1_11target_archE908ELNS1_3gpuE7ELNS1_3repE0EEENS1_30default_config_static_selectorELNS0_4arch9wavefront6targetE1EEEvT1_.num_vgpr, 0
	.set _ZN7rocprim17ROCPRIM_400000_NS6detail17trampoline_kernelINS0_14default_configENS1_27scan_by_key_config_selectorIllEEZZNS1_16scan_by_key_implILNS1_25lookback_scan_determinismE0ELb0ES3_PKlN6hipcub16HIPCUB_304000_NS21ConstantInputIteratorIllEEPllNSB_3SumENSB_8EqualityElEE10hipError_tPvRmT2_T3_T4_T5_mT6_T7_P12ihipStream_tbENKUlT_T0_E_clISt17integral_constantIbLb1EESX_EEDaSS_ST_EUlSS_E_NS1_11comp_targetILNS1_3genE3ELNS1_11target_archE908ELNS1_3gpuE7ELNS1_3repE0EEENS1_30default_config_static_selectorELNS0_4arch9wavefront6targetE1EEEvT1_.num_agpr, 0
	.set _ZN7rocprim17ROCPRIM_400000_NS6detail17trampoline_kernelINS0_14default_configENS1_27scan_by_key_config_selectorIllEEZZNS1_16scan_by_key_implILNS1_25lookback_scan_determinismE0ELb0ES3_PKlN6hipcub16HIPCUB_304000_NS21ConstantInputIteratorIllEEPllNSB_3SumENSB_8EqualityElEE10hipError_tPvRmT2_T3_T4_T5_mT6_T7_P12ihipStream_tbENKUlT_T0_E_clISt17integral_constantIbLb1EESX_EEDaSS_ST_EUlSS_E_NS1_11comp_targetILNS1_3genE3ELNS1_11target_archE908ELNS1_3gpuE7ELNS1_3repE0EEENS1_30default_config_static_selectorELNS0_4arch9wavefront6targetE1EEEvT1_.numbered_sgpr, 0
	.set _ZN7rocprim17ROCPRIM_400000_NS6detail17trampoline_kernelINS0_14default_configENS1_27scan_by_key_config_selectorIllEEZZNS1_16scan_by_key_implILNS1_25lookback_scan_determinismE0ELb0ES3_PKlN6hipcub16HIPCUB_304000_NS21ConstantInputIteratorIllEEPllNSB_3SumENSB_8EqualityElEE10hipError_tPvRmT2_T3_T4_T5_mT6_T7_P12ihipStream_tbENKUlT_T0_E_clISt17integral_constantIbLb1EESX_EEDaSS_ST_EUlSS_E_NS1_11comp_targetILNS1_3genE3ELNS1_11target_archE908ELNS1_3gpuE7ELNS1_3repE0EEENS1_30default_config_static_selectorELNS0_4arch9wavefront6targetE1EEEvT1_.num_named_barrier, 0
	.set _ZN7rocprim17ROCPRIM_400000_NS6detail17trampoline_kernelINS0_14default_configENS1_27scan_by_key_config_selectorIllEEZZNS1_16scan_by_key_implILNS1_25lookback_scan_determinismE0ELb0ES3_PKlN6hipcub16HIPCUB_304000_NS21ConstantInputIteratorIllEEPllNSB_3SumENSB_8EqualityElEE10hipError_tPvRmT2_T3_T4_T5_mT6_T7_P12ihipStream_tbENKUlT_T0_E_clISt17integral_constantIbLb1EESX_EEDaSS_ST_EUlSS_E_NS1_11comp_targetILNS1_3genE3ELNS1_11target_archE908ELNS1_3gpuE7ELNS1_3repE0EEENS1_30default_config_static_selectorELNS0_4arch9wavefront6targetE1EEEvT1_.private_seg_size, 0
	.set _ZN7rocprim17ROCPRIM_400000_NS6detail17trampoline_kernelINS0_14default_configENS1_27scan_by_key_config_selectorIllEEZZNS1_16scan_by_key_implILNS1_25lookback_scan_determinismE0ELb0ES3_PKlN6hipcub16HIPCUB_304000_NS21ConstantInputIteratorIllEEPllNSB_3SumENSB_8EqualityElEE10hipError_tPvRmT2_T3_T4_T5_mT6_T7_P12ihipStream_tbENKUlT_T0_E_clISt17integral_constantIbLb1EESX_EEDaSS_ST_EUlSS_E_NS1_11comp_targetILNS1_3genE3ELNS1_11target_archE908ELNS1_3gpuE7ELNS1_3repE0EEENS1_30default_config_static_selectorELNS0_4arch9wavefront6targetE1EEEvT1_.uses_vcc, 0
	.set _ZN7rocprim17ROCPRIM_400000_NS6detail17trampoline_kernelINS0_14default_configENS1_27scan_by_key_config_selectorIllEEZZNS1_16scan_by_key_implILNS1_25lookback_scan_determinismE0ELb0ES3_PKlN6hipcub16HIPCUB_304000_NS21ConstantInputIteratorIllEEPllNSB_3SumENSB_8EqualityElEE10hipError_tPvRmT2_T3_T4_T5_mT6_T7_P12ihipStream_tbENKUlT_T0_E_clISt17integral_constantIbLb1EESX_EEDaSS_ST_EUlSS_E_NS1_11comp_targetILNS1_3genE3ELNS1_11target_archE908ELNS1_3gpuE7ELNS1_3repE0EEENS1_30default_config_static_selectorELNS0_4arch9wavefront6targetE1EEEvT1_.uses_flat_scratch, 0
	.set _ZN7rocprim17ROCPRIM_400000_NS6detail17trampoline_kernelINS0_14default_configENS1_27scan_by_key_config_selectorIllEEZZNS1_16scan_by_key_implILNS1_25lookback_scan_determinismE0ELb0ES3_PKlN6hipcub16HIPCUB_304000_NS21ConstantInputIteratorIllEEPllNSB_3SumENSB_8EqualityElEE10hipError_tPvRmT2_T3_T4_T5_mT6_T7_P12ihipStream_tbENKUlT_T0_E_clISt17integral_constantIbLb1EESX_EEDaSS_ST_EUlSS_E_NS1_11comp_targetILNS1_3genE3ELNS1_11target_archE908ELNS1_3gpuE7ELNS1_3repE0EEENS1_30default_config_static_selectorELNS0_4arch9wavefront6targetE1EEEvT1_.has_dyn_sized_stack, 0
	.set _ZN7rocprim17ROCPRIM_400000_NS6detail17trampoline_kernelINS0_14default_configENS1_27scan_by_key_config_selectorIllEEZZNS1_16scan_by_key_implILNS1_25lookback_scan_determinismE0ELb0ES3_PKlN6hipcub16HIPCUB_304000_NS21ConstantInputIteratorIllEEPllNSB_3SumENSB_8EqualityElEE10hipError_tPvRmT2_T3_T4_T5_mT6_T7_P12ihipStream_tbENKUlT_T0_E_clISt17integral_constantIbLb1EESX_EEDaSS_ST_EUlSS_E_NS1_11comp_targetILNS1_3genE3ELNS1_11target_archE908ELNS1_3gpuE7ELNS1_3repE0EEENS1_30default_config_static_selectorELNS0_4arch9wavefront6targetE1EEEvT1_.has_recursion, 0
	.set _ZN7rocprim17ROCPRIM_400000_NS6detail17trampoline_kernelINS0_14default_configENS1_27scan_by_key_config_selectorIllEEZZNS1_16scan_by_key_implILNS1_25lookback_scan_determinismE0ELb0ES3_PKlN6hipcub16HIPCUB_304000_NS21ConstantInputIteratorIllEEPllNSB_3SumENSB_8EqualityElEE10hipError_tPvRmT2_T3_T4_T5_mT6_T7_P12ihipStream_tbENKUlT_T0_E_clISt17integral_constantIbLb1EESX_EEDaSS_ST_EUlSS_E_NS1_11comp_targetILNS1_3genE3ELNS1_11target_archE908ELNS1_3gpuE7ELNS1_3repE0EEENS1_30default_config_static_selectorELNS0_4arch9wavefront6targetE1EEEvT1_.has_indirect_call, 0
	.section	.AMDGPU.csdata,"",@progbits
; Kernel info:
; codeLenInByte = 0
; TotalNumSgprs: 6
; NumVgprs: 0
; NumAgprs: 0
; TotalNumVgprs: 0
; ScratchSize: 0
; MemoryBound: 0
; FloatMode: 240
; IeeeMode: 1
; LDSByteSize: 0 bytes/workgroup (compile time only)
; SGPRBlocks: 0
; VGPRBlocks: 0
; NumSGPRsForWavesPerEU: 6
; NumVGPRsForWavesPerEU: 1
; AccumOffset: 4
; Occupancy: 8
; WaveLimiterHint : 0
; COMPUTE_PGM_RSRC2:SCRATCH_EN: 0
; COMPUTE_PGM_RSRC2:USER_SGPR: 2
; COMPUTE_PGM_RSRC2:TRAP_HANDLER: 0
; COMPUTE_PGM_RSRC2:TGID_X_EN: 1
; COMPUTE_PGM_RSRC2:TGID_Y_EN: 0
; COMPUTE_PGM_RSRC2:TGID_Z_EN: 0
; COMPUTE_PGM_RSRC2:TIDIG_COMP_CNT: 0
; COMPUTE_PGM_RSRC3_GFX90A:ACCUM_OFFSET: 0
; COMPUTE_PGM_RSRC3_GFX90A:TG_SPLIT: 0
	.section	.text._ZN7rocprim17ROCPRIM_400000_NS6detail17trampoline_kernelINS0_14default_configENS1_27scan_by_key_config_selectorIllEEZZNS1_16scan_by_key_implILNS1_25lookback_scan_determinismE0ELb0ES3_PKlN6hipcub16HIPCUB_304000_NS21ConstantInputIteratorIllEEPllNSB_3SumENSB_8EqualityElEE10hipError_tPvRmT2_T3_T4_T5_mT6_T7_P12ihipStream_tbENKUlT_T0_E_clISt17integral_constantIbLb1EESX_EEDaSS_ST_EUlSS_E_NS1_11comp_targetILNS1_3genE2ELNS1_11target_archE906ELNS1_3gpuE6ELNS1_3repE0EEENS1_30default_config_static_selectorELNS0_4arch9wavefront6targetE1EEEvT1_,"axG",@progbits,_ZN7rocprim17ROCPRIM_400000_NS6detail17trampoline_kernelINS0_14default_configENS1_27scan_by_key_config_selectorIllEEZZNS1_16scan_by_key_implILNS1_25lookback_scan_determinismE0ELb0ES3_PKlN6hipcub16HIPCUB_304000_NS21ConstantInputIteratorIllEEPllNSB_3SumENSB_8EqualityElEE10hipError_tPvRmT2_T3_T4_T5_mT6_T7_P12ihipStream_tbENKUlT_T0_E_clISt17integral_constantIbLb1EESX_EEDaSS_ST_EUlSS_E_NS1_11comp_targetILNS1_3genE2ELNS1_11target_archE906ELNS1_3gpuE6ELNS1_3repE0EEENS1_30default_config_static_selectorELNS0_4arch9wavefront6targetE1EEEvT1_,comdat
	.protected	_ZN7rocprim17ROCPRIM_400000_NS6detail17trampoline_kernelINS0_14default_configENS1_27scan_by_key_config_selectorIllEEZZNS1_16scan_by_key_implILNS1_25lookback_scan_determinismE0ELb0ES3_PKlN6hipcub16HIPCUB_304000_NS21ConstantInputIteratorIllEEPllNSB_3SumENSB_8EqualityElEE10hipError_tPvRmT2_T3_T4_T5_mT6_T7_P12ihipStream_tbENKUlT_T0_E_clISt17integral_constantIbLb1EESX_EEDaSS_ST_EUlSS_E_NS1_11comp_targetILNS1_3genE2ELNS1_11target_archE906ELNS1_3gpuE6ELNS1_3repE0EEENS1_30default_config_static_selectorELNS0_4arch9wavefront6targetE1EEEvT1_ ; -- Begin function _ZN7rocprim17ROCPRIM_400000_NS6detail17trampoline_kernelINS0_14default_configENS1_27scan_by_key_config_selectorIllEEZZNS1_16scan_by_key_implILNS1_25lookback_scan_determinismE0ELb0ES3_PKlN6hipcub16HIPCUB_304000_NS21ConstantInputIteratorIllEEPllNSB_3SumENSB_8EqualityElEE10hipError_tPvRmT2_T3_T4_T5_mT6_T7_P12ihipStream_tbENKUlT_T0_E_clISt17integral_constantIbLb1EESX_EEDaSS_ST_EUlSS_E_NS1_11comp_targetILNS1_3genE2ELNS1_11target_archE906ELNS1_3gpuE6ELNS1_3repE0EEENS1_30default_config_static_selectorELNS0_4arch9wavefront6targetE1EEEvT1_
	.globl	_ZN7rocprim17ROCPRIM_400000_NS6detail17trampoline_kernelINS0_14default_configENS1_27scan_by_key_config_selectorIllEEZZNS1_16scan_by_key_implILNS1_25lookback_scan_determinismE0ELb0ES3_PKlN6hipcub16HIPCUB_304000_NS21ConstantInputIteratorIllEEPllNSB_3SumENSB_8EqualityElEE10hipError_tPvRmT2_T3_T4_T5_mT6_T7_P12ihipStream_tbENKUlT_T0_E_clISt17integral_constantIbLb1EESX_EEDaSS_ST_EUlSS_E_NS1_11comp_targetILNS1_3genE2ELNS1_11target_archE906ELNS1_3gpuE6ELNS1_3repE0EEENS1_30default_config_static_selectorELNS0_4arch9wavefront6targetE1EEEvT1_
	.p2align	8
	.type	_ZN7rocprim17ROCPRIM_400000_NS6detail17trampoline_kernelINS0_14default_configENS1_27scan_by_key_config_selectorIllEEZZNS1_16scan_by_key_implILNS1_25lookback_scan_determinismE0ELb0ES3_PKlN6hipcub16HIPCUB_304000_NS21ConstantInputIteratorIllEEPllNSB_3SumENSB_8EqualityElEE10hipError_tPvRmT2_T3_T4_T5_mT6_T7_P12ihipStream_tbENKUlT_T0_E_clISt17integral_constantIbLb1EESX_EEDaSS_ST_EUlSS_E_NS1_11comp_targetILNS1_3genE2ELNS1_11target_archE906ELNS1_3gpuE6ELNS1_3repE0EEENS1_30default_config_static_selectorELNS0_4arch9wavefront6targetE1EEEvT1_,@function
_ZN7rocprim17ROCPRIM_400000_NS6detail17trampoline_kernelINS0_14default_configENS1_27scan_by_key_config_selectorIllEEZZNS1_16scan_by_key_implILNS1_25lookback_scan_determinismE0ELb0ES3_PKlN6hipcub16HIPCUB_304000_NS21ConstantInputIteratorIllEEPllNSB_3SumENSB_8EqualityElEE10hipError_tPvRmT2_T3_T4_T5_mT6_T7_P12ihipStream_tbENKUlT_T0_E_clISt17integral_constantIbLb1EESX_EEDaSS_ST_EUlSS_E_NS1_11comp_targetILNS1_3genE2ELNS1_11target_archE906ELNS1_3gpuE6ELNS1_3repE0EEENS1_30default_config_static_selectorELNS0_4arch9wavefront6targetE1EEEvT1_: ; @_ZN7rocprim17ROCPRIM_400000_NS6detail17trampoline_kernelINS0_14default_configENS1_27scan_by_key_config_selectorIllEEZZNS1_16scan_by_key_implILNS1_25lookback_scan_determinismE0ELb0ES3_PKlN6hipcub16HIPCUB_304000_NS21ConstantInputIteratorIllEEPllNSB_3SumENSB_8EqualityElEE10hipError_tPvRmT2_T3_T4_T5_mT6_T7_P12ihipStream_tbENKUlT_T0_E_clISt17integral_constantIbLb1EESX_EEDaSS_ST_EUlSS_E_NS1_11comp_targetILNS1_3genE2ELNS1_11target_archE906ELNS1_3gpuE6ELNS1_3repE0EEENS1_30default_config_static_selectorELNS0_4arch9wavefront6targetE1EEEvT1_
; %bb.0:
	.section	.rodata,"a",@progbits
	.p2align	6, 0x0
	.amdhsa_kernel _ZN7rocprim17ROCPRIM_400000_NS6detail17trampoline_kernelINS0_14default_configENS1_27scan_by_key_config_selectorIllEEZZNS1_16scan_by_key_implILNS1_25lookback_scan_determinismE0ELb0ES3_PKlN6hipcub16HIPCUB_304000_NS21ConstantInputIteratorIllEEPllNSB_3SumENSB_8EqualityElEE10hipError_tPvRmT2_T3_T4_T5_mT6_T7_P12ihipStream_tbENKUlT_T0_E_clISt17integral_constantIbLb1EESX_EEDaSS_ST_EUlSS_E_NS1_11comp_targetILNS1_3genE2ELNS1_11target_archE906ELNS1_3gpuE6ELNS1_3repE0EEENS1_30default_config_static_selectorELNS0_4arch9wavefront6targetE1EEEvT1_
		.amdhsa_group_segment_fixed_size 0
		.amdhsa_private_segment_fixed_size 0
		.amdhsa_kernarg_size 144
		.amdhsa_user_sgpr_count 2
		.amdhsa_user_sgpr_dispatch_ptr 0
		.amdhsa_user_sgpr_queue_ptr 0
		.amdhsa_user_sgpr_kernarg_segment_ptr 1
		.amdhsa_user_sgpr_dispatch_id 0
		.amdhsa_user_sgpr_kernarg_preload_length 0
		.amdhsa_user_sgpr_kernarg_preload_offset 0
		.amdhsa_user_sgpr_private_segment_size 0
		.amdhsa_uses_dynamic_stack 0
		.amdhsa_enable_private_segment 0
		.amdhsa_system_sgpr_workgroup_id_x 1
		.amdhsa_system_sgpr_workgroup_id_y 0
		.amdhsa_system_sgpr_workgroup_id_z 0
		.amdhsa_system_sgpr_workgroup_info 0
		.amdhsa_system_vgpr_workitem_id 0
		.amdhsa_next_free_vgpr 1
		.amdhsa_next_free_sgpr 0
		.amdhsa_accum_offset 4
		.amdhsa_reserve_vcc 0
		.amdhsa_float_round_mode_32 0
		.amdhsa_float_round_mode_16_64 0
		.amdhsa_float_denorm_mode_32 3
		.amdhsa_float_denorm_mode_16_64 3
		.amdhsa_dx10_clamp 1
		.amdhsa_ieee_mode 1
		.amdhsa_fp16_overflow 0
		.amdhsa_tg_split 0
		.amdhsa_exception_fp_ieee_invalid_op 0
		.amdhsa_exception_fp_denorm_src 0
		.amdhsa_exception_fp_ieee_div_zero 0
		.amdhsa_exception_fp_ieee_overflow 0
		.amdhsa_exception_fp_ieee_underflow 0
		.amdhsa_exception_fp_ieee_inexact 0
		.amdhsa_exception_int_div_zero 0
	.end_amdhsa_kernel
	.section	.text._ZN7rocprim17ROCPRIM_400000_NS6detail17trampoline_kernelINS0_14default_configENS1_27scan_by_key_config_selectorIllEEZZNS1_16scan_by_key_implILNS1_25lookback_scan_determinismE0ELb0ES3_PKlN6hipcub16HIPCUB_304000_NS21ConstantInputIteratorIllEEPllNSB_3SumENSB_8EqualityElEE10hipError_tPvRmT2_T3_T4_T5_mT6_T7_P12ihipStream_tbENKUlT_T0_E_clISt17integral_constantIbLb1EESX_EEDaSS_ST_EUlSS_E_NS1_11comp_targetILNS1_3genE2ELNS1_11target_archE906ELNS1_3gpuE6ELNS1_3repE0EEENS1_30default_config_static_selectorELNS0_4arch9wavefront6targetE1EEEvT1_,"axG",@progbits,_ZN7rocprim17ROCPRIM_400000_NS6detail17trampoline_kernelINS0_14default_configENS1_27scan_by_key_config_selectorIllEEZZNS1_16scan_by_key_implILNS1_25lookback_scan_determinismE0ELb0ES3_PKlN6hipcub16HIPCUB_304000_NS21ConstantInputIteratorIllEEPllNSB_3SumENSB_8EqualityElEE10hipError_tPvRmT2_T3_T4_T5_mT6_T7_P12ihipStream_tbENKUlT_T0_E_clISt17integral_constantIbLb1EESX_EEDaSS_ST_EUlSS_E_NS1_11comp_targetILNS1_3genE2ELNS1_11target_archE906ELNS1_3gpuE6ELNS1_3repE0EEENS1_30default_config_static_selectorELNS0_4arch9wavefront6targetE1EEEvT1_,comdat
.Lfunc_end110:
	.size	_ZN7rocprim17ROCPRIM_400000_NS6detail17trampoline_kernelINS0_14default_configENS1_27scan_by_key_config_selectorIllEEZZNS1_16scan_by_key_implILNS1_25lookback_scan_determinismE0ELb0ES3_PKlN6hipcub16HIPCUB_304000_NS21ConstantInputIteratorIllEEPllNSB_3SumENSB_8EqualityElEE10hipError_tPvRmT2_T3_T4_T5_mT6_T7_P12ihipStream_tbENKUlT_T0_E_clISt17integral_constantIbLb1EESX_EEDaSS_ST_EUlSS_E_NS1_11comp_targetILNS1_3genE2ELNS1_11target_archE906ELNS1_3gpuE6ELNS1_3repE0EEENS1_30default_config_static_selectorELNS0_4arch9wavefront6targetE1EEEvT1_, .Lfunc_end110-_ZN7rocprim17ROCPRIM_400000_NS6detail17trampoline_kernelINS0_14default_configENS1_27scan_by_key_config_selectorIllEEZZNS1_16scan_by_key_implILNS1_25lookback_scan_determinismE0ELb0ES3_PKlN6hipcub16HIPCUB_304000_NS21ConstantInputIteratorIllEEPllNSB_3SumENSB_8EqualityElEE10hipError_tPvRmT2_T3_T4_T5_mT6_T7_P12ihipStream_tbENKUlT_T0_E_clISt17integral_constantIbLb1EESX_EEDaSS_ST_EUlSS_E_NS1_11comp_targetILNS1_3genE2ELNS1_11target_archE906ELNS1_3gpuE6ELNS1_3repE0EEENS1_30default_config_static_selectorELNS0_4arch9wavefront6targetE1EEEvT1_
                                        ; -- End function
	.set _ZN7rocprim17ROCPRIM_400000_NS6detail17trampoline_kernelINS0_14default_configENS1_27scan_by_key_config_selectorIllEEZZNS1_16scan_by_key_implILNS1_25lookback_scan_determinismE0ELb0ES3_PKlN6hipcub16HIPCUB_304000_NS21ConstantInputIteratorIllEEPllNSB_3SumENSB_8EqualityElEE10hipError_tPvRmT2_T3_T4_T5_mT6_T7_P12ihipStream_tbENKUlT_T0_E_clISt17integral_constantIbLb1EESX_EEDaSS_ST_EUlSS_E_NS1_11comp_targetILNS1_3genE2ELNS1_11target_archE906ELNS1_3gpuE6ELNS1_3repE0EEENS1_30default_config_static_selectorELNS0_4arch9wavefront6targetE1EEEvT1_.num_vgpr, 0
	.set _ZN7rocprim17ROCPRIM_400000_NS6detail17trampoline_kernelINS0_14default_configENS1_27scan_by_key_config_selectorIllEEZZNS1_16scan_by_key_implILNS1_25lookback_scan_determinismE0ELb0ES3_PKlN6hipcub16HIPCUB_304000_NS21ConstantInputIteratorIllEEPllNSB_3SumENSB_8EqualityElEE10hipError_tPvRmT2_T3_T4_T5_mT6_T7_P12ihipStream_tbENKUlT_T0_E_clISt17integral_constantIbLb1EESX_EEDaSS_ST_EUlSS_E_NS1_11comp_targetILNS1_3genE2ELNS1_11target_archE906ELNS1_3gpuE6ELNS1_3repE0EEENS1_30default_config_static_selectorELNS0_4arch9wavefront6targetE1EEEvT1_.num_agpr, 0
	.set _ZN7rocprim17ROCPRIM_400000_NS6detail17trampoline_kernelINS0_14default_configENS1_27scan_by_key_config_selectorIllEEZZNS1_16scan_by_key_implILNS1_25lookback_scan_determinismE0ELb0ES3_PKlN6hipcub16HIPCUB_304000_NS21ConstantInputIteratorIllEEPllNSB_3SumENSB_8EqualityElEE10hipError_tPvRmT2_T3_T4_T5_mT6_T7_P12ihipStream_tbENKUlT_T0_E_clISt17integral_constantIbLb1EESX_EEDaSS_ST_EUlSS_E_NS1_11comp_targetILNS1_3genE2ELNS1_11target_archE906ELNS1_3gpuE6ELNS1_3repE0EEENS1_30default_config_static_selectorELNS0_4arch9wavefront6targetE1EEEvT1_.numbered_sgpr, 0
	.set _ZN7rocprim17ROCPRIM_400000_NS6detail17trampoline_kernelINS0_14default_configENS1_27scan_by_key_config_selectorIllEEZZNS1_16scan_by_key_implILNS1_25lookback_scan_determinismE0ELb0ES3_PKlN6hipcub16HIPCUB_304000_NS21ConstantInputIteratorIllEEPllNSB_3SumENSB_8EqualityElEE10hipError_tPvRmT2_T3_T4_T5_mT6_T7_P12ihipStream_tbENKUlT_T0_E_clISt17integral_constantIbLb1EESX_EEDaSS_ST_EUlSS_E_NS1_11comp_targetILNS1_3genE2ELNS1_11target_archE906ELNS1_3gpuE6ELNS1_3repE0EEENS1_30default_config_static_selectorELNS0_4arch9wavefront6targetE1EEEvT1_.num_named_barrier, 0
	.set _ZN7rocprim17ROCPRIM_400000_NS6detail17trampoline_kernelINS0_14default_configENS1_27scan_by_key_config_selectorIllEEZZNS1_16scan_by_key_implILNS1_25lookback_scan_determinismE0ELb0ES3_PKlN6hipcub16HIPCUB_304000_NS21ConstantInputIteratorIllEEPllNSB_3SumENSB_8EqualityElEE10hipError_tPvRmT2_T3_T4_T5_mT6_T7_P12ihipStream_tbENKUlT_T0_E_clISt17integral_constantIbLb1EESX_EEDaSS_ST_EUlSS_E_NS1_11comp_targetILNS1_3genE2ELNS1_11target_archE906ELNS1_3gpuE6ELNS1_3repE0EEENS1_30default_config_static_selectorELNS0_4arch9wavefront6targetE1EEEvT1_.private_seg_size, 0
	.set _ZN7rocprim17ROCPRIM_400000_NS6detail17trampoline_kernelINS0_14default_configENS1_27scan_by_key_config_selectorIllEEZZNS1_16scan_by_key_implILNS1_25lookback_scan_determinismE0ELb0ES3_PKlN6hipcub16HIPCUB_304000_NS21ConstantInputIteratorIllEEPllNSB_3SumENSB_8EqualityElEE10hipError_tPvRmT2_T3_T4_T5_mT6_T7_P12ihipStream_tbENKUlT_T0_E_clISt17integral_constantIbLb1EESX_EEDaSS_ST_EUlSS_E_NS1_11comp_targetILNS1_3genE2ELNS1_11target_archE906ELNS1_3gpuE6ELNS1_3repE0EEENS1_30default_config_static_selectorELNS0_4arch9wavefront6targetE1EEEvT1_.uses_vcc, 0
	.set _ZN7rocprim17ROCPRIM_400000_NS6detail17trampoline_kernelINS0_14default_configENS1_27scan_by_key_config_selectorIllEEZZNS1_16scan_by_key_implILNS1_25lookback_scan_determinismE0ELb0ES3_PKlN6hipcub16HIPCUB_304000_NS21ConstantInputIteratorIllEEPllNSB_3SumENSB_8EqualityElEE10hipError_tPvRmT2_T3_T4_T5_mT6_T7_P12ihipStream_tbENKUlT_T0_E_clISt17integral_constantIbLb1EESX_EEDaSS_ST_EUlSS_E_NS1_11comp_targetILNS1_3genE2ELNS1_11target_archE906ELNS1_3gpuE6ELNS1_3repE0EEENS1_30default_config_static_selectorELNS0_4arch9wavefront6targetE1EEEvT1_.uses_flat_scratch, 0
	.set _ZN7rocprim17ROCPRIM_400000_NS6detail17trampoline_kernelINS0_14default_configENS1_27scan_by_key_config_selectorIllEEZZNS1_16scan_by_key_implILNS1_25lookback_scan_determinismE0ELb0ES3_PKlN6hipcub16HIPCUB_304000_NS21ConstantInputIteratorIllEEPllNSB_3SumENSB_8EqualityElEE10hipError_tPvRmT2_T3_T4_T5_mT6_T7_P12ihipStream_tbENKUlT_T0_E_clISt17integral_constantIbLb1EESX_EEDaSS_ST_EUlSS_E_NS1_11comp_targetILNS1_3genE2ELNS1_11target_archE906ELNS1_3gpuE6ELNS1_3repE0EEENS1_30default_config_static_selectorELNS0_4arch9wavefront6targetE1EEEvT1_.has_dyn_sized_stack, 0
	.set _ZN7rocprim17ROCPRIM_400000_NS6detail17trampoline_kernelINS0_14default_configENS1_27scan_by_key_config_selectorIllEEZZNS1_16scan_by_key_implILNS1_25lookback_scan_determinismE0ELb0ES3_PKlN6hipcub16HIPCUB_304000_NS21ConstantInputIteratorIllEEPllNSB_3SumENSB_8EqualityElEE10hipError_tPvRmT2_T3_T4_T5_mT6_T7_P12ihipStream_tbENKUlT_T0_E_clISt17integral_constantIbLb1EESX_EEDaSS_ST_EUlSS_E_NS1_11comp_targetILNS1_3genE2ELNS1_11target_archE906ELNS1_3gpuE6ELNS1_3repE0EEENS1_30default_config_static_selectorELNS0_4arch9wavefront6targetE1EEEvT1_.has_recursion, 0
	.set _ZN7rocprim17ROCPRIM_400000_NS6detail17trampoline_kernelINS0_14default_configENS1_27scan_by_key_config_selectorIllEEZZNS1_16scan_by_key_implILNS1_25lookback_scan_determinismE0ELb0ES3_PKlN6hipcub16HIPCUB_304000_NS21ConstantInputIteratorIllEEPllNSB_3SumENSB_8EqualityElEE10hipError_tPvRmT2_T3_T4_T5_mT6_T7_P12ihipStream_tbENKUlT_T0_E_clISt17integral_constantIbLb1EESX_EEDaSS_ST_EUlSS_E_NS1_11comp_targetILNS1_3genE2ELNS1_11target_archE906ELNS1_3gpuE6ELNS1_3repE0EEENS1_30default_config_static_selectorELNS0_4arch9wavefront6targetE1EEEvT1_.has_indirect_call, 0
	.section	.AMDGPU.csdata,"",@progbits
; Kernel info:
; codeLenInByte = 0
; TotalNumSgprs: 6
; NumVgprs: 0
; NumAgprs: 0
; TotalNumVgprs: 0
; ScratchSize: 0
; MemoryBound: 0
; FloatMode: 240
; IeeeMode: 1
; LDSByteSize: 0 bytes/workgroup (compile time only)
; SGPRBlocks: 0
; VGPRBlocks: 0
; NumSGPRsForWavesPerEU: 6
; NumVGPRsForWavesPerEU: 1
; AccumOffset: 4
; Occupancy: 8
; WaveLimiterHint : 0
; COMPUTE_PGM_RSRC2:SCRATCH_EN: 0
; COMPUTE_PGM_RSRC2:USER_SGPR: 2
; COMPUTE_PGM_RSRC2:TRAP_HANDLER: 0
; COMPUTE_PGM_RSRC2:TGID_X_EN: 1
; COMPUTE_PGM_RSRC2:TGID_Y_EN: 0
; COMPUTE_PGM_RSRC2:TGID_Z_EN: 0
; COMPUTE_PGM_RSRC2:TIDIG_COMP_CNT: 0
; COMPUTE_PGM_RSRC3_GFX90A:ACCUM_OFFSET: 0
; COMPUTE_PGM_RSRC3_GFX90A:TG_SPLIT: 0
	.section	.text._ZN7rocprim17ROCPRIM_400000_NS6detail17trampoline_kernelINS0_14default_configENS1_27scan_by_key_config_selectorIllEEZZNS1_16scan_by_key_implILNS1_25lookback_scan_determinismE0ELb0ES3_PKlN6hipcub16HIPCUB_304000_NS21ConstantInputIteratorIllEEPllNSB_3SumENSB_8EqualityElEE10hipError_tPvRmT2_T3_T4_T5_mT6_T7_P12ihipStream_tbENKUlT_T0_E_clISt17integral_constantIbLb1EESX_EEDaSS_ST_EUlSS_E_NS1_11comp_targetILNS1_3genE10ELNS1_11target_archE1200ELNS1_3gpuE4ELNS1_3repE0EEENS1_30default_config_static_selectorELNS0_4arch9wavefront6targetE1EEEvT1_,"axG",@progbits,_ZN7rocprim17ROCPRIM_400000_NS6detail17trampoline_kernelINS0_14default_configENS1_27scan_by_key_config_selectorIllEEZZNS1_16scan_by_key_implILNS1_25lookback_scan_determinismE0ELb0ES3_PKlN6hipcub16HIPCUB_304000_NS21ConstantInputIteratorIllEEPllNSB_3SumENSB_8EqualityElEE10hipError_tPvRmT2_T3_T4_T5_mT6_T7_P12ihipStream_tbENKUlT_T0_E_clISt17integral_constantIbLb1EESX_EEDaSS_ST_EUlSS_E_NS1_11comp_targetILNS1_3genE10ELNS1_11target_archE1200ELNS1_3gpuE4ELNS1_3repE0EEENS1_30default_config_static_selectorELNS0_4arch9wavefront6targetE1EEEvT1_,comdat
	.protected	_ZN7rocprim17ROCPRIM_400000_NS6detail17trampoline_kernelINS0_14default_configENS1_27scan_by_key_config_selectorIllEEZZNS1_16scan_by_key_implILNS1_25lookback_scan_determinismE0ELb0ES3_PKlN6hipcub16HIPCUB_304000_NS21ConstantInputIteratorIllEEPllNSB_3SumENSB_8EqualityElEE10hipError_tPvRmT2_T3_T4_T5_mT6_T7_P12ihipStream_tbENKUlT_T0_E_clISt17integral_constantIbLb1EESX_EEDaSS_ST_EUlSS_E_NS1_11comp_targetILNS1_3genE10ELNS1_11target_archE1200ELNS1_3gpuE4ELNS1_3repE0EEENS1_30default_config_static_selectorELNS0_4arch9wavefront6targetE1EEEvT1_ ; -- Begin function _ZN7rocprim17ROCPRIM_400000_NS6detail17trampoline_kernelINS0_14default_configENS1_27scan_by_key_config_selectorIllEEZZNS1_16scan_by_key_implILNS1_25lookback_scan_determinismE0ELb0ES3_PKlN6hipcub16HIPCUB_304000_NS21ConstantInputIteratorIllEEPllNSB_3SumENSB_8EqualityElEE10hipError_tPvRmT2_T3_T4_T5_mT6_T7_P12ihipStream_tbENKUlT_T0_E_clISt17integral_constantIbLb1EESX_EEDaSS_ST_EUlSS_E_NS1_11comp_targetILNS1_3genE10ELNS1_11target_archE1200ELNS1_3gpuE4ELNS1_3repE0EEENS1_30default_config_static_selectorELNS0_4arch9wavefront6targetE1EEEvT1_
	.globl	_ZN7rocprim17ROCPRIM_400000_NS6detail17trampoline_kernelINS0_14default_configENS1_27scan_by_key_config_selectorIllEEZZNS1_16scan_by_key_implILNS1_25lookback_scan_determinismE0ELb0ES3_PKlN6hipcub16HIPCUB_304000_NS21ConstantInputIteratorIllEEPllNSB_3SumENSB_8EqualityElEE10hipError_tPvRmT2_T3_T4_T5_mT6_T7_P12ihipStream_tbENKUlT_T0_E_clISt17integral_constantIbLb1EESX_EEDaSS_ST_EUlSS_E_NS1_11comp_targetILNS1_3genE10ELNS1_11target_archE1200ELNS1_3gpuE4ELNS1_3repE0EEENS1_30default_config_static_selectorELNS0_4arch9wavefront6targetE1EEEvT1_
	.p2align	8
	.type	_ZN7rocprim17ROCPRIM_400000_NS6detail17trampoline_kernelINS0_14default_configENS1_27scan_by_key_config_selectorIllEEZZNS1_16scan_by_key_implILNS1_25lookback_scan_determinismE0ELb0ES3_PKlN6hipcub16HIPCUB_304000_NS21ConstantInputIteratorIllEEPllNSB_3SumENSB_8EqualityElEE10hipError_tPvRmT2_T3_T4_T5_mT6_T7_P12ihipStream_tbENKUlT_T0_E_clISt17integral_constantIbLb1EESX_EEDaSS_ST_EUlSS_E_NS1_11comp_targetILNS1_3genE10ELNS1_11target_archE1200ELNS1_3gpuE4ELNS1_3repE0EEENS1_30default_config_static_selectorELNS0_4arch9wavefront6targetE1EEEvT1_,@function
_ZN7rocprim17ROCPRIM_400000_NS6detail17trampoline_kernelINS0_14default_configENS1_27scan_by_key_config_selectorIllEEZZNS1_16scan_by_key_implILNS1_25lookback_scan_determinismE0ELb0ES3_PKlN6hipcub16HIPCUB_304000_NS21ConstantInputIteratorIllEEPllNSB_3SumENSB_8EqualityElEE10hipError_tPvRmT2_T3_T4_T5_mT6_T7_P12ihipStream_tbENKUlT_T0_E_clISt17integral_constantIbLb1EESX_EEDaSS_ST_EUlSS_E_NS1_11comp_targetILNS1_3genE10ELNS1_11target_archE1200ELNS1_3gpuE4ELNS1_3repE0EEENS1_30default_config_static_selectorELNS0_4arch9wavefront6targetE1EEEvT1_: ; @_ZN7rocprim17ROCPRIM_400000_NS6detail17trampoline_kernelINS0_14default_configENS1_27scan_by_key_config_selectorIllEEZZNS1_16scan_by_key_implILNS1_25lookback_scan_determinismE0ELb0ES3_PKlN6hipcub16HIPCUB_304000_NS21ConstantInputIteratorIllEEPllNSB_3SumENSB_8EqualityElEE10hipError_tPvRmT2_T3_T4_T5_mT6_T7_P12ihipStream_tbENKUlT_T0_E_clISt17integral_constantIbLb1EESX_EEDaSS_ST_EUlSS_E_NS1_11comp_targetILNS1_3genE10ELNS1_11target_archE1200ELNS1_3gpuE4ELNS1_3repE0EEENS1_30default_config_static_selectorELNS0_4arch9wavefront6targetE1EEEvT1_
; %bb.0:
	.section	.rodata,"a",@progbits
	.p2align	6, 0x0
	.amdhsa_kernel _ZN7rocprim17ROCPRIM_400000_NS6detail17trampoline_kernelINS0_14default_configENS1_27scan_by_key_config_selectorIllEEZZNS1_16scan_by_key_implILNS1_25lookback_scan_determinismE0ELb0ES3_PKlN6hipcub16HIPCUB_304000_NS21ConstantInputIteratorIllEEPllNSB_3SumENSB_8EqualityElEE10hipError_tPvRmT2_T3_T4_T5_mT6_T7_P12ihipStream_tbENKUlT_T0_E_clISt17integral_constantIbLb1EESX_EEDaSS_ST_EUlSS_E_NS1_11comp_targetILNS1_3genE10ELNS1_11target_archE1200ELNS1_3gpuE4ELNS1_3repE0EEENS1_30default_config_static_selectorELNS0_4arch9wavefront6targetE1EEEvT1_
		.amdhsa_group_segment_fixed_size 0
		.amdhsa_private_segment_fixed_size 0
		.amdhsa_kernarg_size 144
		.amdhsa_user_sgpr_count 2
		.amdhsa_user_sgpr_dispatch_ptr 0
		.amdhsa_user_sgpr_queue_ptr 0
		.amdhsa_user_sgpr_kernarg_segment_ptr 1
		.amdhsa_user_sgpr_dispatch_id 0
		.amdhsa_user_sgpr_kernarg_preload_length 0
		.amdhsa_user_sgpr_kernarg_preload_offset 0
		.amdhsa_user_sgpr_private_segment_size 0
		.amdhsa_uses_dynamic_stack 0
		.amdhsa_enable_private_segment 0
		.amdhsa_system_sgpr_workgroup_id_x 1
		.amdhsa_system_sgpr_workgroup_id_y 0
		.amdhsa_system_sgpr_workgroup_id_z 0
		.amdhsa_system_sgpr_workgroup_info 0
		.amdhsa_system_vgpr_workitem_id 0
		.amdhsa_next_free_vgpr 1
		.amdhsa_next_free_sgpr 0
		.amdhsa_accum_offset 4
		.amdhsa_reserve_vcc 0
		.amdhsa_float_round_mode_32 0
		.amdhsa_float_round_mode_16_64 0
		.amdhsa_float_denorm_mode_32 3
		.amdhsa_float_denorm_mode_16_64 3
		.amdhsa_dx10_clamp 1
		.amdhsa_ieee_mode 1
		.amdhsa_fp16_overflow 0
		.amdhsa_tg_split 0
		.amdhsa_exception_fp_ieee_invalid_op 0
		.amdhsa_exception_fp_denorm_src 0
		.amdhsa_exception_fp_ieee_div_zero 0
		.amdhsa_exception_fp_ieee_overflow 0
		.amdhsa_exception_fp_ieee_underflow 0
		.amdhsa_exception_fp_ieee_inexact 0
		.amdhsa_exception_int_div_zero 0
	.end_amdhsa_kernel
	.section	.text._ZN7rocprim17ROCPRIM_400000_NS6detail17trampoline_kernelINS0_14default_configENS1_27scan_by_key_config_selectorIllEEZZNS1_16scan_by_key_implILNS1_25lookback_scan_determinismE0ELb0ES3_PKlN6hipcub16HIPCUB_304000_NS21ConstantInputIteratorIllEEPllNSB_3SumENSB_8EqualityElEE10hipError_tPvRmT2_T3_T4_T5_mT6_T7_P12ihipStream_tbENKUlT_T0_E_clISt17integral_constantIbLb1EESX_EEDaSS_ST_EUlSS_E_NS1_11comp_targetILNS1_3genE10ELNS1_11target_archE1200ELNS1_3gpuE4ELNS1_3repE0EEENS1_30default_config_static_selectorELNS0_4arch9wavefront6targetE1EEEvT1_,"axG",@progbits,_ZN7rocprim17ROCPRIM_400000_NS6detail17trampoline_kernelINS0_14default_configENS1_27scan_by_key_config_selectorIllEEZZNS1_16scan_by_key_implILNS1_25lookback_scan_determinismE0ELb0ES3_PKlN6hipcub16HIPCUB_304000_NS21ConstantInputIteratorIllEEPllNSB_3SumENSB_8EqualityElEE10hipError_tPvRmT2_T3_T4_T5_mT6_T7_P12ihipStream_tbENKUlT_T0_E_clISt17integral_constantIbLb1EESX_EEDaSS_ST_EUlSS_E_NS1_11comp_targetILNS1_3genE10ELNS1_11target_archE1200ELNS1_3gpuE4ELNS1_3repE0EEENS1_30default_config_static_selectorELNS0_4arch9wavefront6targetE1EEEvT1_,comdat
.Lfunc_end111:
	.size	_ZN7rocprim17ROCPRIM_400000_NS6detail17trampoline_kernelINS0_14default_configENS1_27scan_by_key_config_selectorIllEEZZNS1_16scan_by_key_implILNS1_25lookback_scan_determinismE0ELb0ES3_PKlN6hipcub16HIPCUB_304000_NS21ConstantInputIteratorIllEEPllNSB_3SumENSB_8EqualityElEE10hipError_tPvRmT2_T3_T4_T5_mT6_T7_P12ihipStream_tbENKUlT_T0_E_clISt17integral_constantIbLb1EESX_EEDaSS_ST_EUlSS_E_NS1_11comp_targetILNS1_3genE10ELNS1_11target_archE1200ELNS1_3gpuE4ELNS1_3repE0EEENS1_30default_config_static_selectorELNS0_4arch9wavefront6targetE1EEEvT1_, .Lfunc_end111-_ZN7rocprim17ROCPRIM_400000_NS6detail17trampoline_kernelINS0_14default_configENS1_27scan_by_key_config_selectorIllEEZZNS1_16scan_by_key_implILNS1_25lookback_scan_determinismE0ELb0ES3_PKlN6hipcub16HIPCUB_304000_NS21ConstantInputIteratorIllEEPllNSB_3SumENSB_8EqualityElEE10hipError_tPvRmT2_T3_T4_T5_mT6_T7_P12ihipStream_tbENKUlT_T0_E_clISt17integral_constantIbLb1EESX_EEDaSS_ST_EUlSS_E_NS1_11comp_targetILNS1_3genE10ELNS1_11target_archE1200ELNS1_3gpuE4ELNS1_3repE0EEENS1_30default_config_static_selectorELNS0_4arch9wavefront6targetE1EEEvT1_
                                        ; -- End function
	.set _ZN7rocprim17ROCPRIM_400000_NS6detail17trampoline_kernelINS0_14default_configENS1_27scan_by_key_config_selectorIllEEZZNS1_16scan_by_key_implILNS1_25lookback_scan_determinismE0ELb0ES3_PKlN6hipcub16HIPCUB_304000_NS21ConstantInputIteratorIllEEPllNSB_3SumENSB_8EqualityElEE10hipError_tPvRmT2_T3_T4_T5_mT6_T7_P12ihipStream_tbENKUlT_T0_E_clISt17integral_constantIbLb1EESX_EEDaSS_ST_EUlSS_E_NS1_11comp_targetILNS1_3genE10ELNS1_11target_archE1200ELNS1_3gpuE4ELNS1_3repE0EEENS1_30default_config_static_selectorELNS0_4arch9wavefront6targetE1EEEvT1_.num_vgpr, 0
	.set _ZN7rocprim17ROCPRIM_400000_NS6detail17trampoline_kernelINS0_14default_configENS1_27scan_by_key_config_selectorIllEEZZNS1_16scan_by_key_implILNS1_25lookback_scan_determinismE0ELb0ES3_PKlN6hipcub16HIPCUB_304000_NS21ConstantInputIteratorIllEEPllNSB_3SumENSB_8EqualityElEE10hipError_tPvRmT2_T3_T4_T5_mT6_T7_P12ihipStream_tbENKUlT_T0_E_clISt17integral_constantIbLb1EESX_EEDaSS_ST_EUlSS_E_NS1_11comp_targetILNS1_3genE10ELNS1_11target_archE1200ELNS1_3gpuE4ELNS1_3repE0EEENS1_30default_config_static_selectorELNS0_4arch9wavefront6targetE1EEEvT1_.num_agpr, 0
	.set _ZN7rocprim17ROCPRIM_400000_NS6detail17trampoline_kernelINS0_14default_configENS1_27scan_by_key_config_selectorIllEEZZNS1_16scan_by_key_implILNS1_25lookback_scan_determinismE0ELb0ES3_PKlN6hipcub16HIPCUB_304000_NS21ConstantInputIteratorIllEEPllNSB_3SumENSB_8EqualityElEE10hipError_tPvRmT2_T3_T4_T5_mT6_T7_P12ihipStream_tbENKUlT_T0_E_clISt17integral_constantIbLb1EESX_EEDaSS_ST_EUlSS_E_NS1_11comp_targetILNS1_3genE10ELNS1_11target_archE1200ELNS1_3gpuE4ELNS1_3repE0EEENS1_30default_config_static_selectorELNS0_4arch9wavefront6targetE1EEEvT1_.numbered_sgpr, 0
	.set _ZN7rocprim17ROCPRIM_400000_NS6detail17trampoline_kernelINS0_14default_configENS1_27scan_by_key_config_selectorIllEEZZNS1_16scan_by_key_implILNS1_25lookback_scan_determinismE0ELb0ES3_PKlN6hipcub16HIPCUB_304000_NS21ConstantInputIteratorIllEEPllNSB_3SumENSB_8EqualityElEE10hipError_tPvRmT2_T3_T4_T5_mT6_T7_P12ihipStream_tbENKUlT_T0_E_clISt17integral_constantIbLb1EESX_EEDaSS_ST_EUlSS_E_NS1_11comp_targetILNS1_3genE10ELNS1_11target_archE1200ELNS1_3gpuE4ELNS1_3repE0EEENS1_30default_config_static_selectorELNS0_4arch9wavefront6targetE1EEEvT1_.num_named_barrier, 0
	.set _ZN7rocprim17ROCPRIM_400000_NS6detail17trampoline_kernelINS0_14default_configENS1_27scan_by_key_config_selectorIllEEZZNS1_16scan_by_key_implILNS1_25lookback_scan_determinismE0ELb0ES3_PKlN6hipcub16HIPCUB_304000_NS21ConstantInputIteratorIllEEPllNSB_3SumENSB_8EqualityElEE10hipError_tPvRmT2_T3_T4_T5_mT6_T7_P12ihipStream_tbENKUlT_T0_E_clISt17integral_constantIbLb1EESX_EEDaSS_ST_EUlSS_E_NS1_11comp_targetILNS1_3genE10ELNS1_11target_archE1200ELNS1_3gpuE4ELNS1_3repE0EEENS1_30default_config_static_selectorELNS0_4arch9wavefront6targetE1EEEvT1_.private_seg_size, 0
	.set _ZN7rocprim17ROCPRIM_400000_NS6detail17trampoline_kernelINS0_14default_configENS1_27scan_by_key_config_selectorIllEEZZNS1_16scan_by_key_implILNS1_25lookback_scan_determinismE0ELb0ES3_PKlN6hipcub16HIPCUB_304000_NS21ConstantInputIteratorIllEEPllNSB_3SumENSB_8EqualityElEE10hipError_tPvRmT2_T3_T4_T5_mT6_T7_P12ihipStream_tbENKUlT_T0_E_clISt17integral_constantIbLb1EESX_EEDaSS_ST_EUlSS_E_NS1_11comp_targetILNS1_3genE10ELNS1_11target_archE1200ELNS1_3gpuE4ELNS1_3repE0EEENS1_30default_config_static_selectorELNS0_4arch9wavefront6targetE1EEEvT1_.uses_vcc, 0
	.set _ZN7rocprim17ROCPRIM_400000_NS6detail17trampoline_kernelINS0_14default_configENS1_27scan_by_key_config_selectorIllEEZZNS1_16scan_by_key_implILNS1_25lookback_scan_determinismE0ELb0ES3_PKlN6hipcub16HIPCUB_304000_NS21ConstantInputIteratorIllEEPllNSB_3SumENSB_8EqualityElEE10hipError_tPvRmT2_T3_T4_T5_mT6_T7_P12ihipStream_tbENKUlT_T0_E_clISt17integral_constantIbLb1EESX_EEDaSS_ST_EUlSS_E_NS1_11comp_targetILNS1_3genE10ELNS1_11target_archE1200ELNS1_3gpuE4ELNS1_3repE0EEENS1_30default_config_static_selectorELNS0_4arch9wavefront6targetE1EEEvT1_.uses_flat_scratch, 0
	.set _ZN7rocprim17ROCPRIM_400000_NS6detail17trampoline_kernelINS0_14default_configENS1_27scan_by_key_config_selectorIllEEZZNS1_16scan_by_key_implILNS1_25lookback_scan_determinismE0ELb0ES3_PKlN6hipcub16HIPCUB_304000_NS21ConstantInputIteratorIllEEPllNSB_3SumENSB_8EqualityElEE10hipError_tPvRmT2_T3_T4_T5_mT6_T7_P12ihipStream_tbENKUlT_T0_E_clISt17integral_constantIbLb1EESX_EEDaSS_ST_EUlSS_E_NS1_11comp_targetILNS1_3genE10ELNS1_11target_archE1200ELNS1_3gpuE4ELNS1_3repE0EEENS1_30default_config_static_selectorELNS0_4arch9wavefront6targetE1EEEvT1_.has_dyn_sized_stack, 0
	.set _ZN7rocprim17ROCPRIM_400000_NS6detail17trampoline_kernelINS0_14default_configENS1_27scan_by_key_config_selectorIllEEZZNS1_16scan_by_key_implILNS1_25lookback_scan_determinismE0ELb0ES3_PKlN6hipcub16HIPCUB_304000_NS21ConstantInputIteratorIllEEPllNSB_3SumENSB_8EqualityElEE10hipError_tPvRmT2_T3_T4_T5_mT6_T7_P12ihipStream_tbENKUlT_T0_E_clISt17integral_constantIbLb1EESX_EEDaSS_ST_EUlSS_E_NS1_11comp_targetILNS1_3genE10ELNS1_11target_archE1200ELNS1_3gpuE4ELNS1_3repE0EEENS1_30default_config_static_selectorELNS0_4arch9wavefront6targetE1EEEvT1_.has_recursion, 0
	.set _ZN7rocprim17ROCPRIM_400000_NS6detail17trampoline_kernelINS0_14default_configENS1_27scan_by_key_config_selectorIllEEZZNS1_16scan_by_key_implILNS1_25lookback_scan_determinismE0ELb0ES3_PKlN6hipcub16HIPCUB_304000_NS21ConstantInputIteratorIllEEPllNSB_3SumENSB_8EqualityElEE10hipError_tPvRmT2_T3_T4_T5_mT6_T7_P12ihipStream_tbENKUlT_T0_E_clISt17integral_constantIbLb1EESX_EEDaSS_ST_EUlSS_E_NS1_11comp_targetILNS1_3genE10ELNS1_11target_archE1200ELNS1_3gpuE4ELNS1_3repE0EEENS1_30default_config_static_selectorELNS0_4arch9wavefront6targetE1EEEvT1_.has_indirect_call, 0
	.section	.AMDGPU.csdata,"",@progbits
; Kernel info:
; codeLenInByte = 0
; TotalNumSgprs: 6
; NumVgprs: 0
; NumAgprs: 0
; TotalNumVgprs: 0
; ScratchSize: 0
; MemoryBound: 0
; FloatMode: 240
; IeeeMode: 1
; LDSByteSize: 0 bytes/workgroup (compile time only)
; SGPRBlocks: 0
; VGPRBlocks: 0
; NumSGPRsForWavesPerEU: 6
; NumVGPRsForWavesPerEU: 1
; AccumOffset: 4
; Occupancy: 8
; WaveLimiterHint : 0
; COMPUTE_PGM_RSRC2:SCRATCH_EN: 0
; COMPUTE_PGM_RSRC2:USER_SGPR: 2
; COMPUTE_PGM_RSRC2:TRAP_HANDLER: 0
; COMPUTE_PGM_RSRC2:TGID_X_EN: 1
; COMPUTE_PGM_RSRC2:TGID_Y_EN: 0
; COMPUTE_PGM_RSRC2:TGID_Z_EN: 0
; COMPUTE_PGM_RSRC2:TIDIG_COMP_CNT: 0
; COMPUTE_PGM_RSRC3_GFX90A:ACCUM_OFFSET: 0
; COMPUTE_PGM_RSRC3_GFX90A:TG_SPLIT: 0
	.section	.text._ZN7rocprim17ROCPRIM_400000_NS6detail17trampoline_kernelINS0_14default_configENS1_27scan_by_key_config_selectorIllEEZZNS1_16scan_by_key_implILNS1_25lookback_scan_determinismE0ELb0ES3_PKlN6hipcub16HIPCUB_304000_NS21ConstantInputIteratorIllEEPllNSB_3SumENSB_8EqualityElEE10hipError_tPvRmT2_T3_T4_T5_mT6_T7_P12ihipStream_tbENKUlT_T0_E_clISt17integral_constantIbLb1EESX_EEDaSS_ST_EUlSS_E_NS1_11comp_targetILNS1_3genE9ELNS1_11target_archE1100ELNS1_3gpuE3ELNS1_3repE0EEENS1_30default_config_static_selectorELNS0_4arch9wavefront6targetE1EEEvT1_,"axG",@progbits,_ZN7rocprim17ROCPRIM_400000_NS6detail17trampoline_kernelINS0_14default_configENS1_27scan_by_key_config_selectorIllEEZZNS1_16scan_by_key_implILNS1_25lookback_scan_determinismE0ELb0ES3_PKlN6hipcub16HIPCUB_304000_NS21ConstantInputIteratorIllEEPllNSB_3SumENSB_8EqualityElEE10hipError_tPvRmT2_T3_T4_T5_mT6_T7_P12ihipStream_tbENKUlT_T0_E_clISt17integral_constantIbLb1EESX_EEDaSS_ST_EUlSS_E_NS1_11comp_targetILNS1_3genE9ELNS1_11target_archE1100ELNS1_3gpuE3ELNS1_3repE0EEENS1_30default_config_static_selectorELNS0_4arch9wavefront6targetE1EEEvT1_,comdat
	.protected	_ZN7rocprim17ROCPRIM_400000_NS6detail17trampoline_kernelINS0_14default_configENS1_27scan_by_key_config_selectorIllEEZZNS1_16scan_by_key_implILNS1_25lookback_scan_determinismE0ELb0ES3_PKlN6hipcub16HIPCUB_304000_NS21ConstantInputIteratorIllEEPllNSB_3SumENSB_8EqualityElEE10hipError_tPvRmT2_T3_T4_T5_mT6_T7_P12ihipStream_tbENKUlT_T0_E_clISt17integral_constantIbLb1EESX_EEDaSS_ST_EUlSS_E_NS1_11comp_targetILNS1_3genE9ELNS1_11target_archE1100ELNS1_3gpuE3ELNS1_3repE0EEENS1_30default_config_static_selectorELNS0_4arch9wavefront6targetE1EEEvT1_ ; -- Begin function _ZN7rocprim17ROCPRIM_400000_NS6detail17trampoline_kernelINS0_14default_configENS1_27scan_by_key_config_selectorIllEEZZNS1_16scan_by_key_implILNS1_25lookback_scan_determinismE0ELb0ES3_PKlN6hipcub16HIPCUB_304000_NS21ConstantInputIteratorIllEEPllNSB_3SumENSB_8EqualityElEE10hipError_tPvRmT2_T3_T4_T5_mT6_T7_P12ihipStream_tbENKUlT_T0_E_clISt17integral_constantIbLb1EESX_EEDaSS_ST_EUlSS_E_NS1_11comp_targetILNS1_3genE9ELNS1_11target_archE1100ELNS1_3gpuE3ELNS1_3repE0EEENS1_30default_config_static_selectorELNS0_4arch9wavefront6targetE1EEEvT1_
	.globl	_ZN7rocprim17ROCPRIM_400000_NS6detail17trampoline_kernelINS0_14default_configENS1_27scan_by_key_config_selectorIllEEZZNS1_16scan_by_key_implILNS1_25lookback_scan_determinismE0ELb0ES3_PKlN6hipcub16HIPCUB_304000_NS21ConstantInputIteratorIllEEPllNSB_3SumENSB_8EqualityElEE10hipError_tPvRmT2_T3_T4_T5_mT6_T7_P12ihipStream_tbENKUlT_T0_E_clISt17integral_constantIbLb1EESX_EEDaSS_ST_EUlSS_E_NS1_11comp_targetILNS1_3genE9ELNS1_11target_archE1100ELNS1_3gpuE3ELNS1_3repE0EEENS1_30default_config_static_selectorELNS0_4arch9wavefront6targetE1EEEvT1_
	.p2align	8
	.type	_ZN7rocprim17ROCPRIM_400000_NS6detail17trampoline_kernelINS0_14default_configENS1_27scan_by_key_config_selectorIllEEZZNS1_16scan_by_key_implILNS1_25lookback_scan_determinismE0ELb0ES3_PKlN6hipcub16HIPCUB_304000_NS21ConstantInputIteratorIllEEPllNSB_3SumENSB_8EqualityElEE10hipError_tPvRmT2_T3_T4_T5_mT6_T7_P12ihipStream_tbENKUlT_T0_E_clISt17integral_constantIbLb1EESX_EEDaSS_ST_EUlSS_E_NS1_11comp_targetILNS1_3genE9ELNS1_11target_archE1100ELNS1_3gpuE3ELNS1_3repE0EEENS1_30default_config_static_selectorELNS0_4arch9wavefront6targetE1EEEvT1_,@function
_ZN7rocprim17ROCPRIM_400000_NS6detail17trampoline_kernelINS0_14default_configENS1_27scan_by_key_config_selectorIllEEZZNS1_16scan_by_key_implILNS1_25lookback_scan_determinismE0ELb0ES3_PKlN6hipcub16HIPCUB_304000_NS21ConstantInputIteratorIllEEPllNSB_3SumENSB_8EqualityElEE10hipError_tPvRmT2_T3_T4_T5_mT6_T7_P12ihipStream_tbENKUlT_T0_E_clISt17integral_constantIbLb1EESX_EEDaSS_ST_EUlSS_E_NS1_11comp_targetILNS1_3genE9ELNS1_11target_archE1100ELNS1_3gpuE3ELNS1_3repE0EEENS1_30default_config_static_selectorELNS0_4arch9wavefront6targetE1EEEvT1_: ; @_ZN7rocprim17ROCPRIM_400000_NS6detail17trampoline_kernelINS0_14default_configENS1_27scan_by_key_config_selectorIllEEZZNS1_16scan_by_key_implILNS1_25lookback_scan_determinismE0ELb0ES3_PKlN6hipcub16HIPCUB_304000_NS21ConstantInputIteratorIllEEPllNSB_3SumENSB_8EqualityElEE10hipError_tPvRmT2_T3_T4_T5_mT6_T7_P12ihipStream_tbENKUlT_T0_E_clISt17integral_constantIbLb1EESX_EEDaSS_ST_EUlSS_E_NS1_11comp_targetILNS1_3genE9ELNS1_11target_archE1100ELNS1_3gpuE3ELNS1_3repE0EEENS1_30default_config_static_selectorELNS0_4arch9wavefront6targetE1EEEvT1_
; %bb.0:
	.section	.rodata,"a",@progbits
	.p2align	6, 0x0
	.amdhsa_kernel _ZN7rocprim17ROCPRIM_400000_NS6detail17trampoline_kernelINS0_14default_configENS1_27scan_by_key_config_selectorIllEEZZNS1_16scan_by_key_implILNS1_25lookback_scan_determinismE0ELb0ES3_PKlN6hipcub16HIPCUB_304000_NS21ConstantInputIteratorIllEEPllNSB_3SumENSB_8EqualityElEE10hipError_tPvRmT2_T3_T4_T5_mT6_T7_P12ihipStream_tbENKUlT_T0_E_clISt17integral_constantIbLb1EESX_EEDaSS_ST_EUlSS_E_NS1_11comp_targetILNS1_3genE9ELNS1_11target_archE1100ELNS1_3gpuE3ELNS1_3repE0EEENS1_30default_config_static_selectorELNS0_4arch9wavefront6targetE1EEEvT1_
		.amdhsa_group_segment_fixed_size 0
		.amdhsa_private_segment_fixed_size 0
		.amdhsa_kernarg_size 144
		.amdhsa_user_sgpr_count 2
		.amdhsa_user_sgpr_dispatch_ptr 0
		.amdhsa_user_sgpr_queue_ptr 0
		.amdhsa_user_sgpr_kernarg_segment_ptr 1
		.amdhsa_user_sgpr_dispatch_id 0
		.amdhsa_user_sgpr_kernarg_preload_length 0
		.amdhsa_user_sgpr_kernarg_preload_offset 0
		.amdhsa_user_sgpr_private_segment_size 0
		.amdhsa_uses_dynamic_stack 0
		.amdhsa_enable_private_segment 0
		.amdhsa_system_sgpr_workgroup_id_x 1
		.amdhsa_system_sgpr_workgroup_id_y 0
		.amdhsa_system_sgpr_workgroup_id_z 0
		.amdhsa_system_sgpr_workgroup_info 0
		.amdhsa_system_vgpr_workitem_id 0
		.amdhsa_next_free_vgpr 1
		.amdhsa_next_free_sgpr 0
		.amdhsa_accum_offset 4
		.amdhsa_reserve_vcc 0
		.amdhsa_float_round_mode_32 0
		.amdhsa_float_round_mode_16_64 0
		.amdhsa_float_denorm_mode_32 3
		.amdhsa_float_denorm_mode_16_64 3
		.amdhsa_dx10_clamp 1
		.amdhsa_ieee_mode 1
		.amdhsa_fp16_overflow 0
		.amdhsa_tg_split 0
		.amdhsa_exception_fp_ieee_invalid_op 0
		.amdhsa_exception_fp_denorm_src 0
		.amdhsa_exception_fp_ieee_div_zero 0
		.amdhsa_exception_fp_ieee_overflow 0
		.amdhsa_exception_fp_ieee_underflow 0
		.amdhsa_exception_fp_ieee_inexact 0
		.amdhsa_exception_int_div_zero 0
	.end_amdhsa_kernel
	.section	.text._ZN7rocprim17ROCPRIM_400000_NS6detail17trampoline_kernelINS0_14default_configENS1_27scan_by_key_config_selectorIllEEZZNS1_16scan_by_key_implILNS1_25lookback_scan_determinismE0ELb0ES3_PKlN6hipcub16HIPCUB_304000_NS21ConstantInputIteratorIllEEPllNSB_3SumENSB_8EqualityElEE10hipError_tPvRmT2_T3_T4_T5_mT6_T7_P12ihipStream_tbENKUlT_T0_E_clISt17integral_constantIbLb1EESX_EEDaSS_ST_EUlSS_E_NS1_11comp_targetILNS1_3genE9ELNS1_11target_archE1100ELNS1_3gpuE3ELNS1_3repE0EEENS1_30default_config_static_selectorELNS0_4arch9wavefront6targetE1EEEvT1_,"axG",@progbits,_ZN7rocprim17ROCPRIM_400000_NS6detail17trampoline_kernelINS0_14default_configENS1_27scan_by_key_config_selectorIllEEZZNS1_16scan_by_key_implILNS1_25lookback_scan_determinismE0ELb0ES3_PKlN6hipcub16HIPCUB_304000_NS21ConstantInputIteratorIllEEPllNSB_3SumENSB_8EqualityElEE10hipError_tPvRmT2_T3_T4_T5_mT6_T7_P12ihipStream_tbENKUlT_T0_E_clISt17integral_constantIbLb1EESX_EEDaSS_ST_EUlSS_E_NS1_11comp_targetILNS1_3genE9ELNS1_11target_archE1100ELNS1_3gpuE3ELNS1_3repE0EEENS1_30default_config_static_selectorELNS0_4arch9wavefront6targetE1EEEvT1_,comdat
.Lfunc_end112:
	.size	_ZN7rocprim17ROCPRIM_400000_NS6detail17trampoline_kernelINS0_14default_configENS1_27scan_by_key_config_selectorIllEEZZNS1_16scan_by_key_implILNS1_25lookback_scan_determinismE0ELb0ES3_PKlN6hipcub16HIPCUB_304000_NS21ConstantInputIteratorIllEEPllNSB_3SumENSB_8EqualityElEE10hipError_tPvRmT2_T3_T4_T5_mT6_T7_P12ihipStream_tbENKUlT_T0_E_clISt17integral_constantIbLb1EESX_EEDaSS_ST_EUlSS_E_NS1_11comp_targetILNS1_3genE9ELNS1_11target_archE1100ELNS1_3gpuE3ELNS1_3repE0EEENS1_30default_config_static_selectorELNS0_4arch9wavefront6targetE1EEEvT1_, .Lfunc_end112-_ZN7rocprim17ROCPRIM_400000_NS6detail17trampoline_kernelINS0_14default_configENS1_27scan_by_key_config_selectorIllEEZZNS1_16scan_by_key_implILNS1_25lookback_scan_determinismE0ELb0ES3_PKlN6hipcub16HIPCUB_304000_NS21ConstantInputIteratorIllEEPllNSB_3SumENSB_8EqualityElEE10hipError_tPvRmT2_T3_T4_T5_mT6_T7_P12ihipStream_tbENKUlT_T0_E_clISt17integral_constantIbLb1EESX_EEDaSS_ST_EUlSS_E_NS1_11comp_targetILNS1_3genE9ELNS1_11target_archE1100ELNS1_3gpuE3ELNS1_3repE0EEENS1_30default_config_static_selectorELNS0_4arch9wavefront6targetE1EEEvT1_
                                        ; -- End function
	.set _ZN7rocprim17ROCPRIM_400000_NS6detail17trampoline_kernelINS0_14default_configENS1_27scan_by_key_config_selectorIllEEZZNS1_16scan_by_key_implILNS1_25lookback_scan_determinismE0ELb0ES3_PKlN6hipcub16HIPCUB_304000_NS21ConstantInputIteratorIllEEPllNSB_3SumENSB_8EqualityElEE10hipError_tPvRmT2_T3_T4_T5_mT6_T7_P12ihipStream_tbENKUlT_T0_E_clISt17integral_constantIbLb1EESX_EEDaSS_ST_EUlSS_E_NS1_11comp_targetILNS1_3genE9ELNS1_11target_archE1100ELNS1_3gpuE3ELNS1_3repE0EEENS1_30default_config_static_selectorELNS0_4arch9wavefront6targetE1EEEvT1_.num_vgpr, 0
	.set _ZN7rocprim17ROCPRIM_400000_NS6detail17trampoline_kernelINS0_14default_configENS1_27scan_by_key_config_selectorIllEEZZNS1_16scan_by_key_implILNS1_25lookback_scan_determinismE0ELb0ES3_PKlN6hipcub16HIPCUB_304000_NS21ConstantInputIteratorIllEEPllNSB_3SumENSB_8EqualityElEE10hipError_tPvRmT2_T3_T4_T5_mT6_T7_P12ihipStream_tbENKUlT_T0_E_clISt17integral_constantIbLb1EESX_EEDaSS_ST_EUlSS_E_NS1_11comp_targetILNS1_3genE9ELNS1_11target_archE1100ELNS1_3gpuE3ELNS1_3repE0EEENS1_30default_config_static_selectorELNS0_4arch9wavefront6targetE1EEEvT1_.num_agpr, 0
	.set _ZN7rocprim17ROCPRIM_400000_NS6detail17trampoline_kernelINS0_14default_configENS1_27scan_by_key_config_selectorIllEEZZNS1_16scan_by_key_implILNS1_25lookback_scan_determinismE0ELb0ES3_PKlN6hipcub16HIPCUB_304000_NS21ConstantInputIteratorIllEEPllNSB_3SumENSB_8EqualityElEE10hipError_tPvRmT2_T3_T4_T5_mT6_T7_P12ihipStream_tbENKUlT_T0_E_clISt17integral_constantIbLb1EESX_EEDaSS_ST_EUlSS_E_NS1_11comp_targetILNS1_3genE9ELNS1_11target_archE1100ELNS1_3gpuE3ELNS1_3repE0EEENS1_30default_config_static_selectorELNS0_4arch9wavefront6targetE1EEEvT1_.numbered_sgpr, 0
	.set _ZN7rocprim17ROCPRIM_400000_NS6detail17trampoline_kernelINS0_14default_configENS1_27scan_by_key_config_selectorIllEEZZNS1_16scan_by_key_implILNS1_25lookback_scan_determinismE0ELb0ES3_PKlN6hipcub16HIPCUB_304000_NS21ConstantInputIteratorIllEEPllNSB_3SumENSB_8EqualityElEE10hipError_tPvRmT2_T3_T4_T5_mT6_T7_P12ihipStream_tbENKUlT_T0_E_clISt17integral_constantIbLb1EESX_EEDaSS_ST_EUlSS_E_NS1_11comp_targetILNS1_3genE9ELNS1_11target_archE1100ELNS1_3gpuE3ELNS1_3repE0EEENS1_30default_config_static_selectorELNS0_4arch9wavefront6targetE1EEEvT1_.num_named_barrier, 0
	.set _ZN7rocprim17ROCPRIM_400000_NS6detail17trampoline_kernelINS0_14default_configENS1_27scan_by_key_config_selectorIllEEZZNS1_16scan_by_key_implILNS1_25lookback_scan_determinismE0ELb0ES3_PKlN6hipcub16HIPCUB_304000_NS21ConstantInputIteratorIllEEPllNSB_3SumENSB_8EqualityElEE10hipError_tPvRmT2_T3_T4_T5_mT6_T7_P12ihipStream_tbENKUlT_T0_E_clISt17integral_constantIbLb1EESX_EEDaSS_ST_EUlSS_E_NS1_11comp_targetILNS1_3genE9ELNS1_11target_archE1100ELNS1_3gpuE3ELNS1_3repE0EEENS1_30default_config_static_selectorELNS0_4arch9wavefront6targetE1EEEvT1_.private_seg_size, 0
	.set _ZN7rocprim17ROCPRIM_400000_NS6detail17trampoline_kernelINS0_14default_configENS1_27scan_by_key_config_selectorIllEEZZNS1_16scan_by_key_implILNS1_25lookback_scan_determinismE0ELb0ES3_PKlN6hipcub16HIPCUB_304000_NS21ConstantInputIteratorIllEEPllNSB_3SumENSB_8EqualityElEE10hipError_tPvRmT2_T3_T4_T5_mT6_T7_P12ihipStream_tbENKUlT_T0_E_clISt17integral_constantIbLb1EESX_EEDaSS_ST_EUlSS_E_NS1_11comp_targetILNS1_3genE9ELNS1_11target_archE1100ELNS1_3gpuE3ELNS1_3repE0EEENS1_30default_config_static_selectorELNS0_4arch9wavefront6targetE1EEEvT1_.uses_vcc, 0
	.set _ZN7rocprim17ROCPRIM_400000_NS6detail17trampoline_kernelINS0_14default_configENS1_27scan_by_key_config_selectorIllEEZZNS1_16scan_by_key_implILNS1_25lookback_scan_determinismE0ELb0ES3_PKlN6hipcub16HIPCUB_304000_NS21ConstantInputIteratorIllEEPllNSB_3SumENSB_8EqualityElEE10hipError_tPvRmT2_T3_T4_T5_mT6_T7_P12ihipStream_tbENKUlT_T0_E_clISt17integral_constantIbLb1EESX_EEDaSS_ST_EUlSS_E_NS1_11comp_targetILNS1_3genE9ELNS1_11target_archE1100ELNS1_3gpuE3ELNS1_3repE0EEENS1_30default_config_static_selectorELNS0_4arch9wavefront6targetE1EEEvT1_.uses_flat_scratch, 0
	.set _ZN7rocprim17ROCPRIM_400000_NS6detail17trampoline_kernelINS0_14default_configENS1_27scan_by_key_config_selectorIllEEZZNS1_16scan_by_key_implILNS1_25lookback_scan_determinismE0ELb0ES3_PKlN6hipcub16HIPCUB_304000_NS21ConstantInputIteratorIllEEPllNSB_3SumENSB_8EqualityElEE10hipError_tPvRmT2_T3_T4_T5_mT6_T7_P12ihipStream_tbENKUlT_T0_E_clISt17integral_constantIbLb1EESX_EEDaSS_ST_EUlSS_E_NS1_11comp_targetILNS1_3genE9ELNS1_11target_archE1100ELNS1_3gpuE3ELNS1_3repE0EEENS1_30default_config_static_selectorELNS0_4arch9wavefront6targetE1EEEvT1_.has_dyn_sized_stack, 0
	.set _ZN7rocprim17ROCPRIM_400000_NS6detail17trampoline_kernelINS0_14default_configENS1_27scan_by_key_config_selectorIllEEZZNS1_16scan_by_key_implILNS1_25lookback_scan_determinismE0ELb0ES3_PKlN6hipcub16HIPCUB_304000_NS21ConstantInputIteratorIllEEPllNSB_3SumENSB_8EqualityElEE10hipError_tPvRmT2_T3_T4_T5_mT6_T7_P12ihipStream_tbENKUlT_T0_E_clISt17integral_constantIbLb1EESX_EEDaSS_ST_EUlSS_E_NS1_11comp_targetILNS1_3genE9ELNS1_11target_archE1100ELNS1_3gpuE3ELNS1_3repE0EEENS1_30default_config_static_selectorELNS0_4arch9wavefront6targetE1EEEvT1_.has_recursion, 0
	.set _ZN7rocprim17ROCPRIM_400000_NS6detail17trampoline_kernelINS0_14default_configENS1_27scan_by_key_config_selectorIllEEZZNS1_16scan_by_key_implILNS1_25lookback_scan_determinismE0ELb0ES3_PKlN6hipcub16HIPCUB_304000_NS21ConstantInputIteratorIllEEPllNSB_3SumENSB_8EqualityElEE10hipError_tPvRmT2_T3_T4_T5_mT6_T7_P12ihipStream_tbENKUlT_T0_E_clISt17integral_constantIbLb1EESX_EEDaSS_ST_EUlSS_E_NS1_11comp_targetILNS1_3genE9ELNS1_11target_archE1100ELNS1_3gpuE3ELNS1_3repE0EEENS1_30default_config_static_selectorELNS0_4arch9wavefront6targetE1EEEvT1_.has_indirect_call, 0
	.section	.AMDGPU.csdata,"",@progbits
; Kernel info:
; codeLenInByte = 0
; TotalNumSgprs: 6
; NumVgprs: 0
; NumAgprs: 0
; TotalNumVgprs: 0
; ScratchSize: 0
; MemoryBound: 0
; FloatMode: 240
; IeeeMode: 1
; LDSByteSize: 0 bytes/workgroup (compile time only)
; SGPRBlocks: 0
; VGPRBlocks: 0
; NumSGPRsForWavesPerEU: 6
; NumVGPRsForWavesPerEU: 1
; AccumOffset: 4
; Occupancy: 8
; WaveLimiterHint : 0
; COMPUTE_PGM_RSRC2:SCRATCH_EN: 0
; COMPUTE_PGM_RSRC2:USER_SGPR: 2
; COMPUTE_PGM_RSRC2:TRAP_HANDLER: 0
; COMPUTE_PGM_RSRC2:TGID_X_EN: 1
; COMPUTE_PGM_RSRC2:TGID_Y_EN: 0
; COMPUTE_PGM_RSRC2:TGID_Z_EN: 0
; COMPUTE_PGM_RSRC2:TIDIG_COMP_CNT: 0
; COMPUTE_PGM_RSRC3_GFX90A:ACCUM_OFFSET: 0
; COMPUTE_PGM_RSRC3_GFX90A:TG_SPLIT: 0
	.section	.text._ZN7rocprim17ROCPRIM_400000_NS6detail17trampoline_kernelINS0_14default_configENS1_27scan_by_key_config_selectorIllEEZZNS1_16scan_by_key_implILNS1_25lookback_scan_determinismE0ELb0ES3_PKlN6hipcub16HIPCUB_304000_NS21ConstantInputIteratorIllEEPllNSB_3SumENSB_8EqualityElEE10hipError_tPvRmT2_T3_T4_T5_mT6_T7_P12ihipStream_tbENKUlT_T0_E_clISt17integral_constantIbLb1EESX_EEDaSS_ST_EUlSS_E_NS1_11comp_targetILNS1_3genE8ELNS1_11target_archE1030ELNS1_3gpuE2ELNS1_3repE0EEENS1_30default_config_static_selectorELNS0_4arch9wavefront6targetE1EEEvT1_,"axG",@progbits,_ZN7rocprim17ROCPRIM_400000_NS6detail17trampoline_kernelINS0_14default_configENS1_27scan_by_key_config_selectorIllEEZZNS1_16scan_by_key_implILNS1_25lookback_scan_determinismE0ELb0ES3_PKlN6hipcub16HIPCUB_304000_NS21ConstantInputIteratorIllEEPllNSB_3SumENSB_8EqualityElEE10hipError_tPvRmT2_T3_T4_T5_mT6_T7_P12ihipStream_tbENKUlT_T0_E_clISt17integral_constantIbLb1EESX_EEDaSS_ST_EUlSS_E_NS1_11comp_targetILNS1_3genE8ELNS1_11target_archE1030ELNS1_3gpuE2ELNS1_3repE0EEENS1_30default_config_static_selectorELNS0_4arch9wavefront6targetE1EEEvT1_,comdat
	.protected	_ZN7rocprim17ROCPRIM_400000_NS6detail17trampoline_kernelINS0_14default_configENS1_27scan_by_key_config_selectorIllEEZZNS1_16scan_by_key_implILNS1_25lookback_scan_determinismE0ELb0ES3_PKlN6hipcub16HIPCUB_304000_NS21ConstantInputIteratorIllEEPllNSB_3SumENSB_8EqualityElEE10hipError_tPvRmT2_T3_T4_T5_mT6_T7_P12ihipStream_tbENKUlT_T0_E_clISt17integral_constantIbLb1EESX_EEDaSS_ST_EUlSS_E_NS1_11comp_targetILNS1_3genE8ELNS1_11target_archE1030ELNS1_3gpuE2ELNS1_3repE0EEENS1_30default_config_static_selectorELNS0_4arch9wavefront6targetE1EEEvT1_ ; -- Begin function _ZN7rocprim17ROCPRIM_400000_NS6detail17trampoline_kernelINS0_14default_configENS1_27scan_by_key_config_selectorIllEEZZNS1_16scan_by_key_implILNS1_25lookback_scan_determinismE0ELb0ES3_PKlN6hipcub16HIPCUB_304000_NS21ConstantInputIteratorIllEEPllNSB_3SumENSB_8EqualityElEE10hipError_tPvRmT2_T3_T4_T5_mT6_T7_P12ihipStream_tbENKUlT_T0_E_clISt17integral_constantIbLb1EESX_EEDaSS_ST_EUlSS_E_NS1_11comp_targetILNS1_3genE8ELNS1_11target_archE1030ELNS1_3gpuE2ELNS1_3repE0EEENS1_30default_config_static_selectorELNS0_4arch9wavefront6targetE1EEEvT1_
	.globl	_ZN7rocprim17ROCPRIM_400000_NS6detail17trampoline_kernelINS0_14default_configENS1_27scan_by_key_config_selectorIllEEZZNS1_16scan_by_key_implILNS1_25lookback_scan_determinismE0ELb0ES3_PKlN6hipcub16HIPCUB_304000_NS21ConstantInputIteratorIllEEPllNSB_3SumENSB_8EqualityElEE10hipError_tPvRmT2_T3_T4_T5_mT6_T7_P12ihipStream_tbENKUlT_T0_E_clISt17integral_constantIbLb1EESX_EEDaSS_ST_EUlSS_E_NS1_11comp_targetILNS1_3genE8ELNS1_11target_archE1030ELNS1_3gpuE2ELNS1_3repE0EEENS1_30default_config_static_selectorELNS0_4arch9wavefront6targetE1EEEvT1_
	.p2align	8
	.type	_ZN7rocprim17ROCPRIM_400000_NS6detail17trampoline_kernelINS0_14default_configENS1_27scan_by_key_config_selectorIllEEZZNS1_16scan_by_key_implILNS1_25lookback_scan_determinismE0ELb0ES3_PKlN6hipcub16HIPCUB_304000_NS21ConstantInputIteratorIllEEPllNSB_3SumENSB_8EqualityElEE10hipError_tPvRmT2_T3_T4_T5_mT6_T7_P12ihipStream_tbENKUlT_T0_E_clISt17integral_constantIbLb1EESX_EEDaSS_ST_EUlSS_E_NS1_11comp_targetILNS1_3genE8ELNS1_11target_archE1030ELNS1_3gpuE2ELNS1_3repE0EEENS1_30default_config_static_selectorELNS0_4arch9wavefront6targetE1EEEvT1_,@function
_ZN7rocprim17ROCPRIM_400000_NS6detail17trampoline_kernelINS0_14default_configENS1_27scan_by_key_config_selectorIllEEZZNS1_16scan_by_key_implILNS1_25lookback_scan_determinismE0ELb0ES3_PKlN6hipcub16HIPCUB_304000_NS21ConstantInputIteratorIllEEPllNSB_3SumENSB_8EqualityElEE10hipError_tPvRmT2_T3_T4_T5_mT6_T7_P12ihipStream_tbENKUlT_T0_E_clISt17integral_constantIbLb1EESX_EEDaSS_ST_EUlSS_E_NS1_11comp_targetILNS1_3genE8ELNS1_11target_archE1030ELNS1_3gpuE2ELNS1_3repE0EEENS1_30default_config_static_selectorELNS0_4arch9wavefront6targetE1EEEvT1_: ; @_ZN7rocprim17ROCPRIM_400000_NS6detail17trampoline_kernelINS0_14default_configENS1_27scan_by_key_config_selectorIllEEZZNS1_16scan_by_key_implILNS1_25lookback_scan_determinismE0ELb0ES3_PKlN6hipcub16HIPCUB_304000_NS21ConstantInputIteratorIllEEPllNSB_3SumENSB_8EqualityElEE10hipError_tPvRmT2_T3_T4_T5_mT6_T7_P12ihipStream_tbENKUlT_T0_E_clISt17integral_constantIbLb1EESX_EEDaSS_ST_EUlSS_E_NS1_11comp_targetILNS1_3genE8ELNS1_11target_archE1030ELNS1_3gpuE2ELNS1_3repE0EEENS1_30default_config_static_selectorELNS0_4arch9wavefront6targetE1EEEvT1_
; %bb.0:
	.section	.rodata,"a",@progbits
	.p2align	6, 0x0
	.amdhsa_kernel _ZN7rocprim17ROCPRIM_400000_NS6detail17trampoline_kernelINS0_14default_configENS1_27scan_by_key_config_selectorIllEEZZNS1_16scan_by_key_implILNS1_25lookback_scan_determinismE0ELb0ES3_PKlN6hipcub16HIPCUB_304000_NS21ConstantInputIteratorIllEEPllNSB_3SumENSB_8EqualityElEE10hipError_tPvRmT2_T3_T4_T5_mT6_T7_P12ihipStream_tbENKUlT_T0_E_clISt17integral_constantIbLb1EESX_EEDaSS_ST_EUlSS_E_NS1_11comp_targetILNS1_3genE8ELNS1_11target_archE1030ELNS1_3gpuE2ELNS1_3repE0EEENS1_30default_config_static_selectorELNS0_4arch9wavefront6targetE1EEEvT1_
		.amdhsa_group_segment_fixed_size 0
		.amdhsa_private_segment_fixed_size 0
		.amdhsa_kernarg_size 144
		.amdhsa_user_sgpr_count 2
		.amdhsa_user_sgpr_dispatch_ptr 0
		.amdhsa_user_sgpr_queue_ptr 0
		.amdhsa_user_sgpr_kernarg_segment_ptr 1
		.amdhsa_user_sgpr_dispatch_id 0
		.amdhsa_user_sgpr_kernarg_preload_length 0
		.amdhsa_user_sgpr_kernarg_preload_offset 0
		.amdhsa_user_sgpr_private_segment_size 0
		.amdhsa_uses_dynamic_stack 0
		.amdhsa_enable_private_segment 0
		.amdhsa_system_sgpr_workgroup_id_x 1
		.amdhsa_system_sgpr_workgroup_id_y 0
		.amdhsa_system_sgpr_workgroup_id_z 0
		.amdhsa_system_sgpr_workgroup_info 0
		.amdhsa_system_vgpr_workitem_id 0
		.amdhsa_next_free_vgpr 1
		.amdhsa_next_free_sgpr 0
		.amdhsa_accum_offset 4
		.amdhsa_reserve_vcc 0
		.amdhsa_float_round_mode_32 0
		.amdhsa_float_round_mode_16_64 0
		.amdhsa_float_denorm_mode_32 3
		.amdhsa_float_denorm_mode_16_64 3
		.amdhsa_dx10_clamp 1
		.amdhsa_ieee_mode 1
		.amdhsa_fp16_overflow 0
		.amdhsa_tg_split 0
		.amdhsa_exception_fp_ieee_invalid_op 0
		.amdhsa_exception_fp_denorm_src 0
		.amdhsa_exception_fp_ieee_div_zero 0
		.amdhsa_exception_fp_ieee_overflow 0
		.amdhsa_exception_fp_ieee_underflow 0
		.amdhsa_exception_fp_ieee_inexact 0
		.amdhsa_exception_int_div_zero 0
	.end_amdhsa_kernel
	.section	.text._ZN7rocprim17ROCPRIM_400000_NS6detail17trampoline_kernelINS0_14default_configENS1_27scan_by_key_config_selectorIllEEZZNS1_16scan_by_key_implILNS1_25lookback_scan_determinismE0ELb0ES3_PKlN6hipcub16HIPCUB_304000_NS21ConstantInputIteratorIllEEPllNSB_3SumENSB_8EqualityElEE10hipError_tPvRmT2_T3_T4_T5_mT6_T7_P12ihipStream_tbENKUlT_T0_E_clISt17integral_constantIbLb1EESX_EEDaSS_ST_EUlSS_E_NS1_11comp_targetILNS1_3genE8ELNS1_11target_archE1030ELNS1_3gpuE2ELNS1_3repE0EEENS1_30default_config_static_selectorELNS0_4arch9wavefront6targetE1EEEvT1_,"axG",@progbits,_ZN7rocprim17ROCPRIM_400000_NS6detail17trampoline_kernelINS0_14default_configENS1_27scan_by_key_config_selectorIllEEZZNS1_16scan_by_key_implILNS1_25lookback_scan_determinismE0ELb0ES3_PKlN6hipcub16HIPCUB_304000_NS21ConstantInputIteratorIllEEPllNSB_3SumENSB_8EqualityElEE10hipError_tPvRmT2_T3_T4_T5_mT6_T7_P12ihipStream_tbENKUlT_T0_E_clISt17integral_constantIbLb1EESX_EEDaSS_ST_EUlSS_E_NS1_11comp_targetILNS1_3genE8ELNS1_11target_archE1030ELNS1_3gpuE2ELNS1_3repE0EEENS1_30default_config_static_selectorELNS0_4arch9wavefront6targetE1EEEvT1_,comdat
.Lfunc_end113:
	.size	_ZN7rocprim17ROCPRIM_400000_NS6detail17trampoline_kernelINS0_14default_configENS1_27scan_by_key_config_selectorIllEEZZNS1_16scan_by_key_implILNS1_25lookback_scan_determinismE0ELb0ES3_PKlN6hipcub16HIPCUB_304000_NS21ConstantInputIteratorIllEEPllNSB_3SumENSB_8EqualityElEE10hipError_tPvRmT2_T3_T4_T5_mT6_T7_P12ihipStream_tbENKUlT_T0_E_clISt17integral_constantIbLb1EESX_EEDaSS_ST_EUlSS_E_NS1_11comp_targetILNS1_3genE8ELNS1_11target_archE1030ELNS1_3gpuE2ELNS1_3repE0EEENS1_30default_config_static_selectorELNS0_4arch9wavefront6targetE1EEEvT1_, .Lfunc_end113-_ZN7rocprim17ROCPRIM_400000_NS6detail17trampoline_kernelINS0_14default_configENS1_27scan_by_key_config_selectorIllEEZZNS1_16scan_by_key_implILNS1_25lookback_scan_determinismE0ELb0ES3_PKlN6hipcub16HIPCUB_304000_NS21ConstantInputIteratorIllEEPllNSB_3SumENSB_8EqualityElEE10hipError_tPvRmT2_T3_T4_T5_mT6_T7_P12ihipStream_tbENKUlT_T0_E_clISt17integral_constantIbLb1EESX_EEDaSS_ST_EUlSS_E_NS1_11comp_targetILNS1_3genE8ELNS1_11target_archE1030ELNS1_3gpuE2ELNS1_3repE0EEENS1_30default_config_static_selectorELNS0_4arch9wavefront6targetE1EEEvT1_
                                        ; -- End function
	.set _ZN7rocprim17ROCPRIM_400000_NS6detail17trampoline_kernelINS0_14default_configENS1_27scan_by_key_config_selectorIllEEZZNS1_16scan_by_key_implILNS1_25lookback_scan_determinismE0ELb0ES3_PKlN6hipcub16HIPCUB_304000_NS21ConstantInputIteratorIllEEPllNSB_3SumENSB_8EqualityElEE10hipError_tPvRmT2_T3_T4_T5_mT6_T7_P12ihipStream_tbENKUlT_T0_E_clISt17integral_constantIbLb1EESX_EEDaSS_ST_EUlSS_E_NS1_11comp_targetILNS1_3genE8ELNS1_11target_archE1030ELNS1_3gpuE2ELNS1_3repE0EEENS1_30default_config_static_selectorELNS0_4arch9wavefront6targetE1EEEvT1_.num_vgpr, 0
	.set _ZN7rocprim17ROCPRIM_400000_NS6detail17trampoline_kernelINS0_14default_configENS1_27scan_by_key_config_selectorIllEEZZNS1_16scan_by_key_implILNS1_25lookback_scan_determinismE0ELb0ES3_PKlN6hipcub16HIPCUB_304000_NS21ConstantInputIteratorIllEEPllNSB_3SumENSB_8EqualityElEE10hipError_tPvRmT2_T3_T4_T5_mT6_T7_P12ihipStream_tbENKUlT_T0_E_clISt17integral_constantIbLb1EESX_EEDaSS_ST_EUlSS_E_NS1_11comp_targetILNS1_3genE8ELNS1_11target_archE1030ELNS1_3gpuE2ELNS1_3repE0EEENS1_30default_config_static_selectorELNS0_4arch9wavefront6targetE1EEEvT1_.num_agpr, 0
	.set _ZN7rocprim17ROCPRIM_400000_NS6detail17trampoline_kernelINS0_14default_configENS1_27scan_by_key_config_selectorIllEEZZNS1_16scan_by_key_implILNS1_25lookback_scan_determinismE0ELb0ES3_PKlN6hipcub16HIPCUB_304000_NS21ConstantInputIteratorIllEEPllNSB_3SumENSB_8EqualityElEE10hipError_tPvRmT2_T3_T4_T5_mT6_T7_P12ihipStream_tbENKUlT_T0_E_clISt17integral_constantIbLb1EESX_EEDaSS_ST_EUlSS_E_NS1_11comp_targetILNS1_3genE8ELNS1_11target_archE1030ELNS1_3gpuE2ELNS1_3repE0EEENS1_30default_config_static_selectorELNS0_4arch9wavefront6targetE1EEEvT1_.numbered_sgpr, 0
	.set _ZN7rocprim17ROCPRIM_400000_NS6detail17trampoline_kernelINS0_14default_configENS1_27scan_by_key_config_selectorIllEEZZNS1_16scan_by_key_implILNS1_25lookback_scan_determinismE0ELb0ES3_PKlN6hipcub16HIPCUB_304000_NS21ConstantInputIteratorIllEEPllNSB_3SumENSB_8EqualityElEE10hipError_tPvRmT2_T3_T4_T5_mT6_T7_P12ihipStream_tbENKUlT_T0_E_clISt17integral_constantIbLb1EESX_EEDaSS_ST_EUlSS_E_NS1_11comp_targetILNS1_3genE8ELNS1_11target_archE1030ELNS1_3gpuE2ELNS1_3repE0EEENS1_30default_config_static_selectorELNS0_4arch9wavefront6targetE1EEEvT1_.num_named_barrier, 0
	.set _ZN7rocprim17ROCPRIM_400000_NS6detail17trampoline_kernelINS0_14default_configENS1_27scan_by_key_config_selectorIllEEZZNS1_16scan_by_key_implILNS1_25lookback_scan_determinismE0ELb0ES3_PKlN6hipcub16HIPCUB_304000_NS21ConstantInputIteratorIllEEPllNSB_3SumENSB_8EqualityElEE10hipError_tPvRmT2_T3_T4_T5_mT6_T7_P12ihipStream_tbENKUlT_T0_E_clISt17integral_constantIbLb1EESX_EEDaSS_ST_EUlSS_E_NS1_11comp_targetILNS1_3genE8ELNS1_11target_archE1030ELNS1_3gpuE2ELNS1_3repE0EEENS1_30default_config_static_selectorELNS0_4arch9wavefront6targetE1EEEvT1_.private_seg_size, 0
	.set _ZN7rocprim17ROCPRIM_400000_NS6detail17trampoline_kernelINS0_14default_configENS1_27scan_by_key_config_selectorIllEEZZNS1_16scan_by_key_implILNS1_25lookback_scan_determinismE0ELb0ES3_PKlN6hipcub16HIPCUB_304000_NS21ConstantInputIteratorIllEEPllNSB_3SumENSB_8EqualityElEE10hipError_tPvRmT2_T3_T4_T5_mT6_T7_P12ihipStream_tbENKUlT_T0_E_clISt17integral_constantIbLb1EESX_EEDaSS_ST_EUlSS_E_NS1_11comp_targetILNS1_3genE8ELNS1_11target_archE1030ELNS1_3gpuE2ELNS1_3repE0EEENS1_30default_config_static_selectorELNS0_4arch9wavefront6targetE1EEEvT1_.uses_vcc, 0
	.set _ZN7rocprim17ROCPRIM_400000_NS6detail17trampoline_kernelINS0_14default_configENS1_27scan_by_key_config_selectorIllEEZZNS1_16scan_by_key_implILNS1_25lookback_scan_determinismE0ELb0ES3_PKlN6hipcub16HIPCUB_304000_NS21ConstantInputIteratorIllEEPllNSB_3SumENSB_8EqualityElEE10hipError_tPvRmT2_T3_T4_T5_mT6_T7_P12ihipStream_tbENKUlT_T0_E_clISt17integral_constantIbLb1EESX_EEDaSS_ST_EUlSS_E_NS1_11comp_targetILNS1_3genE8ELNS1_11target_archE1030ELNS1_3gpuE2ELNS1_3repE0EEENS1_30default_config_static_selectorELNS0_4arch9wavefront6targetE1EEEvT1_.uses_flat_scratch, 0
	.set _ZN7rocprim17ROCPRIM_400000_NS6detail17trampoline_kernelINS0_14default_configENS1_27scan_by_key_config_selectorIllEEZZNS1_16scan_by_key_implILNS1_25lookback_scan_determinismE0ELb0ES3_PKlN6hipcub16HIPCUB_304000_NS21ConstantInputIteratorIllEEPllNSB_3SumENSB_8EqualityElEE10hipError_tPvRmT2_T3_T4_T5_mT6_T7_P12ihipStream_tbENKUlT_T0_E_clISt17integral_constantIbLb1EESX_EEDaSS_ST_EUlSS_E_NS1_11comp_targetILNS1_3genE8ELNS1_11target_archE1030ELNS1_3gpuE2ELNS1_3repE0EEENS1_30default_config_static_selectorELNS0_4arch9wavefront6targetE1EEEvT1_.has_dyn_sized_stack, 0
	.set _ZN7rocprim17ROCPRIM_400000_NS6detail17trampoline_kernelINS0_14default_configENS1_27scan_by_key_config_selectorIllEEZZNS1_16scan_by_key_implILNS1_25lookback_scan_determinismE0ELb0ES3_PKlN6hipcub16HIPCUB_304000_NS21ConstantInputIteratorIllEEPllNSB_3SumENSB_8EqualityElEE10hipError_tPvRmT2_T3_T4_T5_mT6_T7_P12ihipStream_tbENKUlT_T0_E_clISt17integral_constantIbLb1EESX_EEDaSS_ST_EUlSS_E_NS1_11comp_targetILNS1_3genE8ELNS1_11target_archE1030ELNS1_3gpuE2ELNS1_3repE0EEENS1_30default_config_static_selectorELNS0_4arch9wavefront6targetE1EEEvT1_.has_recursion, 0
	.set _ZN7rocprim17ROCPRIM_400000_NS6detail17trampoline_kernelINS0_14default_configENS1_27scan_by_key_config_selectorIllEEZZNS1_16scan_by_key_implILNS1_25lookback_scan_determinismE0ELb0ES3_PKlN6hipcub16HIPCUB_304000_NS21ConstantInputIteratorIllEEPllNSB_3SumENSB_8EqualityElEE10hipError_tPvRmT2_T3_T4_T5_mT6_T7_P12ihipStream_tbENKUlT_T0_E_clISt17integral_constantIbLb1EESX_EEDaSS_ST_EUlSS_E_NS1_11comp_targetILNS1_3genE8ELNS1_11target_archE1030ELNS1_3gpuE2ELNS1_3repE0EEENS1_30default_config_static_selectorELNS0_4arch9wavefront6targetE1EEEvT1_.has_indirect_call, 0
	.section	.AMDGPU.csdata,"",@progbits
; Kernel info:
; codeLenInByte = 0
; TotalNumSgprs: 6
; NumVgprs: 0
; NumAgprs: 0
; TotalNumVgprs: 0
; ScratchSize: 0
; MemoryBound: 0
; FloatMode: 240
; IeeeMode: 1
; LDSByteSize: 0 bytes/workgroup (compile time only)
; SGPRBlocks: 0
; VGPRBlocks: 0
; NumSGPRsForWavesPerEU: 6
; NumVGPRsForWavesPerEU: 1
; AccumOffset: 4
; Occupancy: 8
; WaveLimiterHint : 0
; COMPUTE_PGM_RSRC2:SCRATCH_EN: 0
; COMPUTE_PGM_RSRC2:USER_SGPR: 2
; COMPUTE_PGM_RSRC2:TRAP_HANDLER: 0
; COMPUTE_PGM_RSRC2:TGID_X_EN: 1
; COMPUTE_PGM_RSRC2:TGID_Y_EN: 0
; COMPUTE_PGM_RSRC2:TGID_Z_EN: 0
; COMPUTE_PGM_RSRC2:TIDIG_COMP_CNT: 0
; COMPUTE_PGM_RSRC3_GFX90A:ACCUM_OFFSET: 0
; COMPUTE_PGM_RSRC3_GFX90A:TG_SPLIT: 0
	.section	.text._ZN7rocprim17ROCPRIM_400000_NS6detail30init_device_scan_by_key_kernelINS1_19lookback_scan_stateINS0_5tupleIJlbEEELb1ELb0EEEPKljNS1_16block_id_wrapperIjLb0EEEEEvT_jjPNSB_10value_typeET0_PNSt15iterator_traitsISE_E10value_typeEmT1_T2_,"axG",@progbits,_ZN7rocprim17ROCPRIM_400000_NS6detail30init_device_scan_by_key_kernelINS1_19lookback_scan_stateINS0_5tupleIJlbEEELb1ELb0EEEPKljNS1_16block_id_wrapperIjLb0EEEEEvT_jjPNSB_10value_typeET0_PNSt15iterator_traitsISE_E10value_typeEmT1_T2_,comdat
	.protected	_ZN7rocprim17ROCPRIM_400000_NS6detail30init_device_scan_by_key_kernelINS1_19lookback_scan_stateINS0_5tupleIJlbEEELb1ELb0EEEPKljNS1_16block_id_wrapperIjLb0EEEEEvT_jjPNSB_10value_typeET0_PNSt15iterator_traitsISE_E10value_typeEmT1_T2_ ; -- Begin function _ZN7rocprim17ROCPRIM_400000_NS6detail30init_device_scan_by_key_kernelINS1_19lookback_scan_stateINS0_5tupleIJlbEEELb1ELb0EEEPKljNS1_16block_id_wrapperIjLb0EEEEEvT_jjPNSB_10value_typeET0_PNSt15iterator_traitsISE_E10value_typeEmT1_T2_
	.globl	_ZN7rocprim17ROCPRIM_400000_NS6detail30init_device_scan_by_key_kernelINS1_19lookback_scan_stateINS0_5tupleIJlbEEELb1ELb0EEEPKljNS1_16block_id_wrapperIjLb0EEEEEvT_jjPNSB_10value_typeET0_PNSt15iterator_traitsISE_E10value_typeEmT1_T2_
	.p2align	8
	.type	_ZN7rocprim17ROCPRIM_400000_NS6detail30init_device_scan_by_key_kernelINS1_19lookback_scan_stateINS0_5tupleIJlbEEELb1ELb0EEEPKljNS1_16block_id_wrapperIjLb0EEEEEvT_jjPNSB_10value_typeET0_PNSt15iterator_traitsISE_E10value_typeEmT1_T2_,@function
_ZN7rocprim17ROCPRIM_400000_NS6detail30init_device_scan_by_key_kernelINS1_19lookback_scan_stateINS0_5tupleIJlbEEELb1ELb0EEEPKljNS1_16block_id_wrapperIjLb0EEEEEvT_jjPNSB_10value_typeET0_PNSt15iterator_traitsISE_E10value_typeEmT1_T2_: ; @_ZN7rocprim17ROCPRIM_400000_NS6detail30init_device_scan_by_key_kernelINS1_19lookback_scan_stateINS0_5tupleIJlbEEELb1ELb0EEEPKljNS1_16block_id_wrapperIjLb0EEEEEvT_jjPNSB_10value_typeET0_PNSt15iterator_traitsISE_E10value_typeEmT1_T2_
; %bb.0:
	s_load_dword s3, s[0:1], 0x54
	s_load_dwordx8 s[4:11], s[0:1], 0x10
	s_load_dword s20, s[0:1], 0x48
	s_waitcnt lgkmcnt(0)
	s_and_b32 s21, s3, 0xffff
	s_mul_i32 s2, s2, s21
	s_cmp_eq_u64 s[8:9], 0
	v_add_u32_e32 v0, s2, v0
	s_cbranch_scc1 .LBB114_9
; %bb.1:
	s_cmp_lt_u32 s7, s6
	s_cselect_b32 s2, s7, 0
	s_mov_b32 s17, 0
	v_cmp_eq_u32_e32 vcc, s2, v0
	s_and_saveexec_b64 s[2:3], vcc
	s_cbranch_execz .LBB114_8
; %bb.2:
	s_add_i32 s16, s7, 64
	v_mov_b32_e32 v1, s16
	global_load_ubyte v2, v1, s[4:5] sc1
	s_load_dwordx4 s[12:15], s[0:1], 0x0
	v_mov_b32_e32 v1, 0
	s_add_u32 s18, s4, s16
	s_addc_u32 s19, s5, 0
	s_waitcnt vmcnt(0)
	v_cmp_ne_u32_sdwa s[22:23], v2, v1 src0_sel:WORD_0 src1_sel:DWORD
	s_and_b64 vcc, exec, s[22:23]
	v_readfirstlane_b32 s22, v2
	s_cbranch_vccnz .LBB114_7
; %bb.3:
	s_mov_b32 s7, 1
.LBB114_4:                              ; =>This Loop Header: Depth=1
                                        ;     Child Loop BB114_5 Depth 2
	s_mov_b32 s22, s7
.LBB114_5:                              ;   Parent Loop BB114_4 Depth=1
                                        ; =>  This Inner Loop Header: Depth=2
	s_add_i32 s22, s22, -1
	s_cmp_eq_u32 s22, 0
	s_sleep 1
	s_cbranch_scc0 .LBB114_5
; %bb.6:                                ;   in Loop: Header=BB114_4 Depth=1
	global_load_ubyte v2, v1, s[18:19] sc1
	s_cmp_lt_u32 s7, 32
	s_cselect_b64 s[22:23], -1, 0
	s_cmp_lg_u64 s[22:23], 0
	s_addc_u32 s7, s7, 0
	s_waitcnt vmcnt(0)
	v_cmp_ne_u32_sdwa s[22:23], v2, v1 src0_sel:WORD_0 src1_sel:DWORD
	s_and_b64 vcc, exec, s[22:23]
	v_readfirstlane_b32 s22, v2
	s_cbranch_vccz .LBB114_4
.LBB114_7:
	s_and_b32 s7, 0xffff, s22
	s_cmp_eq_u32 s7, 1
	s_waitcnt lgkmcnt(0)
	s_cselect_b32 s7, s13, s15
	s_cselect_b32 s14, s12, s14
	s_lshl_b64 s[12:13], s[16:17], 4
	s_add_u32 s12, s14, s12
	s_addc_u32 s13, s7, s13
	v_mov_b32_e32 v1, 0
	s_waitcnt vmcnt(0)
	global_load_dword v4, v1, s[12:13] sc1
	global_load_dword v5, v1, s[12:13] offset:4 sc1
	global_load_dword v2, v1, s[12:13] offset:8 sc1
	;; [unrolled: 1-line block ×3, first 2 shown]
	s_waitcnt vmcnt(2)
	global_store_dwordx2 v1, v[4:5], s[8:9]
	s_waitcnt vmcnt(2)
	global_store_byte v1, v2, s[8:9] offset:8
.LBB114_8:
	s_or_b64 exec, exec, s[2:3]
.LBB114_9:
	v_cmp_gt_u32_e32 vcc, s6, v0
	s_and_saveexec_b64 s[2:3], vcc
	s_cbranch_execz .LBB114_11
; %bb.10:
	v_add_u32_e32 v1, 64, v0
	v_mov_b32_e32 v2, 0
	global_store_byte v1, v2, s[4:5]
.LBB114_11:
	s_or_b64 exec, exec, s[2:3]
	v_cmp_gt_u32_e32 vcc, 64, v0
	v_mov_b32_e32 v1, 0
	s_and_saveexec_b64 s[2:3], vcc
	s_cbranch_execz .LBB114_13
; %bb.12:
	s_waitcnt vmcnt(2)
	v_lshl_add_u64 v[2:3], s[4:5], 0, v[0:1]
	v_mov_b32_e32 v4, 0xff
	global_store_byte v[2:3], v4, off
.LBB114_13:
	s_or_b64 exec, exec, s[2:3]
	s_load_dwordx2 s[2:3], s[0:1], 0x38
	s_waitcnt lgkmcnt(0)
	v_cmp_gt_u64_e32 vcc, s[2:3], v[0:1]
	s_and_saveexec_b64 s[4:5], vcc
	s_cbranch_execz .LBB114_16
; %bb.14:
	s_load_dword s12, s[0:1], 0x40
	s_load_dwordx2 s[6:7], s[0:1], 0x30
	s_mov_b32 s5, 0
	s_mov_b32 s1, s5
	s_mul_i32 s0, s20, s21
	s_waitcnt lgkmcnt(0)
	s_add_i32 s4, s12, -1
	s_lshl_b64 s[4:5], s[4:5], 3
	s_add_u32 s4, s10, s4
	s_waitcnt vmcnt(2)
	v_mad_u64_u32 v[2:3], s[8:9], s12, v0, 0
	s_addc_u32 s5, s11, s5
	v_lshl_add_u64 v[2:3], v[2:3], 3, s[4:5]
	s_mul_hi_u32 s5, s12, s0
	s_mul_i32 s4, s12, s0
	s_lshl_b64 s[4:5], s[4:5], 3
	v_lshl_add_u64 v[4:5], v[0:1], 3, s[6:7]
	s_lshl_b64 s[6:7], s[0:1], 3
	s_mov_b64 s[8:9], 0
.LBB114_15:                             ; =>This Inner Loop Header: Depth=1
	global_load_dwordx2 v[6:7], v[2:3], off
	v_lshl_add_u64 v[0:1], v[0:1], 0, s[0:1]
	v_cmp_le_u64_e32 vcc, s[2:3], v[0:1]
	v_lshl_add_u64 v[2:3], v[2:3], 0, s[4:5]
	s_or_b64 s[8:9], vcc, s[8:9]
	s_waitcnt vmcnt(0)
	global_store_dwordx2 v[4:5], v[6:7], off
	v_lshl_add_u64 v[4:5], v[4:5], 0, s[6:7]
	s_andn2_b64 exec, exec, s[8:9]
	s_cbranch_execnz .LBB114_15
.LBB114_16:
	s_endpgm
	.section	.rodata,"a",@progbits
	.p2align	6, 0x0
	.amdhsa_kernel _ZN7rocprim17ROCPRIM_400000_NS6detail30init_device_scan_by_key_kernelINS1_19lookback_scan_stateINS0_5tupleIJlbEEELb1ELb0EEEPKljNS1_16block_id_wrapperIjLb0EEEEEvT_jjPNSB_10value_typeET0_PNSt15iterator_traitsISE_E10value_typeEmT1_T2_
		.amdhsa_group_segment_fixed_size 0
		.amdhsa_private_segment_fixed_size 0
		.amdhsa_kernarg_size 328
		.amdhsa_user_sgpr_count 2
		.amdhsa_user_sgpr_dispatch_ptr 0
		.amdhsa_user_sgpr_queue_ptr 0
		.amdhsa_user_sgpr_kernarg_segment_ptr 1
		.amdhsa_user_sgpr_dispatch_id 0
		.amdhsa_user_sgpr_kernarg_preload_length 0
		.amdhsa_user_sgpr_kernarg_preload_offset 0
		.amdhsa_user_sgpr_private_segment_size 0
		.amdhsa_uses_dynamic_stack 0
		.amdhsa_enable_private_segment 0
		.amdhsa_system_sgpr_workgroup_id_x 1
		.amdhsa_system_sgpr_workgroup_id_y 0
		.amdhsa_system_sgpr_workgroup_id_z 0
		.amdhsa_system_sgpr_workgroup_info 0
		.amdhsa_system_vgpr_workitem_id 0
		.amdhsa_next_free_vgpr 8
		.amdhsa_next_free_sgpr 24
		.amdhsa_accum_offset 8
		.amdhsa_reserve_vcc 1
		.amdhsa_float_round_mode_32 0
		.amdhsa_float_round_mode_16_64 0
		.amdhsa_float_denorm_mode_32 3
		.amdhsa_float_denorm_mode_16_64 3
		.amdhsa_dx10_clamp 1
		.amdhsa_ieee_mode 1
		.amdhsa_fp16_overflow 0
		.amdhsa_tg_split 0
		.amdhsa_exception_fp_ieee_invalid_op 0
		.amdhsa_exception_fp_denorm_src 0
		.amdhsa_exception_fp_ieee_div_zero 0
		.amdhsa_exception_fp_ieee_overflow 0
		.amdhsa_exception_fp_ieee_underflow 0
		.amdhsa_exception_fp_ieee_inexact 0
		.amdhsa_exception_int_div_zero 0
	.end_amdhsa_kernel
	.section	.text._ZN7rocprim17ROCPRIM_400000_NS6detail30init_device_scan_by_key_kernelINS1_19lookback_scan_stateINS0_5tupleIJlbEEELb1ELb0EEEPKljNS1_16block_id_wrapperIjLb0EEEEEvT_jjPNSB_10value_typeET0_PNSt15iterator_traitsISE_E10value_typeEmT1_T2_,"axG",@progbits,_ZN7rocprim17ROCPRIM_400000_NS6detail30init_device_scan_by_key_kernelINS1_19lookback_scan_stateINS0_5tupleIJlbEEELb1ELb0EEEPKljNS1_16block_id_wrapperIjLb0EEEEEvT_jjPNSB_10value_typeET0_PNSt15iterator_traitsISE_E10value_typeEmT1_T2_,comdat
.Lfunc_end114:
	.size	_ZN7rocprim17ROCPRIM_400000_NS6detail30init_device_scan_by_key_kernelINS1_19lookback_scan_stateINS0_5tupleIJlbEEELb1ELb0EEEPKljNS1_16block_id_wrapperIjLb0EEEEEvT_jjPNSB_10value_typeET0_PNSt15iterator_traitsISE_E10value_typeEmT1_T2_, .Lfunc_end114-_ZN7rocprim17ROCPRIM_400000_NS6detail30init_device_scan_by_key_kernelINS1_19lookback_scan_stateINS0_5tupleIJlbEEELb1ELb0EEEPKljNS1_16block_id_wrapperIjLb0EEEEEvT_jjPNSB_10value_typeET0_PNSt15iterator_traitsISE_E10value_typeEmT1_T2_
                                        ; -- End function
	.set _ZN7rocprim17ROCPRIM_400000_NS6detail30init_device_scan_by_key_kernelINS1_19lookback_scan_stateINS0_5tupleIJlbEEELb1ELb0EEEPKljNS1_16block_id_wrapperIjLb0EEEEEvT_jjPNSB_10value_typeET0_PNSt15iterator_traitsISE_E10value_typeEmT1_T2_.num_vgpr, 8
	.set _ZN7rocprim17ROCPRIM_400000_NS6detail30init_device_scan_by_key_kernelINS1_19lookback_scan_stateINS0_5tupleIJlbEEELb1ELb0EEEPKljNS1_16block_id_wrapperIjLb0EEEEEvT_jjPNSB_10value_typeET0_PNSt15iterator_traitsISE_E10value_typeEmT1_T2_.num_agpr, 0
	.set _ZN7rocprim17ROCPRIM_400000_NS6detail30init_device_scan_by_key_kernelINS1_19lookback_scan_stateINS0_5tupleIJlbEEELb1ELb0EEEPKljNS1_16block_id_wrapperIjLb0EEEEEvT_jjPNSB_10value_typeET0_PNSt15iterator_traitsISE_E10value_typeEmT1_T2_.numbered_sgpr, 24
	.set _ZN7rocprim17ROCPRIM_400000_NS6detail30init_device_scan_by_key_kernelINS1_19lookback_scan_stateINS0_5tupleIJlbEEELb1ELb0EEEPKljNS1_16block_id_wrapperIjLb0EEEEEvT_jjPNSB_10value_typeET0_PNSt15iterator_traitsISE_E10value_typeEmT1_T2_.num_named_barrier, 0
	.set _ZN7rocprim17ROCPRIM_400000_NS6detail30init_device_scan_by_key_kernelINS1_19lookback_scan_stateINS0_5tupleIJlbEEELb1ELb0EEEPKljNS1_16block_id_wrapperIjLb0EEEEEvT_jjPNSB_10value_typeET0_PNSt15iterator_traitsISE_E10value_typeEmT1_T2_.private_seg_size, 0
	.set _ZN7rocprim17ROCPRIM_400000_NS6detail30init_device_scan_by_key_kernelINS1_19lookback_scan_stateINS0_5tupleIJlbEEELb1ELb0EEEPKljNS1_16block_id_wrapperIjLb0EEEEEvT_jjPNSB_10value_typeET0_PNSt15iterator_traitsISE_E10value_typeEmT1_T2_.uses_vcc, 1
	.set _ZN7rocprim17ROCPRIM_400000_NS6detail30init_device_scan_by_key_kernelINS1_19lookback_scan_stateINS0_5tupleIJlbEEELb1ELb0EEEPKljNS1_16block_id_wrapperIjLb0EEEEEvT_jjPNSB_10value_typeET0_PNSt15iterator_traitsISE_E10value_typeEmT1_T2_.uses_flat_scratch, 0
	.set _ZN7rocprim17ROCPRIM_400000_NS6detail30init_device_scan_by_key_kernelINS1_19lookback_scan_stateINS0_5tupleIJlbEEELb1ELb0EEEPKljNS1_16block_id_wrapperIjLb0EEEEEvT_jjPNSB_10value_typeET0_PNSt15iterator_traitsISE_E10value_typeEmT1_T2_.has_dyn_sized_stack, 0
	.set _ZN7rocprim17ROCPRIM_400000_NS6detail30init_device_scan_by_key_kernelINS1_19lookback_scan_stateINS0_5tupleIJlbEEELb1ELb0EEEPKljNS1_16block_id_wrapperIjLb0EEEEEvT_jjPNSB_10value_typeET0_PNSt15iterator_traitsISE_E10value_typeEmT1_T2_.has_recursion, 0
	.set _ZN7rocprim17ROCPRIM_400000_NS6detail30init_device_scan_by_key_kernelINS1_19lookback_scan_stateINS0_5tupleIJlbEEELb1ELb0EEEPKljNS1_16block_id_wrapperIjLb0EEEEEvT_jjPNSB_10value_typeET0_PNSt15iterator_traitsISE_E10value_typeEmT1_T2_.has_indirect_call, 0
	.section	.AMDGPU.csdata,"",@progbits
; Kernel info:
; codeLenInByte = 576
; TotalNumSgprs: 30
; NumVgprs: 8
; NumAgprs: 0
; TotalNumVgprs: 8
; ScratchSize: 0
; MemoryBound: 0
; FloatMode: 240
; IeeeMode: 1
; LDSByteSize: 0 bytes/workgroup (compile time only)
; SGPRBlocks: 3
; VGPRBlocks: 0
; NumSGPRsForWavesPerEU: 30
; NumVGPRsForWavesPerEU: 8
; AccumOffset: 8
; Occupancy: 8
; WaveLimiterHint : 0
; COMPUTE_PGM_RSRC2:SCRATCH_EN: 0
; COMPUTE_PGM_RSRC2:USER_SGPR: 2
; COMPUTE_PGM_RSRC2:TRAP_HANDLER: 0
; COMPUTE_PGM_RSRC2:TGID_X_EN: 1
; COMPUTE_PGM_RSRC2:TGID_Y_EN: 0
; COMPUTE_PGM_RSRC2:TGID_Z_EN: 0
; COMPUTE_PGM_RSRC2:TIDIG_COMP_CNT: 0
; COMPUTE_PGM_RSRC3_GFX90A:ACCUM_OFFSET: 1
; COMPUTE_PGM_RSRC3_GFX90A:TG_SPLIT: 0
	.section	.text._ZN7rocprim17ROCPRIM_400000_NS6detail30init_device_scan_by_key_kernelINS1_19lookback_scan_stateINS0_5tupleIJlbEEELb1ELb0EEENS1_16block_id_wrapperIjLb0EEEEEvT_jjPNS9_10value_typeET0_,"axG",@progbits,_ZN7rocprim17ROCPRIM_400000_NS6detail30init_device_scan_by_key_kernelINS1_19lookback_scan_stateINS0_5tupleIJlbEEELb1ELb0EEENS1_16block_id_wrapperIjLb0EEEEEvT_jjPNS9_10value_typeET0_,comdat
	.protected	_ZN7rocprim17ROCPRIM_400000_NS6detail30init_device_scan_by_key_kernelINS1_19lookback_scan_stateINS0_5tupleIJlbEEELb1ELb0EEENS1_16block_id_wrapperIjLb0EEEEEvT_jjPNS9_10value_typeET0_ ; -- Begin function _ZN7rocprim17ROCPRIM_400000_NS6detail30init_device_scan_by_key_kernelINS1_19lookback_scan_stateINS0_5tupleIJlbEEELb1ELb0EEENS1_16block_id_wrapperIjLb0EEEEEvT_jjPNS9_10value_typeET0_
	.globl	_ZN7rocprim17ROCPRIM_400000_NS6detail30init_device_scan_by_key_kernelINS1_19lookback_scan_stateINS0_5tupleIJlbEEELb1ELb0EEENS1_16block_id_wrapperIjLb0EEEEEvT_jjPNS9_10value_typeET0_
	.p2align	8
	.type	_ZN7rocprim17ROCPRIM_400000_NS6detail30init_device_scan_by_key_kernelINS1_19lookback_scan_stateINS0_5tupleIJlbEEELb1ELb0EEENS1_16block_id_wrapperIjLb0EEEEEvT_jjPNS9_10value_typeET0_,@function
_ZN7rocprim17ROCPRIM_400000_NS6detail30init_device_scan_by_key_kernelINS1_19lookback_scan_stateINS0_5tupleIJlbEEELb1ELb0EEENS1_16block_id_wrapperIjLb0EEEEEvT_jjPNS9_10value_typeET0_: ; @_ZN7rocprim17ROCPRIM_400000_NS6detail30init_device_scan_by_key_kernelINS1_19lookback_scan_stateINS0_5tupleIJlbEEELb1ELb0EEENS1_16block_id_wrapperIjLb0EEEEEvT_jjPNS9_10value_typeET0_
; %bb.0:
	s_load_dword s3, s[0:1], 0x3c
	s_load_dwordx2 s[12:13], s[0:1], 0x20
	s_load_dwordx4 s[4:7], s[0:1], 0x10
	s_waitcnt lgkmcnt(0)
	s_and_b32 s3, s3, 0xffff
	s_mul_i32 s2, s2, s3
	s_cmp_eq_u64 s[12:13], 0
	v_add_u32_e32 v0, s2, v0
	s_cbranch_scc1 .LBB115_9
; %bb.1:
	s_cmp_lt_u32 s7, s6
	s_cselect_b32 s2, s7, 0
	s_mov_b32 s15, 0
	v_cmp_eq_u32_e32 vcc, s2, v0
	s_and_saveexec_b64 s[2:3], vcc
	s_cbranch_execz .LBB115_8
; %bb.2:
	s_add_i32 s14, s7, 64
	v_mov_b32_e32 v1, s14
	global_load_ubyte v2, v1, s[4:5] sc1
	s_load_dwordx4 s[8:11], s[0:1], 0x0
	v_mov_b32_e32 v1, 0
	s_add_u32 s0, s4, s14
	s_addc_u32 s1, s5, 0
	s_waitcnt vmcnt(0)
	v_cmp_ne_u32_sdwa s[16:17], v2, v1 src0_sel:WORD_0 src1_sel:DWORD
	s_and_b64 vcc, exec, s[16:17]
	v_readfirstlane_b32 s16, v2
	s_cbranch_vccnz .LBB115_7
; %bb.3:
	s_mov_b32 s7, 1
.LBB115_4:                              ; =>This Loop Header: Depth=1
                                        ;     Child Loop BB115_5 Depth 2
	s_mov_b32 s16, s7
.LBB115_5:                              ;   Parent Loop BB115_4 Depth=1
                                        ; =>  This Inner Loop Header: Depth=2
	s_add_i32 s16, s16, -1
	s_cmp_eq_u32 s16, 0
	s_sleep 1
	s_cbranch_scc0 .LBB115_5
; %bb.6:                                ;   in Loop: Header=BB115_4 Depth=1
	global_load_ubyte v2, v1, s[0:1] sc1
	s_cmp_lt_u32 s7, 32
	s_cselect_b64 s[16:17], -1, 0
	s_cmp_lg_u64 s[16:17], 0
	s_addc_u32 s7, s7, 0
	s_waitcnt vmcnt(0)
	v_cmp_ne_u32_sdwa s[16:17], v2, v1 src0_sel:WORD_0 src1_sel:DWORD
	s_and_b64 vcc, exec, s[16:17]
	v_readfirstlane_b32 s16, v2
	s_cbranch_vccz .LBB115_4
.LBB115_7:
	s_and_b32 s0, 0xffff, s16
	s_cmp_eq_u32 s0, 1
	s_waitcnt lgkmcnt(0)
	s_cselect_b32 s7, s9, s11
	s_cselect_b32 s8, s8, s10
	s_lshl_b64 s[0:1], s[14:15], 4
	s_add_u32 s0, s8, s0
	s_addc_u32 s1, s7, s1
	v_mov_b32_e32 v1, 0
	s_waitcnt vmcnt(0)
	global_load_dword v4, v1, s[0:1] sc1
	global_load_dword v5, v1, s[0:1] offset:4 sc1
	global_load_dword v2, v1, s[0:1] offset:8 sc1
	;; [unrolled: 1-line block ×3, first 2 shown]
	s_waitcnt vmcnt(2)
	global_store_dwordx2 v1, v[4:5], s[12:13]
	s_waitcnt vmcnt(2)
	global_store_byte v1, v2, s[12:13] offset:8
.LBB115_8:
	s_or_b64 exec, exec, s[2:3]
.LBB115_9:
	v_cmp_gt_u32_e32 vcc, s6, v0
	s_and_saveexec_b64 s[0:1], vcc
	s_cbranch_execnz .LBB115_12
; %bb.10:
	s_or_b64 exec, exec, s[0:1]
	v_cmp_gt_u32_e32 vcc, 64, v0
	s_and_saveexec_b64 s[0:1], vcc
	s_cbranch_execnz .LBB115_13
.LBB115_11:
	s_endpgm
.LBB115_12:
	v_add_u32_e32 v1, 64, v0
	v_mov_b32_e32 v2, 0
	global_store_byte v1, v2, s[4:5]
	s_or_b64 exec, exec, s[0:1]
	v_cmp_gt_u32_e32 vcc, 64, v0
	s_and_saveexec_b64 s[0:1], vcc
	s_cbranch_execz .LBB115_11
.LBB115_13:
	v_mov_b32_e32 v1, 0xff
	global_store_byte v0, v1, s[4:5]
	s_endpgm
	.section	.rodata,"a",@progbits
	.p2align	6, 0x0
	.amdhsa_kernel _ZN7rocprim17ROCPRIM_400000_NS6detail30init_device_scan_by_key_kernelINS1_19lookback_scan_stateINS0_5tupleIJlbEEELb1ELb0EEENS1_16block_id_wrapperIjLb0EEEEEvT_jjPNS9_10value_typeET0_
		.amdhsa_group_segment_fixed_size 0
		.amdhsa_private_segment_fixed_size 0
		.amdhsa_kernarg_size 304
		.amdhsa_user_sgpr_count 2
		.amdhsa_user_sgpr_dispatch_ptr 0
		.amdhsa_user_sgpr_queue_ptr 0
		.amdhsa_user_sgpr_kernarg_segment_ptr 1
		.amdhsa_user_sgpr_dispatch_id 0
		.amdhsa_user_sgpr_kernarg_preload_length 0
		.amdhsa_user_sgpr_kernarg_preload_offset 0
		.amdhsa_user_sgpr_private_segment_size 0
		.amdhsa_uses_dynamic_stack 0
		.amdhsa_enable_private_segment 0
		.amdhsa_system_sgpr_workgroup_id_x 1
		.amdhsa_system_sgpr_workgroup_id_y 0
		.amdhsa_system_sgpr_workgroup_id_z 0
		.amdhsa_system_sgpr_workgroup_info 0
		.amdhsa_system_vgpr_workitem_id 0
		.amdhsa_next_free_vgpr 6
		.amdhsa_next_free_sgpr 18
		.amdhsa_accum_offset 8
		.amdhsa_reserve_vcc 1
		.amdhsa_float_round_mode_32 0
		.amdhsa_float_round_mode_16_64 0
		.amdhsa_float_denorm_mode_32 3
		.amdhsa_float_denorm_mode_16_64 3
		.amdhsa_dx10_clamp 1
		.amdhsa_ieee_mode 1
		.amdhsa_fp16_overflow 0
		.amdhsa_tg_split 0
		.amdhsa_exception_fp_ieee_invalid_op 0
		.amdhsa_exception_fp_denorm_src 0
		.amdhsa_exception_fp_ieee_div_zero 0
		.amdhsa_exception_fp_ieee_overflow 0
		.amdhsa_exception_fp_ieee_underflow 0
		.amdhsa_exception_fp_ieee_inexact 0
		.amdhsa_exception_int_div_zero 0
	.end_amdhsa_kernel
	.section	.text._ZN7rocprim17ROCPRIM_400000_NS6detail30init_device_scan_by_key_kernelINS1_19lookback_scan_stateINS0_5tupleIJlbEEELb1ELb0EEENS1_16block_id_wrapperIjLb0EEEEEvT_jjPNS9_10value_typeET0_,"axG",@progbits,_ZN7rocprim17ROCPRIM_400000_NS6detail30init_device_scan_by_key_kernelINS1_19lookback_scan_stateINS0_5tupleIJlbEEELb1ELb0EEENS1_16block_id_wrapperIjLb0EEEEEvT_jjPNS9_10value_typeET0_,comdat
.Lfunc_end115:
	.size	_ZN7rocprim17ROCPRIM_400000_NS6detail30init_device_scan_by_key_kernelINS1_19lookback_scan_stateINS0_5tupleIJlbEEELb1ELb0EEENS1_16block_id_wrapperIjLb0EEEEEvT_jjPNS9_10value_typeET0_, .Lfunc_end115-_ZN7rocprim17ROCPRIM_400000_NS6detail30init_device_scan_by_key_kernelINS1_19lookback_scan_stateINS0_5tupleIJlbEEELb1ELb0EEENS1_16block_id_wrapperIjLb0EEEEEvT_jjPNS9_10value_typeET0_
                                        ; -- End function
	.set _ZN7rocprim17ROCPRIM_400000_NS6detail30init_device_scan_by_key_kernelINS1_19lookback_scan_stateINS0_5tupleIJlbEEELb1ELb0EEENS1_16block_id_wrapperIjLb0EEEEEvT_jjPNS9_10value_typeET0_.num_vgpr, 6
	.set _ZN7rocprim17ROCPRIM_400000_NS6detail30init_device_scan_by_key_kernelINS1_19lookback_scan_stateINS0_5tupleIJlbEEELb1ELb0EEENS1_16block_id_wrapperIjLb0EEEEEvT_jjPNS9_10value_typeET0_.num_agpr, 0
	.set _ZN7rocprim17ROCPRIM_400000_NS6detail30init_device_scan_by_key_kernelINS1_19lookback_scan_stateINS0_5tupleIJlbEEELb1ELb0EEENS1_16block_id_wrapperIjLb0EEEEEvT_jjPNS9_10value_typeET0_.numbered_sgpr, 18
	.set _ZN7rocprim17ROCPRIM_400000_NS6detail30init_device_scan_by_key_kernelINS1_19lookback_scan_stateINS0_5tupleIJlbEEELb1ELb0EEENS1_16block_id_wrapperIjLb0EEEEEvT_jjPNS9_10value_typeET0_.num_named_barrier, 0
	.set _ZN7rocprim17ROCPRIM_400000_NS6detail30init_device_scan_by_key_kernelINS1_19lookback_scan_stateINS0_5tupleIJlbEEELb1ELb0EEENS1_16block_id_wrapperIjLb0EEEEEvT_jjPNS9_10value_typeET0_.private_seg_size, 0
	.set _ZN7rocprim17ROCPRIM_400000_NS6detail30init_device_scan_by_key_kernelINS1_19lookback_scan_stateINS0_5tupleIJlbEEELb1ELb0EEENS1_16block_id_wrapperIjLb0EEEEEvT_jjPNS9_10value_typeET0_.uses_vcc, 1
	.set _ZN7rocprim17ROCPRIM_400000_NS6detail30init_device_scan_by_key_kernelINS1_19lookback_scan_stateINS0_5tupleIJlbEEELb1ELb0EEENS1_16block_id_wrapperIjLb0EEEEEvT_jjPNS9_10value_typeET0_.uses_flat_scratch, 0
	.set _ZN7rocprim17ROCPRIM_400000_NS6detail30init_device_scan_by_key_kernelINS1_19lookback_scan_stateINS0_5tupleIJlbEEELb1ELb0EEENS1_16block_id_wrapperIjLb0EEEEEvT_jjPNS9_10value_typeET0_.has_dyn_sized_stack, 0
	.set _ZN7rocprim17ROCPRIM_400000_NS6detail30init_device_scan_by_key_kernelINS1_19lookback_scan_stateINS0_5tupleIJlbEEELb1ELb0EEENS1_16block_id_wrapperIjLb0EEEEEvT_jjPNS9_10value_typeET0_.has_recursion, 0
	.set _ZN7rocprim17ROCPRIM_400000_NS6detail30init_device_scan_by_key_kernelINS1_19lookback_scan_stateINS0_5tupleIJlbEEELb1ELb0EEENS1_16block_id_wrapperIjLb0EEEEEvT_jjPNS9_10value_typeET0_.has_indirect_call, 0
	.section	.AMDGPU.csdata,"",@progbits
; Kernel info:
; codeLenInByte = 396
; TotalNumSgprs: 24
; NumVgprs: 6
; NumAgprs: 0
; TotalNumVgprs: 6
; ScratchSize: 0
; MemoryBound: 0
; FloatMode: 240
; IeeeMode: 1
; LDSByteSize: 0 bytes/workgroup (compile time only)
; SGPRBlocks: 2
; VGPRBlocks: 0
; NumSGPRsForWavesPerEU: 24
; NumVGPRsForWavesPerEU: 6
; AccumOffset: 8
; Occupancy: 8
; WaveLimiterHint : 0
; COMPUTE_PGM_RSRC2:SCRATCH_EN: 0
; COMPUTE_PGM_RSRC2:USER_SGPR: 2
; COMPUTE_PGM_RSRC2:TRAP_HANDLER: 0
; COMPUTE_PGM_RSRC2:TGID_X_EN: 1
; COMPUTE_PGM_RSRC2:TGID_Y_EN: 0
; COMPUTE_PGM_RSRC2:TGID_Z_EN: 0
; COMPUTE_PGM_RSRC2:TIDIG_COMP_CNT: 0
; COMPUTE_PGM_RSRC3_GFX90A:ACCUM_OFFSET: 1
; COMPUTE_PGM_RSRC3_GFX90A:TG_SPLIT: 0
	.section	.text._ZN7rocprim17ROCPRIM_400000_NS6detail17trampoline_kernelINS0_14default_configENS1_27scan_by_key_config_selectorIllEEZZNS1_16scan_by_key_implILNS1_25lookback_scan_determinismE0ELb0ES3_PKlN6hipcub16HIPCUB_304000_NS21ConstantInputIteratorIllEEPllNSB_3SumENSB_8EqualityElEE10hipError_tPvRmT2_T3_T4_T5_mT6_T7_P12ihipStream_tbENKUlT_T0_E_clISt17integral_constantIbLb1EESW_IbLb0EEEEDaSS_ST_EUlSS_E_NS1_11comp_targetILNS1_3genE0ELNS1_11target_archE4294967295ELNS1_3gpuE0ELNS1_3repE0EEENS1_30default_config_static_selectorELNS0_4arch9wavefront6targetE1EEEvT1_,"axG",@progbits,_ZN7rocprim17ROCPRIM_400000_NS6detail17trampoline_kernelINS0_14default_configENS1_27scan_by_key_config_selectorIllEEZZNS1_16scan_by_key_implILNS1_25lookback_scan_determinismE0ELb0ES3_PKlN6hipcub16HIPCUB_304000_NS21ConstantInputIteratorIllEEPllNSB_3SumENSB_8EqualityElEE10hipError_tPvRmT2_T3_T4_T5_mT6_T7_P12ihipStream_tbENKUlT_T0_E_clISt17integral_constantIbLb1EESW_IbLb0EEEEDaSS_ST_EUlSS_E_NS1_11comp_targetILNS1_3genE0ELNS1_11target_archE4294967295ELNS1_3gpuE0ELNS1_3repE0EEENS1_30default_config_static_selectorELNS0_4arch9wavefront6targetE1EEEvT1_,comdat
	.protected	_ZN7rocprim17ROCPRIM_400000_NS6detail17trampoline_kernelINS0_14default_configENS1_27scan_by_key_config_selectorIllEEZZNS1_16scan_by_key_implILNS1_25lookback_scan_determinismE0ELb0ES3_PKlN6hipcub16HIPCUB_304000_NS21ConstantInputIteratorIllEEPllNSB_3SumENSB_8EqualityElEE10hipError_tPvRmT2_T3_T4_T5_mT6_T7_P12ihipStream_tbENKUlT_T0_E_clISt17integral_constantIbLb1EESW_IbLb0EEEEDaSS_ST_EUlSS_E_NS1_11comp_targetILNS1_3genE0ELNS1_11target_archE4294967295ELNS1_3gpuE0ELNS1_3repE0EEENS1_30default_config_static_selectorELNS0_4arch9wavefront6targetE1EEEvT1_ ; -- Begin function _ZN7rocprim17ROCPRIM_400000_NS6detail17trampoline_kernelINS0_14default_configENS1_27scan_by_key_config_selectorIllEEZZNS1_16scan_by_key_implILNS1_25lookback_scan_determinismE0ELb0ES3_PKlN6hipcub16HIPCUB_304000_NS21ConstantInputIteratorIllEEPllNSB_3SumENSB_8EqualityElEE10hipError_tPvRmT2_T3_T4_T5_mT6_T7_P12ihipStream_tbENKUlT_T0_E_clISt17integral_constantIbLb1EESW_IbLb0EEEEDaSS_ST_EUlSS_E_NS1_11comp_targetILNS1_3genE0ELNS1_11target_archE4294967295ELNS1_3gpuE0ELNS1_3repE0EEENS1_30default_config_static_selectorELNS0_4arch9wavefront6targetE1EEEvT1_
	.globl	_ZN7rocprim17ROCPRIM_400000_NS6detail17trampoline_kernelINS0_14default_configENS1_27scan_by_key_config_selectorIllEEZZNS1_16scan_by_key_implILNS1_25lookback_scan_determinismE0ELb0ES3_PKlN6hipcub16HIPCUB_304000_NS21ConstantInputIteratorIllEEPllNSB_3SumENSB_8EqualityElEE10hipError_tPvRmT2_T3_T4_T5_mT6_T7_P12ihipStream_tbENKUlT_T0_E_clISt17integral_constantIbLb1EESW_IbLb0EEEEDaSS_ST_EUlSS_E_NS1_11comp_targetILNS1_3genE0ELNS1_11target_archE4294967295ELNS1_3gpuE0ELNS1_3repE0EEENS1_30default_config_static_selectorELNS0_4arch9wavefront6targetE1EEEvT1_
	.p2align	8
	.type	_ZN7rocprim17ROCPRIM_400000_NS6detail17trampoline_kernelINS0_14default_configENS1_27scan_by_key_config_selectorIllEEZZNS1_16scan_by_key_implILNS1_25lookback_scan_determinismE0ELb0ES3_PKlN6hipcub16HIPCUB_304000_NS21ConstantInputIteratorIllEEPllNSB_3SumENSB_8EqualityElEE10hipError_tPvRmT2_T3_T4_T5_mT6_T7_P12ihipStream_tbENKUlT_T0_E_clISt17integral_constantIbLb1EESW_IbLb0EEEEDaSS_ST_EUlSS_E_NS1_11comp_targetILNS1_3genE0ELNS1_11target_archE4294967295ELNS1_3gpuE0ELNS1_3repE0EEENS1_30default_config_static_selectorELNS0_4arch9wavefront6targetE1EEEvT1_,@function
_ZN7rocprim17ROCPRIM_400000_NS6detail17trampoline_kernelINS0_14default_configENS1_27scan_by_key_config_selectorIllEEZZNS1_16scan_by_key_implILNS1_25lookback_scan_determinismE0ELb0ES3_PKlN6hipcub16HIPCUB_304000_NS21ConstantInputIteratorIllEEPllNSB_3SumENSB_8EqualityElEE10hipError_tPvRmT2_T3_T4_T5_mT6_T7_P12ihipStream_tbENKUlT_T0_E_clISt17integral_constantIbLb1EESW_IbLb0EEEEDaSS_ST_EUlSS_E_NS1_11comp_targetILNS1_3genE0ELNS1_11target_archE4294967295ELNS1_3gpuE0ELNS1_3repE0EEENS1_30default_config_static_selectorELNS0_4arch9wavefront6targetE1EEEvT1_: ; @_ZN7rocprim17ROCPRIM_400000_NS6detail17trampoline_kernelINS0_14default_configENS1_27scan_by_key_config_selectorIllEEZZNS1_16scan_by_key_implILNS1_25lookback_scan_determinismE0ELb0ES3_PKlN6hipcub16HIPCUB_304000_NS21ConstantInputIteratorIllEEPllNSB_3SumENSB_8EqualityElEE10hipError_tPvRmT2_T3_T4_T5_mT6_T7_P12ihipStream_tbENKUlT_T0_E_clISt17integral_constantIbLb1EESW_IbLb0EEEEDaSS_ST_EUlSS_E_NS1_11comp_targetILNS1_3genE0ELNS1_11target_archE4294967295ELNS1_3gpuE0ELNS1_3repE0EEENS1_30default_config_static_selectorELNS0_4arch9wavefront6targetE1EEEvT1_
; %bb.0:
	s_endpgm
	.section	.rodata,"a",@progbits
	.p2align	6, 0x0
	.amdhsa_kernel _ZN7rocprim17ROCPRIM_400000_NS6detail17trampoline_kernelINS0_14default_configENS1_27scan_by_key_config_selectorIllEEZZNS1_16scan_by_key_implILNS1_25lookback_scan_determinismE0ELb0ES3_PKlN6hipcub16HIPCUB_304000_NS21ConstantInputIteratorIllEEPllNSB_3SumENSB_8EqualityElEE10hipError_tPvRmT2_T3_T4_T5_mT6_T7_P12ihipStream_tbENKUlT_T0_E_clISt17integral_constantIbLb1EESW_IbLb0EEEEDaSS_ST_EUlSS_E_NS1_11comp_targetILNS1_3genE0ELNS1_11target_archE4294967295ELNS1_3gpuE0ELNS1_3repE0EEENS1_30default_config_static_selectorELNS0_4arch9wavefront6targetE1EEEvT1_
		.amdhsa_group_segment_fixed_size 0
		.amdhsa_private_segment_fixed_size 0
		.amdhsa_kernarg_size 144
		.amdhsa_user_sgpr_count 2
		.amdhsa_user_sgpr_dispatch_ptr 0
		.amdhsa_user_sgpr_queue_ptr 0
		.amdhsa_user_sgpr_kernarg_segment_ptr 1
		.amdhsa_user_sgpr_dispatch_id 0
		.amdhsa_user_sgpr_kernarg_preload_length 0
		.amdhsa_user_sgpr_kernarg_preload_offset 0
		.amdhsa_user_sgpr_private_segment_size 0
		.amdhsa_uses_dynamic_stack 0
		.amdhsa_enable_private_segment 0
		.amdhsa_system_sgpr_workgroup_id_x 1
		.amdhsa_system_sgpr_workgroup_id_y 0
		.amdhsa_system_sgpr_workgroup_id_z 0
		.amdhsa_system_sgpr_workgroup_info 0
		.amdhsa_system_vgpr_workitem_id 0
		.amdhsa_next_free_vgpr 1
		.amdhsa_next_free_sgpr 0
		.amdhsa_accum_offset 4
		.amdhsa_reserve_vcc 0
		.amdhsa_float_round_mode_32 0
		.amdhsa_float_round_mode_16_64 0
		.amdhsa_float_denorm_mode_32 3
		.amdhsa_float_denorm_mode_16_64 3
		.amdhsa_dx10_clamp 1
		.amdhsa_ieee_mode 1
		.amdhsa_fp16_overflow 0
		.amdhsa_tg_split 0
		.amdhsa_exception_fp_ieee_invalid_op 0
		.amdhsa_exception_fp_denorm_src 0
		.amdhsa_exception_fp_ieee_div_zero 0
		.amdhsa_exception_fp_ieee_overflow 0
		.amdhsa_exception_fp_ieee_underflow 0
		.amdhsa_exception_fp_ieee_inexact 0
		.amdhsa_exception_int_div_zero 0
	.end_amdhsa_kernel
	.section	.text._ZN7rocprim17ROCPRIM_400000_NS6detail17trampoline_kernelINS0_14default_configENS1_27scan_by_key_config_selectorIllEEZZNS1_16scan_by_key_implILNS1_25lookback_scan_determinismE0ELb0ES3_PKlN6hipcub16HIPCUB_304000_NS21ConstantInputIteratorIllEEPllNSB_3SumENSB_8EqualityElEE10hipError_tPvRmT2_T3_T4_T5_mT6_T7_P12ihipStream_tbENKUlT_T0_E_clISt17integral_constantIbLb1EESW_IbLb0EEEEDaSS_ST_EUlSS_E_NS1_11comp_targetILNS1_3genE0ELNS1_11target_archE4294967295ELNS1_3gpuE0ELNS1_3repE0EEENS1_30default_config_static_selectorELNS0_4arch9wavefront6targetE1EEEvT1_,"axG",@progbits,_ZN7rocprim17ROCPRIM_400000_NS6detail17trampoline_kernelINS0_14default_configENS1_27scan_by_key_config_selectorIllEEZZNS1_16scan_by_key_implILNS1_25lookback_scan_determinismE0ELb0ES3_PKlN6hipcub16HIPCUB_304000_NS21ConstantInputIteratorIllEEPllNSB_3SumENSB_8EqualityElEE10hipError_tPvRmT2_T3_T4_T5_mT6_T7_P12ihipStream_tbENKUlT_T0_E_clISt17integral_constantIbLb1EESW_IbLb0EEEEDaSS_ST_EUlSS_E_NS1_11comp_targetILNS1_3genE0ELNS1_11target_archE4294967295ELNS1_3gpuE0ELNS1_3repE0EEENS1_30default_config_static_selectorELNS0_4arch9wavefront6targetE1EEEvT1_,comdat
.Lfunc_end116:
	.size	_ZN7rocprim17ROCPRIM_400000_NS6detail17trampoline_kernelINS0_14default_configENS1_27scan_by_key_config_selectorIllEEZZNS1_16scan_by_key_implILNS1_25lookback_scan_determinismE0ELb0ES3_PKlN6hipcub16HIPCUB_304000_NS21ConstantInputIteratorIllEEPllNSB_3SumENSB_8EqualityElEE10hipError_tPvRmT2_T3_T4_T5_mT6_T7_P12ihipStream_tbENKUlT_T0_E_clISt17integral_constantIbLb1EESW_IbLb0EEEEDaSS_ST_EUlSS_E_NS1_11comp_targetILNS1_3genE0ELNS1_11target_archE4294967295ELNS1_3gpuE0ELNS1_3repE0EEENS1_30default_config_static_selectorELNS0_4arch9wavefront6targetE1EEEvT1_, .Lfunc_end116-_ZN7rocprim17ROCPRIM_400000_NS6detail17trampoline_kernelINS0_14default_configENS1_27scan_by_key_config_selectorIllEEZZNS1_16scan_by_key_implILNS1_25lookback_scan_determinismE0ELb0ES3_PKlN6hipcub16HIPCUB_304000_NS21ConstantInputIteratorIllEEPllNSB_3SumENSB_8EqualityElEE10hipError_tPvRmT2_T3_T4_T5_mT6_T7_P12ihipStream_tbENKUlT_T0_E_clISt17integral_constantIbLb1EESW_IbLb0EEEEDaSS_ST_EUlSS_E_NS1_11comp_targetILNS1_3genE0ELNS1_11target_archE4294967295ELNS1_3gpuE0ELNS1_3repE0EEENS1_30default_config_static_selectorELNS0_4arch9wavefront6targetE1EEEvT1_
                                        ; -- End function
	.set _ZN7rocprim17ROCPRIM_400000_NS6detail17trampoline_kernelINS0_14default_configENS1_27scan_by_key_config_selectorIllEEZZNS1_16scan_by_key_implILNS1_25lookback_scan_determinismE0ELb0ES3_PKlN6hipcub16HIPCUB_304000_NS21ConstantInputIteratorIllEEPllNSB_3SumENSB_8EqualityElEE10hipError_tPvRmT2_T3_T4_T5_mT6_T7_P12ihipStream_tbENKUlT_T0_E_clISt17integral_constantIbLb1EESW_IbLb0EEEEDaSS_ST_EUlSS_E_NS1_11comp_targetILNS1_3genE0ELNS1_11target_archE4294967295ELNS1_3gpuE0ELNS1_3repE0EEENS1_30default_config_static_selectorELNS0_4arch9wavefront6targetE1EEEvT1_.num_vgpr, 0
	.set _ZN7rocprim17ROCPRIM_400000_NS6detail17trampoline_kernelINS0_14default_configENS1_27scan_by_key_config_selectorIllEEZZNS1_16scan_by_key_implILNS1_25lookback_scan_determinismE0ELb0ES3_PKlN6hipcub16HIPCUB_304000_NS21ConstantInputIteratorIllEEPllNSB_3SumENSB_8EqualityElEE10hipError_tPvRmT2_T3_T4_T5_mT6_T7_P12ihipStream_tbENKUlT_T0_E_clISt17integral_constantIbLb1EESW_IbLb0EEEEDaSS_ST_EUlSS_E_NS1_11comp_targetILNS1_3genE0ELNS1_11target_archE4294967295ELNS1_3gpuE0ELNS1_3repE0EEENS1_30default_config_static_selectorELNS0_4arch9wavefront6targetE1EEEvT1_.num_agpr, 0
	.set _ZN7rocprim17ROCPRIM_400000_NS6detail17trampoline_kernelINS0_14default_configENS1_27scan_by_key_config_selectorIllEEZZNS1_16scan_by_key_implILNS1_25lookback_scan_determinismE0ELb0ES3_PKlN6hipcub16HIPCUB_304000_NS21ConstantInputIteratorIllEEPllNSB_3SumENSB_8EqualityElEE10hipError_tPvRmT2_T3_T4_T5_mT6_T7_P12ihipStream_tbENKUlT_T0_E_clISt17integral_constantIbLb1EESW_IbLb0EEEEDaSS_ST_EUlSS_E_NS1_11comp_targetILNS1_3genE0ELNS1_11target_archE4294967295ELNS1_3gpuE0ELNS1_3repE0EEENS1_30default_config_static_selectorELNS0_4arch9wavefront6targetE1EEEvT1_.numbered_sgpr, 0
	.set _ZN7rocprim17ROCPRIM_400000_NS6detail17trampoline_kernelINS0_14default_configENS1_27scan_by_key_config_selectorIllEEZZNS1_16scan_by_key_implILNS1_25lookback_scan_determinismE0ELb0ES3_PKlN6hipcub16HIPCUB_304000_NS21ConstantInputIteratorIllEEPllNSB_3SumENSB_8EqualityElEE10hipError_tPvRmT2_T3_T4_T5_mT6_T7_P12ihipStream_tbENKUlT_T0_E_clISt17integral_constantIbLb1EESW_IbLb0EEEEDaSS_ST_EUlSS_E_NS1_11comp_targetILNS1_3genE0ELNS1_11target_archE4294967295ELNS1_3gpuE0ELNS1_3repE0EEENS1_30default_config_static_selectorELNS0_4arch9wavefront6targetE1EEEvT1_.num_named_barrier, 0
	.set _ZN7rocprim17ROCPRIM_400000_NS6detail17trampoline_kernelINS0_14default_configENS1_27scan_by_key_config_selectorIllEEZZNS1_16scan_by_key_implILNS1_25lookback_scan_determinismE0ELb0ES3_PKlN6hipcub16HIPCUB_304000_NS21ConstantInputIteratorIllEEPllNSB_3SumENSB_8EqualityElEE10hipError_tPvRmT2_T3_T4_T5_mT6_T7_P12ihipStream_tbENKUlT_T0_E_clISt17integral_constantIbLb1EESW_IbLb0EEEEDaSS_ST_EUlSS_E_NS1_11comp_targetILNS1_3genE0ELNS1_11target_archE4294967295ELNS1_3gpuE0ELNS1_3repE0EEENS1_30default_config_static_selectorELNS0_4arch9wavefront6targetE1EEEvT1_.private_seg_size, 0
	.set _ZN7rocprim17ROCPRIM_400000_NS6detail17trampoline_kernelINS0_14default_configENS1_27scan_by_key_config_selectorIllEEZZNS1_16scan_by_key_implILNS1_25lookback_scan_determinismE0ELb0ES3_PKlN6hipcub16HIPCUB_304000_NS21ConstantInputIteratorIllEEPllNSB_3SumENSB_8EqualityElEE10hipError_tPvRmT2_T3_T4_T5_mT6_T7_P12ihipStream_tbENKUlT_T0_E_clISt17integral_constantIbLb1EESW_IbLb0EEEEDaSS_ST_EUlSS_E_NS1_11comp_targetILNS1_3genE0ELNS1_11target_archE4294967295ELNS1_3gpuE0ELNS1_3repE0EEENS1_30default_config_static_selectorELNS0_4arch9wavefront6targetE1EEEvT1_.uses_vcc, 0
	.set _ZN7rocprim17ROCPRIM_400000_NS6detail17trampoline_kernelINS0_14default_configENS1_27scan_by_key_config_selectorIllEEZZNS1_16scan_by_key_implILNS1_25lookback_scan_determinismE0ELb0ES3_PKlN6hipcub16HIPCUB_304000_NS21ConstantInputIteratorIllEEPllNSB_3SumENSB_8EqualityElEE10hipError_tPvRmT2_T3_T4_T5_mT6_T7_P12ihipStream_tbENKUlT_T0_E_clISt17integral_constantIbLb1EESW_IbLb0EEEEDaSS_ST_EUlSS_E_NS1_11comp_targetILNS1_3genE0ELNS1_11target_archE4294967295ELNS1_3gpuE0ELNS1_3repE0EEENS1_30default_config_static_selectorELNS0_4arch9wavefront6targetE1EEEvT1_.uses_flat_scratch, 0
	.set _ZN7rocprim17ROCPRIM_400000_NS6detail17trampoline_kernelINS0_14default_configENS1_27scan_by_key_config_selectorIllEEZZNS1_16scan_by_key_implILNS1_25lookback_scan_determinismE0ELb0ES3_PKlN6hipcub16HIPCUB_304000_NS21ConstantInputIteratorIllEEPllNSB_3SumENSB_8EqualityElEE10hipError_tPvRmT2_T3_T4_T5_mT6_T7_P12ihipStream_tbENKUlT_T0_E_clISt17integral_constantIbLb1EESW_IbLb0EEEEDaSS_ST_EUlSS_E_NS1_11comp_targetILNS1_3genE0ELNS1_11target_archE4294967295ELNS1_3gpuE0ELNS1_3repE0EEENS1_30default_config_static_selectorELNS0_4arch9wavefront6targetE1EEEvT1_.has_dyn_sized_stack, 0
	.set _ZN7rocprim17ROCPRIM_400000_NS6detail17trampoline_kernelINS0_14default_configENS1_27scan_by_key_config_selectorIllEEZZNS1_16scan_by_key_implILNS1_25lookback_scan_determinismE0ELb0ES3_PKlN6hipcub16HIPCUB_304000_NS21ConstantInputIteratorIllEEPllNSB_3SumENSB_8EqualityElEE10hipError_tPvRmT2_T3_T4_T5_mT6_T7_P12ihipStream_tbENKUlT_T0_E_clISt17integral_constantIbLb1EESW_IbLb0EEEEDaSS_ST_EUlSS_E_NS1_11comp_targetILNS1_3genE0ELNS1_11target_archE4294967295ELNS1_3gpuE0ELNS1_3repE0EEENS1_30default_config_static_selectorELNS0_4arch9wavefront6targetE1EEEvT1_.has_recursion, 0
	.set _ZN7rocprim17ROCPRIM_400000_NS6detail17trampoline_kernelINS0_14default_configENS1_27scan_by_key_config_selectorIllEEZZNS1_16scan_by_key_implILNS1_25lookback_scan_determinismE0ELb0ES3_PKlN6hipcub16HIPCUB_304000_NS21ConstantInputIteratorIllEEPllNSB_3SumENSB_8EqualityElEE10hipError_tPvRmT2_T3_T4_T5_mT6_T7_P12ihipStream_tbENKUlT_T0_E_clISt17integral_constantIbLb1EESW_IbLb0EEEEDaSS_ST_EUlSS_E_NS1_11comp_targetILNS1_3genE0ELNS1_11target_archE4294967295ELNS1_3gpuE0ELNS1_3repE0EEENS1_30default_config_static_selectorELNS0_4arch9wavefront6targetE1EEEvT1_.has_indirect_call, 0
	.section	.AMDGPU.csdata,"",@progbits
; Kernel info:
; codeLenInByte = 4
; TotalNumSgprs: 6
; NumVgprs: 0
; NumAgprs: 0
; TotalNumVgprs: 0
; ScratchSize: 0
; MemoryBound: 0
; FloatMode: 240
; IeeeMode: 1
; LDSByteSize: 0 bytes/workgroup (compile time only)
; SGPRBlocks: 0
; VGPRBlocks: 0
; NumSGPRsForWavesPerEU: 6
; NumVGPRsForWavesPerEU: 1
; AccumOffset: 4
; Occupancy: 8
; WaveLimiterHint : 0
; COMPUTE_PGM_RSRC2:SCRATCH_EN: 0
; COMPUTE_PGM_RSRC2:USER_SGPR: 2
; COMPUTE_PGM_RSRC2:TRAP_HANDLER: 0
; COMPUTE_PGM_RSRC2:TGID_X_EN: 1
; COMPUTE_PGM_RSRC2:TGID_Y_EN: 0
; COMPUTE_PGM_RSRC2:TGID_Z_EN: 0
; COMPUTE_PGM_RSRC2:TIDIG_COMP_CNT: 0
; COMPUTE_PGM_RSRC3_GFX90A:ACCUM_OFFSET: 0
; COMPUTE_PGM_RSRC3_GFX90A:TG_SPLIT: 0
	.section	.text._ZN7rocprim17ROCPRIM_400000_NS6detail17trampoline_kernelINS0_14default_configENS1_27scan_by_key_config_selectorIllEEZZNS1_16scan_by_key_implILNS1_25lookback_scan_determinismE0ELb0ES3_PKlN6hipcub16HIPCUB_304000_NS21ConstantInputIteratorIllEEPllNSB_3SumENSB_8EqualityElEE10hipError_tPvRmT2_T3_T4_T5_mT6_T7_P12ihipStream_tbENKUlT_T0_E_clISt17integral_constantIbLb1EESW_IbLb0EEEEDaSS_ST_EUlSS_E_NS1_11comp_targetILNS1_3genE10ELNS1_11target_archE1201ELNS1_3gpuE5ELNS1_3repE0EEENS1_30default_config_static_selectorELNS0_4arch9wavefront6targetE1EEEvT1_,"axG",@progbits,_ZN7rocprim17ROCPRIM_400000_NS6detail17trampoline_kernelINS0_14default_configENS1_27scan_by_key_config_selectorIllEEZZNS1_16scan_by_key_implILNS1_25lookback_scan_determinismE0ELb0ES3_PKlN6hipcub16HIPCUB_304000_NS21ConstantInputIteratorIllEEPllNSB_3SumENSB_8EqualityElEE10hipError_tPvRmT2_T3_T4_T5_mT6_T7_P12ihipStream_tbENKUlT_T0_E_clISt17integral_constantIbLb1EESW_IbLb0EEEEDaSS_ST_EUlSS_E_NS1_11comp_targetILNS1_3genE10ELNS1_11target_archE1201ELNS1_3gpuE5ELNS1_3repE0EEENS1_30default_config_static_selectorELNS0_4arch9wavefront6targetE1EEEvT1_,comdat
	.protected	_ZN7rocprim17ROCPRIM_400000_NS6detail17trampoline_kernelINS0_14default_configENS1_27scan_by_key_config_selectorIllEEZZNS1_16scan_by_key_implILNS1_25lookback_scan_determinismE0ELb0ES3_PKlN6hipcub16HIPCUB_304000_NS21ConstantInputIteratorIllEEPllNSB_3SumENSB_8EqualityElEE10hipError_tPvRmT2_T3_T4_T5_mT6_T7_P12ihipStream_tbENKUlT_T0_E_clISt17integral_constantIbLb1EESW_IbLb0EEEEDaSS_ST_EUlSS_E_NS1_11comp_targetILNS1_3genE10ELNS1_11target_archE1201ELNS1_3gpuE5ELNS1_3repE0EEENS1_30default_config_static_selectorELNS0_4arch9wavefront6targetE1EEEvT1_ ; -- Begin function _ZN7rocprim17ROCPRIM_400000_NS6detail17trampoline_kernelINS0_14default_configENS1_27scan_by_key_config_selectorIllEEZZNS1_16scan_by_key_implILNS1_25lookback_scan_determinismE0ELb0ES3_PKlN6hipcub16HIPCUB_304000_NS21ConstantInputIteratorIllEEPllNSB_3SumENSB_8EqualityElEE10hipError_tPvRmT2_T3_T4_T5_mT6_T7_P12ihipStream_tbENKUlT_T0_E_clISt17integral_constantIbLb1EESW_IbLb0EEEEDaSS_ST_EUlSS_E_NS1_11comp_targetILNS1_3genE10ELNS1_11target_archE1201ELNS1_3gpuE5ELNS1_3repE0EEENS1_30default_config_static_selectorELNS0_4arch9wavefront6targetE1EEEvT1_
	.globl	_ZN7rocprim17ROCPRIM_400000_NS6detail17trampoline_kernelINS0_14default_configENS1_27scan_by_key_config_selectorIllEEZZNS1_16scan_by_key_implILNS1_25lookback_scan_determinismE0ELb0ES3_PKlN6hipcub16HIPCUB_304000_NS21ConstantInputIteratorIllEEPllNSB_3SumENSB_8EqualityElEE10hipError_tPvRmT2_T3_T4_T5_mT6_T7_P12ihipStream_tbENKUlT_T0_E_clISt17integral_constantIbLb1EESW_IbLb0EEEEDaSS_ST_EUlSS_E_NS1_11comp_targetILNS1_3genE10ELNS1_11target_archE1201ELNS1_3gpuE5ELNS1_3repE0EEENS1_30default_config_static_selectorELNS0_4arch9wavefront6targetE1EEEvT1_
	.p2align	8
	.type	_ZN7rocprim17ROCPRIM_400000_NS6detail17trampoline_kernelINS0_14default_configENS1_27scan_by_key_config_selectorIllEEZZNS1_16scan_by_key_implILNS1_25lookback_scan_determinismE0ELb0ES3_PKlN6hipcub16HIPCUB_304000_NS21ConstantInputIteratorIllEEPllNSB_3SumENSB_8EqualityElEE10hipError_tPvRmT2_T3_T4_T5_mT6_T7_P12ihipStream_tbENKUlT_T0_E_clISt17integral_constantIbLb1EESW_IbLb0EEEEDaSS_ST_EUlSS_E_NS1_11comp_targetILNS1_3genE10ELNS1_11target_archE1201ELNS1_3gpuE5ELNS1_3repE0EEENS1_30default_config_static_selectorELNS0_4arch9wavefront6targetE1EEEvT1_,@function
_ZN7rocprim17ROCPRIM_400000_NS6detail17trampoline_kernelINS0_14default_configENS1_27scan_by_key_config_selectorIllEEZZNS1_16scan_by_key_implILNS1_25lookback_scan_determinismE0ELb0ES3_PKlN6hipcub16HIPCUB_304000_NS21ConstantInputIteratorIllEEPllNSB_3SumENSB_8EqualityElEE10hipError_tPvRmT2_T3_T4_T5_mT6_T7_P12ihipStream_tbENKUlT_T0_E_clISt17integral_constantIbLb1EESW_IbLb0EEEEDaSS_ST_EUlSS_E_NS1_11comp_targetILNS1_3genE10ELNS1_11target_archE1201ELNS1_3gpuE5ELNS1_3repE0EEENS1_30default_config_static_selectorELNS0_4arch9wavefront6targetE1EEEvT1_: ; @_ZN7rocprim17ROCPRIM_400000_NS6detail17trampoline_kernelINS0_14default_configENS1_27scan_by_key_config_selectorIllEEZZNS1_16scan_by_key_implILNS1_25lookback_scan_determinismE0ELb0ES3_PKlN6hipcub16HIPCUB_304000_NS21ConstantInputIteratorIllEEPllNSB_3SumENSB_8EqualityElEE10hipError_tPvRmT2_T3_T4_T5_mT6_T7_P12ihipStream_tbENKUlT_T0_E_clISt17integral_constantIbLb1EESW_IbLb0EEEEDaSS_ST_EUlSS_E_NS1_11comp_targetILNS1_3genE10ELNS1_11target_archE1201ELNS1_3gpuE5ELNS1_3repE0EEENS1_30default_config_static_selectorELNS0_4arch9wavefront6targetE1EEEvT1_
; %bb.0:
	.section	.rodata,"a",@progbits
	.p2align	6, 0x0
	.amdhsa_kernel _ZN7rocprim17ROCPRIM_400000_NS6detail17trampoline_kernelINS0_14default_configENS1_27scan_by_key_config_selectorIllEEZZNS1_16scan_by_key_implILNS1_25lookback_scan_determinismE0ELb0ES3_PKlN6hipcub16HIPCUB_304000_NS21ConstantInputIteratorIllEEPllNSB_3SumENSB_8EqualityElEE10hipError_tPvRmT2_T3_T4_T5_mT6_T7_P12ihipStream_tbENKUlT_T0_E_clISt17integral_constantIbLb1EESW_IbLb0EEEEDaSS_ST_EUlSS_E_NS1_11comp_targetILNS1_3genE10ELNS1_11target_archE1201ELNS1_3gpuE5ELNS1_3repE0EEENS1_30default_config_static_selectorELNS0_4arch9wavefront6targetE1EEEvT1_
		.amdhsa_group_segment_fixed_size 0
		.amdhsa_private_segment_fixed_size 0
		.amdhsa_kernarg_size 144
		.amdhsa_user_sgpr_count 2
		.amdhsa_user_sgpr_dispatch_ptr 0
		.amdhsa_user_sgpr_queue_ptr 0
		.amdhsa_user_sgpr_kernarg_segment_ptr 1
		.amdhsa_user_sgpr_dispatch_id 0
		.amdhsa_user_sgpr_kernarg_preload_length 0
		.amdhsa_user_sgpr_kernarg_preload_offset 0
		.amdhsa_user_sgpr_private_segment_size 0
		.amdhsa_uses_dynamic_stack 0
		.amdhsa_enable_private_segment 0
		.amdhsa_system_sgpr_workgroup_id_x 1
		.amdhsa_system_sgpr_workgroup_id_y 0
		.amdhsa_system_sgpr_workgroup_id_z 0
		.amdhsa_system_sgpr_workgroup_info 0
		.amdhsa_system_vgpr_workitem_id 0
		.amdhsa_next_free_vgpr 1
		.amdhsa_next_free_sgpr 0
		.amdhsa_accum_offset 4
		.amdhsa_reserve_vcc 0
		.amdhsa_float_round_mode_32 0
		.amdhsa_float_round_mode_16_64 0
		.amdhsa_float_denorm_mode_32 3
		.amdhsa_float_denorm_mode_16_64 3
		.amdhsa_dx10_clamp 1
		.amdhsa_ieee_mode 1
		.amdhsa_fp16_overflow 0
		.amdhsa_tg_split 0
		.amdhsa_exception_fp_ieee_invalid_op 0
		.amdhsa_exception_fp_denorm_src 0
		.amdhsa_exception_fp_ieee_div_zero 0
		.amdhsa_exception_fp_ieee_overflow 0
		.amdhsa_exception_fp_ieee_underflow 0
		.amdhsa_exception_fp_ieee_inexact 0
		.amdhsa_exception_int_div_zero 0
	.end_amdhsa_kernel
	.section	.text._ZN7rocprim17ROCPRIM_400000_NS6detail17trampoline_kernelINS0_14default_configENS1_27scan_by_key_config_selectorIllEEZZNS1_16scan_by_key_implILNS1_25lookback_scan_determinismE0ELb0ES3_PKlN6hipcub16HIPCUB_304000_NS21ConstantInputIteratorIllEEPllNSB_3SumENSB_8EqualityElEE10hipError_tPvRmT2_T3_T4_T5_mT6_T7_P12ihipStream_tbENKUlT_T0_E_clISt17integral_constantIbLb1EESW_IbLb0EEEEDaSS_ST_EUlSS_E_NS1_11comp_targetILNS1_3genE10ELNS1_11target_archE1201ELNS1_3gpuE5ELNS1_3repE0EEENS1_30default_config_static_selectorELNS0_4arch9wavefront6targetE1EEEvT1_,"axG",@progbits,_ZN7rocprim17ROCPRIM_400000_NS6detail17trampoline_kernelINS0_14default_configENS1_27scan_by_key_config_selectorIllEEZZNS1_16scan_by_key_implILNS1_25lookback_scan_determinismE0ELb0ES3_PKlN6hipcub16HIPCUB_304000_NS21ConstantInputIteratorIllEEPllNSB_3SumENSB_8EqualityElEE10hipError_tPvRmT2_T3_T4_T5_mT6_T7_P12ihipStream_tbENKUlT_T0_E_clISt17integral_constantIbLb1EESW_IbLb0EEEEDaSS_ST_EUlSS_E_NS1_11comp_targetILNS1_3genE10ELNS1_11target_archE1201ELNS1_3gpuE5ELNS1_3repE0EEENS1_30default_config_static_selectorELNS0_4arch9wavefront6targetE1EEEvT1_,comdat
.Lfunc_end117:
	.size	_ZN7rocprim17ROCPRIM_400000_NS6detail17trampoline_kernelINS0_14default_configENS1_27scan_by_key_config_selectorIllEEZZNS1_16scan_by_key_implILNS1_25lookback_scan_determinismE0ELb0ES3_PKlN6hipcub16HIPCUB_304000_NS21ConstantInputIteratorIllEEPllNSB_3SumENSB_8EqualityElEE10hipError_tPvRmT2_T3_T4_T5_mT6_T7_P12ihipStream_tbENKUlT_T0_E_clISt17integral_constantIbLb1EESW_IbLb0EEEEDaSS_ST_EUlSS_E_NS1_11comp_targetILNS1_3genE10ELNS1_11target_archE1201ELNS1_3gpuE5ELNS1_3repE0EEENS1_30default_config_static_selectorELNS0_4arch9wavefront6targetE1EEEvT1_, .Lfunc_end117-_ZN7rocprim17ROCPRIM_400000_NS6detail17trampoline_kernelINS0_14default_configENS1_27scan_by_key_config_selectorIllEEZZNS1_16scan_by_key_implILNS1_25lookback_scan_determinismE0ELb0ES3_PKlN6hipcub16HIPCUB_304000_NS21ConstantInputIteratorIllEEPllNSB_3SumENSB_8EqualityElEE10hipError_tPvRmT2_T3_T4_T5_mT6_T7_P12ihipStream_tbENKUlT_T0_E_clISt17integral_constantIbLb1EESW_IbLb0EEEEDaSS_ST_EUlSS_E_NS1_11comp_targetILNS1_3genE10ELNS1_11target_archE1201ELNS1_3gpuE5ELNS1_3repE0EEENS1_30default_config_static_selectorELNS0_4arch9wavefront6targetE1EEEvT1_
                                        ; -- End function
	.set _ZN7rocprim17ROCPRIM_400000_NS6detail17trampoline_kernelINS0_14default_configENS1_27scan_by_key_config_selectorIllEEZZNS1_16scan_by_key_implILNS1_25lookback_scan_determinismE0ELb0ES3_PKlN6hipcub16HIPCUB_304000_NS21ConstantInputIteratorIllEEPllNSB_3SumENSB_8EqualityElEE10hipError_tPvRmT2_T3_T4_T5_mT6_T7_P12ihipStream_tbENKUlT_T0_E_clISt17integral_constantIbLb1EESW_IbLb0EEEEDaSS_ST_EUlSS_E_NS1_11comp_targetILNS1_3genE10ELNS1_11target_archE1201ELNS1_3gpuE5ELNS1_3repE0EEENS1_30default_config_static_selectorELNS0_4arch9wavefront6targetE1EEEvT1_.num_vgpr, 0
	.set _ZN7rocprim17ROCPRIM_400000_NS6detail17trampoline_kernelINS0_14default_configENS1_27scan_by_key_config_selectorIllEEZZNS1_16scan_by_key_implILNS1_25lookback_scan_determinismE0ELb0ES3_PKlN6hipcub16HIPCUB_304000_NS21ConstantInputIteratorIllEEPllNSB_3SumENSB_8EqualityElEE10hipError_tPvRmT2_T3_T4_T5_mT6_T7_P12ihipStream_tbENKUlT_T0_E_clISt17integral_constantIbLb1EESW_IbLb0EEEEDaSS_ST_EUlSS_E_NS1_11comp_targetILNS1_3genE10ELNS1_11target_archE1201ELNS1_3gpuE5ELNS1_3repE0EEENS1_30default_config_static_selectorELNS0_4arch9wavefront6targetE1EEEvT1_.num_agpr, 0
	.set _ZN7rocprim17ROCPRIM_400000_NS6detail17trampoline_kernelINS0_14default_configENS1_27scan_by_key_config_selectorIllEEZZNS1_16scan_by_key_implILNS1_25lookback_scan_determinismE0ELb0ES3_PKlN6hipcub16HIPCUB_304000_NS21ConstantInputIteratorIllEEPllNSB_3SumENSB_8EqualityElEE10hipError_tPvRmT2_T3_T4_T5_mT6_T7_P12ihipStream_tbENKUlT_T0_E_clISt17integral_constantIbLb1EESW_IbLb0EEEEDaSS_ST_EUlSS_E_NS1_11comp_targetILNS1_3genE10ELNS1_11target_archE1201ELNS1_3gpuE5ELNS1_3repE0EEENS1_30default_config_static_selectorELNS0_4arch9wavefront6targetE1EEEvT1_.numbered_sgpr, 0
	.set _ZN7rocprim17ROCPRIM_400000_NS6detail17trampoline_kernelINS0_14default_configENS1_27scan_by_key_config_selectorIllEEZZNS1_16scan_by_key_implILNS1_25lookback_scan_determinismE0ELb0ES3_PKlN6hipcub16HIPCUB_304000_NS21ConstantInputIteratorIllEEPllNSB_3SumENSB_8EqualityElEE10hipError_tPvRmT2_T3_T4_T5_mT6_T7_P12ihipStream_tbENKUlT_T0_E_clISt17integral_constantIbLb1EESW_IbLb0EEEEDaSS_ST_EUlSS_E_NS1_11comp_targetILNS1_3genE10ELNS1_11target_archE1201ELNS1_3gpuE5ELNS1_3repE0EEENS1_30default_config_static_selectorELNS0_4arch9wavefront6targetE1EEEvT1_.num_named_barrier, 0
	.set _ZN7rocprim17ROCPRIM_400000_NS6detail17trampoline_kernelINS0_14default_configENS1_27scan_by_key_config_selectorIllEEZZNS1_16scan_by_key_implILNS1_25lookback_scan_determinismE0ELb0ES3_PKlN6hipcub16HIPCUB_304000_NS21ConstantInputIteratorIllEEPllNSB_3SumENSB_8EqualityElEE10hipError_tPvRmT2_T3_T4_T5_mT6_T7_P12ihipStream_tbENKUlT_T0_E_clISt17integral_constantIbLb1EESW_IbLb0EEEEDaSS_ST_EUlSS_E_NS1_11comp_targetILNS1_3genE10ELNS1_11target_archE1201ELNS1_3gpuE5ELNS1_3repE0EEENS1_30default_config_static_selectorELNS0_4arch9wavefront6targetE1EEEvT1_.private_seg_size, 0
	.set _ZN7rocprim17ROCPRIM_400000_NS6detail17trampoline_kernelINS0_14default_configENS1_27scan_by_key_config_selectorIllEEZZNS1_16scan_by_key_implILNS1_25lookback_scan_determinismE0ELb0ES3_PKlN6hipcub16HIPCUB_304000_NS21ConstantInputIteratorIllEEPllNSB_3SumENSB_8EqualityElEE10hipError_tPvRmT2_T3_T4_T5_mT6_T7_P12ihipStream_tbENKUlT_T0_E_clISt17integral_constantIbLb1EESW_IbLb0EEEEDaSS_ST_EUlSS_E_NS1_11comp_targetILNS1_3genE10ELNS1_11target_archE1201ELNS1_3gpuE5ELNS1_3repE0EEENS1_30default_config_static_selectorELNS0_4arch9wavefront6targetE1EEEvT1_.uses_vcc, 0
	.set _ZN7rocprim17ROCPRIM_400000_NS6detail17trampoline_kernelINS0_14default_configENS1_27scan_by_key_config_selectorIllEEZZNS1_16scan_by_key_implILNS1_25lookback_scan_determinismE0ELb0ES3_PKlN6hipcub16HIPCUB_304000_NS21ConstantInputIteratorIllEEPllNSB_3SumENSB_8EqualityElEE10hipError_tPvRmT2_T3_T4_T5_mT6_T7_P12ihipStream_tbENKUlT_T0_E_clISt17integral_constantIbLb1EESW_IbLb0EEEEDaSS_ST_EUlSS_E_NS1_11comp_targetILNS1_3genE10ELNS1_11target_archE1201ELNS1_3gpuE5ELNS1_3repE0EEENS1_30default_config_static_selectorELNS0_4arch9wavefront6targetE1EEEvT1_.uses_flat_scratch, 0
	.set _ZN7rocprim17ROCPRIM_400000_NS6detail17trampoline_kernelINS0_14default_configENS1_27scan_by_key_config_selectorIllEEZZNS1_16scan_by_key_implILNS1_25lookback_scan_determinismE0ELb0ES3_PKlN6hipcub16HIPCUB_304000_NS21ConstantInputIteratorIllEEPllNSB_3SumENSB_8EqualityElEE10hipError_tPvRmT2_T3_T4_T5_mT6_T7_P12ihipStream_tbENKUlT_T0_E_clISt17integral_constantIbLb1EESW_IbLb0EEEEDaSS_ST_EUlSS_E_NS1_11comp_targetILNS1_3genE10ELNS1_11target_archE1201ELNS1_3gpuE5ELNS1_3repE0EEENS1_30default_config_static_selectorELNS0_4arch9wavefront6targetE1EEEvT1_.has_dyn_sized_stack, 0
	.set _ZN7rocprim17ROCPRIM_400000_NS6detail17trampoline_kernelINS0_14default_configENS1_27scan_by_key_config_selectorIllEEZZNS1_16scan_by_key_implILNS1_25lookback_scan_determinismE0ELb0ES3_PKlN6hipcub16HIPCUB_304000_NS21ConstantInputIteratorIllEEPllNSB_3SumENSB_8EqualityElEE10hipError_tPvRmT2_T3_T4_T5_mT6_T7_P12ihipStream_tbENKUlT_T0_E_clISt17integral_constantIbLb1EESW_IbLb0EEEEDaSS_ST_EUlSS_E_NS1_11comp_targetILNS1_3genE10ELNS1_11target_archE1201ELNS1_3gpuE5ELNS1_3repE0EEENS1_30default_config_static_selectorELNS0_4arch9wavefront6targetE1EEEvT1_.has_recursion, 0
	.set _ZN7rocprim17ROCPRIM_400000_NS6detail17trampoline_kernelINS0_14default_configENS1_27scan_by_key_config_selectorIllEEZZNS1_16scan_by_key_implILNS1_25lookback_scan_determinismE0ELb0ES3_PKlN6hipcub16HIPCUB_304000_NS21ConstantInputIteratorIllEEPllNSB_3SumENSB_8EqualityElEE10hipError_tPvRmT2_T3_T4_T5_mT6_T7_P12ihipStream_tbENKUlT_T0_E_clISt17integral_constantIbLb1EESW_IbLb0EEEEDaSS_ST_EUlSS_E_NS1_11comp_targetILNS1_3genE10ELNS1_11target_archE1201ELNS1_3gpuE5ELNS1_3repE0EEENS1_30default_config_static_selectorELNS0_4arch9wavefront6targetE1EEEvT1_.has_indirect_call, 0
	.section	.AMDGPU.csdata,"",@progbits
; Kernel info:
; codeLenInByte = 0
; TotalNumSgprs: 6
; NumVgprs: 0
; NumAgprs: 0
; TotalNumVgprs: 0
; ScratchSize: 0
; MemoryBound: 0
; FloatMode: 240
; IeeeMode: 1
; LDSByteSize: 0 bytes/workgroup (compile time only)
; SGPRBlocks: 0
; VGPRBlocks: 0
; NumSGPRsForWavesPerEU: 6
; NumVGPRsForWavesPerEU: 1
; AccumOffset: 4
; Occupancy: 8
; WaveLimiterHint : 0
; COMPUTE_PGM_RSRC2:SCRATCH_EN: 0
; COMPUTE_PGM_RSRC2:USER_SGPR: 2
; COMPUTE_PGM_RSRC2:TRAP_HANDLER: 0
; COMPUTE_PGM_RSRC2:TGID_X_EN: 1
; COMPUTE_PGM_RSRC2:TGID_Y_EN: 0
; COMPUTE_PGM_RSRC2:TGID_Z_EN: 0
; COMPUTE_PGM_RSRC2:TIDIG_COMP_CNT: 0
; COMPUTE_PGM_RSRC3_GFX90A:ACCUM_OFFSET: 0
; COMPUTE_PGM_RSRC3_GFX90A:TG_SPLIT: 0
	.section	.text._ZN7rocprim17ROCPRIM_400000_NS6detail17trampoline_kernelINS0_14default_configENS1_27scan_by_key_config_selectorIllEEZZNS1_16scan_by_key_implILNS1_25lookback_scan_determinismE0ELb0ES3_PKlN6hipcub16HIPCUB_304000_NS21ConstantInputIteratorIllEEPllNSB_3SumENSB_8EqualityElEE10hipError_tPvRmT2_T3_T4_T5_mT6_T7_P12ihipStream_tbENKUlT_T0_E_clISt17integral_constantIbLb1EESW_IbLb0EEEEDaSS_ST_EUlSS_E_NS1_11comp_targetILNS1_3genE5ELNS1_11target_archE942ELNS1_3gpuE9ELNS1_3repE0EEENS1_30default_config_static_selectorELNS0_4arch9wavefront6targetE1EEEvT1_,"axG",@progbits,_ZN7rocprim17ROCPRIM_400000_NS6detail17trampoline_kernelINS0_14default_configENS1_27scan_by_key_config_selectorIllEEZZNS1_16scan_by_key_implILNS1_25lookback_scan_determinismE0ELb0ES3_PKlN6hipcub16HIPCUB_304000_NS21ConstantInputIteratorIllEEPllNSB_3SumENSB_8EqualityElEE10hipError_tPvRmT2_T3_T4_T5_mT6_T7_P12ihipStream_tbENKUlT_T0_E_clISt17integral_constantIbLb1EESW_IbLb0EEEEDaSS_ST_EUlSS_E_NS1_11comp_targetILNS1_3genE5ELNS1_11target_archE942ELNS1_3gpuE9ELNS1_3repE0EEENS1_30default_config_static_selectorELNS0_4arch9wavefront6targetE1EEEvT1_,comdat
	.protected	_ZN7rocprim17ROCPRIM_400000_NS6detail17trampoline_kernelINS0_14default_configENS1_27scan_by_key_config_selectorIllEEZZNS1_16scan_by_key_implILNS1_25lookback_scan_determinismE0ELb0ES3_PKlN6hipcub16HIPCUB_304000_NS21ConstantInputIteratorIllEEPllNSB_3SumENSB_8EqualityElEE10hipError_tPvRmT2_T3_T4_T5_mT6_T7_P12ihipStream_tbENKUlT_T0_E_clISt17integral_constantIbLb1EESW_IbLb0EEEEDaSS_ST_EUlSS_E_NS1_11comp_targetILNS1_3genE5ELNS1_11target_archE942ELNS1_3gpuE9ELNS1_3repE0EEENS1_30default_config_static_selectorELNS0_4arch9wavefront6targetE1EEEvT1_ ; -- Begin function _ZN7rocprim17ROCPRIM_400000_NS6detail17trampoline_kernelINS0_14default_configENS1_27scan_by_key_config_selectorIllEEZZNS1_16scan_by_key_implILNS1_25lookback_scan_determinismE0ELb0ES3_PKlN6hipcub16HIPCUB_304000_NS21ConstantInputIteratorIllEEPllNSB_3SumENSB_8EqualityElEE10hipError_tPvRmT2_T3_T4_T5_mT6_T7_P12ihipStream_tbENKUlT_T0_E_clISt17integral_constantIbLb1EESW_IbLb0EEEEDaSS_ST_EUlSS_E_NS1_11comp_targetILNS1_3genE5ELNS1_11target_archE942ELNS1_3gpuE9ELNS1_3repE0EEENS1_30default_config_static_selectorELNS0_4arch9wavefront6targetE1EEEvT1_
	.globl	_ZN7rocprim17ROCPRIM_400000_NS6detail17trampoline_kernelINS0_14default_configENS1_27scan_by_key_config_selectorIllEEZZNS1_16scan_by_key_implILNS1_25lookback_scan_determinismE0ELb0ES3_PKlN6hipcub16HIPCUB_304000_NS21ConstantInputIteratorIllEEPllNSB_3SumENSB_8EqualityElEE10hipError_tPvRmT2_T3_T4_T5_mT6_T7_P12ihipStream_tbENKUlT_T0_E_clISt17integral_constantIbLb1EESW_IbLb0EEEEDaSS_ST_EUlSS_E_NS1_11comp_targetILNS1_3genE5ELNS1_11target_archE942ELNS1_3gpuE9ELNS1_3repE0EEENS1_30default_config_static_selectorELNS0_4arch9wavefront6targetE1EEEvT1_
	.p2align	8
	.type	_ZN7rocprim17ROCPRIM_400000_NS6detail17trampoline_kernelINS0_14default_configENS1_27scan_by_key_config_selectorIllEEZZNS1_16scan_by_key_implILNS1_25lookback_scan_determinismE0ELb0ES3_PKlN6hipcub16HIPCUB_304000_NS21ConstantInputIteratorIllEEPllNSB_3SumENSB_8EqualityElEE10hipError_tPvRmT2_T3_T4_T5_mT6_T7_P12ihipStream_tbENKUlT_T0_E_clISt17integral_constantIbLb1EESW_IbLb0EEEEDaSS_ST_EUlSS_E_NS1_11comp_targetILNS1_3genE5ELNS1_11target_archE942ELNS1_3gpuE9ELNS1_3repE0EEENS1_30default_config_static_selectorELNS0_4arch9wavefront6targetE1EEEvT1_,@function
_ZN7rocprim17ROCPRIM_400000_NS6detail17trampoline_kernelINS0_14default_configENS1_27scan_by_key_config_selectorIllEEZZNS1_16scan_by_key_implILNS1_25lookback_scan_determinismE0ELb0ES3_PKlN6hipcub16HIPCUB_304000_NS21ConstantInputIteratorIllEEPllNSB_3SumENSB_8EqualityElEE10hipError_tPvRmT2_T3_T4_T5_mT6_T7_P12ihipStream_tbENKUlT_T0_E_clISt17integral_constantIbLb1EESW_IbLb0EEEEDaSS_ST_EUlSS_E_NS1_11comp_targetILNS1_3genE5ELNS1_11target_archE942ELNS1_3gpuE9ELNS1_3repE0EEENS1_30default_config_static_selectorELNS0_4arch9wavefront6targetE1EEEvT1_: ; @_ZN7rocprim17ROCPRIM_400000_NS6detail17trampoline_kernelINS0_14default_configENS1_27scan_by_key_config_selectorIllEEZZNS1_16scan_by_key_implILNS1_25lookback_scan_determinismE0ELb0ES3_PKlN6hipcub16HIPCUB_304000_NS21ConstantInputIteratorIllEEPllNSB_3SumENSB_8EqualityElEE10hipError_tPvRmT2_T3_T4_T5_mT6_T7_P12ihipStream_tbENKUlT_T0_E_clISt17integral_constantIbLb1EESW_IbLb0EEEEDaSS_ST_EUlSS_E_NS1_11comp_targetILNS1_3genE5ELNS1_11target_archE942ELNS1_3gpuE9ELNS1_3repE0EEENS1_30default_config_static_selectorELNS0_4arch9wavefront6targetE1EEEvT1_
; %bb.0:
	.section	.rodata,"a",@progbits
	.p2align	6, 0x0
	.amdhsa_kernel _ZN7rocprim17ROCPRIM_400000_NS6detail17trampoline_kernelINS0_14default_configENS1_27scan_by_key_config_selectorIllEEZZNS1_16scan_by_key_implILNS1_25lookback_scan_determinismE0ELb0ES3_PKlN6hipcub16HIPCUB_304000_NS21ConstantInputIteratorIllEEPllNSB_3SumENSB_8EqualityElEE10hipError_tPvRmT2_T3_T4_T5_mT6_T7_P12ihipStream_tbENKUlT_T0_E_clISt17integral_constantIbLb1EESW_IbLb0EEEEDaSS_ST_EUlSS_E_NS1_11comp_targetILNS1_3genE5ELNS1_11target_archE942ELNS1_3gpuE9ELNS1_3repE0EEENS1_30default_config_static_selectorELNS0_4arch9wavefront6targetE1EEEvT1_
		.amdhsa_group_segment_fixed_size 0
		.amdhsa_private_segment_fixed_size 0
		.amdhsa_kernarg_size 144
		.amdhsa_user_sgpr_count 2
		.amdhsa_user_sgpr_dispatch_ptr 0
		.amdhsa_user_sgpr_queue_ptr 0
		.amdhsa_user_sgpr_kernarg_segment_ptr 1
		.amdhsa_user_sgpr_dispatch_id 0
		.amdhsa_user_sgpr_kernarg_preload_length 0
		.amdhsa_user_sgpr_kernarg_preload_offset 0
		.amdhsa_user_sgpr_private_segment_size 0
		.amdhsa_uses_dynamic_stack 0
		.amdhsa_enable_private_segment 0
		.amdhsa_system_sgpr_workgroup_id_x 1
		.amdhsa_system_sgpr_workgroup_id_y 0
		.amdhsa_system_sgpr_workgroup_id_z 0
		.amdhsa_system_sgpr_workgroup_info 0
		.amdhsa_system_vgpr_workitem_id 0
		.amdhsa_next_free_vgpr 1
		.amdhsa_next_free_sgpr 0
		.amdhsa_accum_offset 4
		.amdhsa_reserve_vcc 0
		.amdhsa_float_round_mode_32 0
		.amdhsa_float_round_mode_16_64 0
		.amdhsa_float_denorm_mode_32 3
		.amdhsa_float_denorm_mode_16_64 3
		.amdhsa_dx10_clamp 1
		.amdhsa_ieee_mode 1
		.amdhsa_fp16_overflow 0
		.amdhsa_tg_split 0
		.amdhsa_exception_fp_ieee_invalid_op 0
		.amdhsa_exception_fp_denorm_src 0
		.amdhsa_exception_fp_ieee_div_zero 0
		.amdhsa_exception_fp_ieee_overflow 0
		.amdhsa_exception_fp_ieee_underflow 0
		.amdhsa_exception_fp_ieee_inexact 0
		.amdhsa_exception_int_div_zero 0
	.end_amdhsa_kernel
	.section	.text._ZN7rocprim17ROCPRIM_400000_NS6detail17trampoline_kernelINS0_14default_configENS1_27scan_by_key_config_selectorIllEEZZNS1_16scan_by_key_implILNS1_25lookback_scan_determinismE0ELb0ES3_PKlN6hipcub16HIPCUB_304000_NS21ConstantInputIteratorIllEEPllNSB_3SumENSB_8EqualityElEE10hipError_tPvRmT2_T3_T4_T5_mT6_T7_P12ihipStream_tbENKUlT_T0_E_clISt17integral_constantIbLb1EESW_IbLb0EEEEDaSS_ST_EUlSS_E_NS1_11comp_targetILNS1_3genE5ELNS1_11target_archE942ELNS1_3gpuE9ELNS1_3repE0EEENS1_30default_config_static_selectorELNS0_4arch9wavefront6targetE1EEEvT1_,"axG",@progbits,_ZN7rocprim17ROCPRIM_400000_NS6detail17trampoline_kernelINS0_14default_configENS1_27scan_by_key_config_selectorIllEEZZNS1_16scan_by_key_implILNS1_25lookback_scan_determinismE0ELb0ES3_PKlN6hipcub16HIPCUB_304000_NS21ConstantInputIteratorIllEEPllNSB_3SumENSB_8EqualityElEE10hipError_tPvRmT2_T3_T4_T5_mT6_T7_P12ihipStream_tbENKUlT_T0_E_clISt17integral_constantIbLb1EESW_IbLb0EEEEDaSS_ST_EUlSS_E_NS1_11comp_targetILNS1_3genE5ELNS1_11target_archE942ELNS1_3gpuE9ELNS1_3repE0EEENS1_30default_config_static_selectorELNS0_4arch9wavefront6targetE1EEEvT1_,comdat
.Lfunc_end118:
	.size	_ZN7rocprim17ROCPRIM_400000_NS6detail17trampoline_kernelINS0_14default_configENS1_27scan_by_key_config_selectorIllEEZZNS1_16scan_by_key_implILNS1_25lookback_scan_determinismE0ELb0ES3_PKlN6hipcub16HIPCUB_304000_NS21ConstantInputIteratorIllEEPllNSB_3SumENSB_8EqualityElEE10hipError_tPvRmT2_T3_T4_T5_mT6_T7_P12ihipStream_tbENKUlT_T0_E_clISt17integral_constantIbLb1EESW_IbLb0EEEEDaSS_ST_EUlSS_E_NS1_11comp_targetILNS1_3genE5ELNS1_11target_archE942ELNS1_3gpuE9ELNS1_3repE0EEENS1_30default_config_static_selectorELNS0_4arch9wavefront6targetE1EEEvT1_, .Lfunc_end118-_ZN7rocprim17ROCPRIM_400000_NS6detail17trampoline_kernelINS0_14default_configENS1_27scan_by_key_config_selectorIllEEZZNS1_16scan_by_key_implILNS1_25lookback_scan_determinismE0ELb0ES3_PKlN6hipcub16HIPCUB_304000_NS21ConstantInputIteratorIllEEPllNSB_3SumENSB_8EqualityElEE10hipError_tPvRmT2_T3_T4_T5_mT6_T7_P12ihipStream_tbENKUlT_T0_E_clISt17integral_constantIbLb1EESW_IbLb0EEEEDaSS_ST_EUlSS_E_NS1_11comp_targetILNS1_3genE5ELNS1_11target_archE942ELNS1_3gpuE9ELNS1_3repE0EEENS1_30default_config_static_selectorELNS0_4arch9wavefront6targetE1EEEvT1_
                                        ; -- End function
	.set _ZN7rocprim17ROCPRIM_400000_NS6detail17trampoline_kernelINS0_14default_configENS1_27scan_by_key_config_selectorIllEEZZNS1_16scan_by_key_implILNS1_25lookback_scan_determinismE0ELb0ES3_PKlN6hipcub16HIPCUB_304000_NS21ConstantInputIteratorIllEEPllNSB_3SumENSB_8EqualityElEE10hipError_tPvRmT2_T3_T4_T5_mT6_T7_P12ihipStream_tbENKUlT_T0_E_clISt17integral_constantIbLb1EESW_IbLb0EEEEDaSS_ST_EUlSS_E_NS1_11comp_targetILNS1_3genE5ELNS1_11target_archE942ELNS1_3gpuE9ELNS1_3repE0EEENS1_30default_config_static_selectorELNS0_4arch9wavefront6targetE1EEEvT1_.num_vgpr, 0
	.set _ZN7rocprim17ROCPRIM_400000_NS6detail17trampoline_kernelINS0_14default_configENS1_27scan_by_key_config_selectorIllEEZZNS1_16scan_by_key_implILNS1_25lookback_scan_determinismE0ELb0ES3_PKlN6hipcub16HIPCUB_304000_NS21ConstantInputIteratorIllEEPllNSB_3SumENSB_8EqualityElEE10hipError_tPvRmT2_T3_T4_T5_mT6_T7_P12ihipStream_tbENKUlT_T0_E_clISt17integral_constantIbLb1EESW_IbLb0EEEEDaSS_ST_EUlSS_E_NS1_11comp_targetILNS1_3genE5ELNS1_11target_archE942ELNS1_3gpuE9ELNS1_3repE0EEENS1_30default_config_static_selectorELNS0_4arch9wavefront6targetE1EEEvT1_.num_agpr, 0
	.set _ZN7rocprim17ROCPRIM_400000_NS6detail17trampoline_kernelINS0_14default_configENS1_27scan_by_key_config_selectorIllEEZZNS1_16scan_by_key_implILNS1_25lookback_scan_determinismE0ELb0ES3_PKlN6hipcub16HIPCUB_304000_NS21ConstantInputIteratorIllEEPllNSB_3SumENSB_8EqualityElEE10hipError_tPvRmT2_T3_T4_T5_mT6_T7_P12ihipStream_tbENKUlT_T0_E_clISt17integral_constantIbLb1EESW_IbLb0EEEEDaSS_ST_EUlSS_E_NS1_11comp_targetILNS1_3genE5ELNS1_11target_archE942ELNS1_3gpuE9ELNS1_3repE0EEENS1_30default_config_static_selectorELNS0_4arch9wavefront6targetE1EEEvT1_.numbered_sgpr, 0
	.set _ZN7rocprim17ROCPRIM_400000_NS6detail17trampoline_kernelINS0_14default_configENS1_27scan_by_key_config_selectorIllEEZZNS1_16scan_by_key_implILNS1_25lookback_scan_determinismE0ELb0ES3_PKlN6hipcub16HIPCUB_304000_NS21ConstantInputIteratorIllEEPllNSB_3SumENSB_8EqualityElEE10hipError_tPvRmT2_T3_T4_T5_mT6_T7_P12ihipStream_tbENKUlT_T0_E_clISt17integral_constantIbLb1EESW_IbLb0EEEEDaSS_ST_EUlSS_E_NS1_11comp_targetILNS1_3genE5ELNS1_11target_archE942ELNS1_3gpuE9ELNS1_3repE0EEENS1_30default_config_static_selectorELNS0_4arch9wavefront6targetE1EEEvT1_.num_named_barrier, 0
	.set _ZN7rocprim17ROCPRIM_400000_NS6detail17trampoline_kernelINS0_14default_configENS1_27scan_by_key_config_selectorIllEEZZNS1_16scan_by_key_implILNS1_25lookback_scan_determinismE0ELb0ES3_PKlN6hipcub16HIPCUB_304000_NS21ConstantInputIteratorIllEEPllNSB_3SumENSB_8EqualityElEE10hipError_tPvRmT2_T3_T4_T5_mT6_T7_P12ihipStream_tbENKUlT_T0_E_clISt17integral_constantIbLb1EESW_IbLb0EEEEDaSS_ST_EUlSS_E_NS1_11comp_targetILNS1_3genE5ELNS1_11target_archE942ELNS1_3gpuE9ELNS1_3repE0EEENS1_30default_config_static_selectorELNS0_4arch9wavefront6targetE1EEEvT1_.private_seg_size, 0
	.set _ZN7rocprim17ROCPRIM_400000_NS6detail17trampoline_kernelINS0_14default_configENS1_27scan_by_key_config_selectorIllEEZZNS1_16scan_by_key_implILNS1_25lookback_scan_determinismE0ELb0ES3_PKlN6hipcub16HIPCUB_304000_NS21ConstantInputIteratorIllEEPllNSB_3SumENSB_8EqualityElEE10hipError_tPvRmT2_T3_T4_T5_mT6_T7_P12ihipStream_tbENKUlT_T0_E_clISt17integral_constantIbLb1EESW_IbLb0EEEEDaSS_ST_EUlSS_E_NS1_11comp_targetILNS1_3genE5ELNS1_11target_archE942ELNS1_3gpuE9ELNS1_3repE0EEENS1_30default_config_static_selectorELNS0_4arch9wavefront6targetE1EEEvT1_.uses_vcc, 0
	.set _ZN7rocprim17ROCPRIM_400000_NS6detail17trampoline_kernelINS0_14default_configENS1_27scan_by_key_config_selectorIllEEZZNS1_16scan_by_key_implILNS1_25lookback_scan_determinismE0ELb0ES3_PKlN6hipcub16HIPCUB_304000_NS21ConstantInputIteratorIllEEPllNSB_3SumENSB_8EqualityElEE10hipError_tPvRmT2_T3_T4_T5_mT6_T7_P12ihipStream_tbENKUlT_T0_E_clISt17integral_constantIbLb1EESW_IbLb0EEEEDaSS_ST_EUlSS_E_NS1_11comp_targetILNS1_3genE5ELNS1_11target_archE942ELNS1_3gpuE9ELNS1_3repE0EEENS1_30default_config_static_selectorELNS0_4arch9wavefront6targetE1EEEvT1_.uses_flat_scratch, 0
	.set _ZN7rocprim17ROCPRIM_400000_NS6detail17trampoline_kernelINS0_14default_configENS1_27scan_by_key_config_selectorIllEEZZNS1_16scan_by_key_implILNS1_25lookback_scan_determinismE0ELb0ES3_PKlN6hipcub16HIPCUB_304000_NS21ConstantInputIteratorIllEEPllNSB_3SumENSB_8EqualityElEE10hipError_tPvRmT2_T3_T4_T5_mT6_T7_P12ihipStream_tbENKUlT_T0_E_clISt17integral_constantIbLb1EESW_IbLb0EEEEDaSS_ST_EUlSS_E_NS1_11comp_targetILNS1_3genE5ELNS1_11target_archE942ELNS1_3gpuE9ELNS1_3repE0EEENS1_30default_config_static_selectorELNS0_4arch9wavefront6targetE1EEEvT1_.has_dyn_sized_stack, 0
	.set _ZN7rocprim17ROCPRIM_400000_NS6detail17trampoline_kernelINS0_14default_configENS1_27scan_by_key_config_selectorIllEEZZNS1_16scan_by_key_implILNS1_25lookback_scan_determinismE0ELb0ES3_PKlN6hipcub16HIPCUB_304000_NS21ConstantInputIteratorIllEEPllNSB_3SumENSB_8EqualityElEE10hipError_tPvRmT2_T3_T4_T5_mT6_T7_P12ihipStream_tbENKUlT_T0_E_clISt17integral_constantIbLb1EESW_IbLb0EEEEDaSS_ST_EUlSS_E_NS1_11comp_targetILNS1_3genE5ELNS1_11target_archE942ELNS1_3gpuE9ELNS1_3repE0EEENS1_30default_config_static_selectorELNS0_4arch9wavefront6targetE1EEEvT1_.has_recursion, 0
	.set _ZN7rocprim17ROCPRIM_400000_NS6detail17trampoline_kernelINS0_14default_configENS1_27scan_by_key_config_selectorIllEEZZNS1_16scan_by_key_implILNS1_25lookback_scan_determinismE0ELb0ES3_PKlN6hipcub16HIPCUB_304000_NS21ConstantInputIteratorIllEEPllNSB_3SumENSB_8EqualityElEE10hipError_tPvRmT2_T3_T4_T5_mT6_T7_P12ihipStream_tbENKUlT_T0_E_clISt17integral_constantIbLb1EESW_IbLb0EEEEDaSS_ST_EUlSS_E_NS1_11comp_targetILNS1_3genE5ELNS1_11target_archE942ELNS1_3gpuE9ELNS1_3repE0EEENS1_30default_config_static_selectorELNS0_4arch9wavefront6targetE1EEEvT1_.has_indirect_call, 0
	.section	.AMDGPU.csdata,"",@progbits
; Kernel info:
; codeLenInByte = 0
; TotalNumSgprs: 6
; NumVgprs: 0
; NumAgprs: 0
; TotalNumVgprs: 0
; ScratchSize: 0
; MemoryBound: 0
; FloatMode: 240
; IeeeMode: 1
; LDSByteSize: 0 bytes/workgroup (compile time only)
; SGPRBlocks: 0
; VGPRBlocks: 0
; NumSGPRsForWavesPerEU: 6
; NumVGPRsForWavesPerEU: 1
; AccumOffset: 4
; Occupancy: 8
; WaveLimiterHint : 0
; COMPUTE_PGM_RSRC2:SCRATCH_EN: 0
; COMPUTE_PGM_RSRC2:USER_SGPR: 2
; COMPUTE_PGM_RSRC2:TRAP_HANDLER: 0
; COMPUTE_PGM_RSRC2:TGID_X_EN: 1
; COMPUTE_PGM_RSRC2:TGID_Y_EN: 0
; COMPUTE_PGM_RSRC2:TGID_Z_EN: 0
; COMPUTE_PGM_RSRC2:TIDIG_COMP_CNT: 0
; COMPUTE_PGM_RSRC3_GFX90A:ACCUM_OFFSET: 0
; COMPUTE_PGM_RSRC3_GFX90A:TG_SPLIT: 0
	.section	.text._ZN7rocprim17ROCPRIM_400000_NS6detail17trampoline_kernelINS0_14default_configENS1_27scan_by_key_config_selectorIllEEZZNS1_16scan_by_key_implILNS1_25lookback_scan_determinismE0ELb0ES3_PKlN6hipcub16HIPCUB_304000_NS21ConstantInputIteratorIllEEPllNSB_3SumENSB_8EqualityElEE10hipError_tPvRmT2_T3_T4_T5_mT6_T7_P12ihipStream_tbENKUlT_T0_E_clISt17integral_constantIbLb1EESW_IbLb0EEEEDaSS_ST_EUlSS_E_NS1_11comp_targetILNS1_3genE4ELNS1_11target_archE910ELNS1_3gpuE8ELNS1_3repE0EEENS1_30default_config_static_selectorELNS0_4arch9wavefront6targetE1EEEvT1_,"axG",@progbits,_ZN7rocprim17ROCPRIM_400000_NS6detail17trampoline_kernelINS0_14default_configENS1_27scan_by_key_config_selectorIllEEZZNS1_16scan_by_key_implILNS1_25lookback_scan_determinismE0ELb0ES3_PKlN6hipcub16HIPCUB_304000_NS21ConstantInputIteratorIllEEPllNSB_3SumENSB_8EqualityElEE10hipError_tPvRmT2_T3_T4_T5_mT6_T7_P12ihipStream_tbENKUlT_T0_E_clISt17integral_constantIbLb1EESW_IbLb0EEEEDaSS_ST_EUlSS_E_NS1_11comp_targetILNS1_3genE4ELNS1_11target_archE910ELNS1_3gpuE8ELNS1_3repE0EEENS1_30default_config_static_selectorELNS0_4arch9wavefront6targetE1EEEvT1_,comdat
	.protected	_ZN7rocprim17ROCPRIM_400000_NS6detail17trampoline_kernelINS0_14default_configENS1_27scan_by_key_config_selectorIllEEZZNS1_16scan_by_key_implILNS1_25lookback_scan_determinismE0ELb0ES3_PKlN6hipcub16HIPCUB_304000_NS21ConstantInputIteratorIllEEPllNSB_3SumENSB_8EqualityElEE10hipError_tPvRmT2_T3_T4_T5_mT6_T7_P12ihipStream_tbENKUlT_T0_E_clISt17integral_constantIbLb1EESW_IbLb0EEEEDaSS_ST_EUlSS_E_NS1_11comp_targetILNS1_3genE4ELNS1_11target_archE910ELNS1_3gpuE8ELNS1_3repE0EEENS1_30default_config_static_selectorELNS0_4arch9wavefront6targetE1EEEvT1_ ; -- Begin function _ZN7rocprim17ROCPRIM_400000_NS6detail17trampoline_kernelINS0_14default_configENS1_27scan_by_key_config_selectorIllEEZZNS1_16scan_by_key_implILNS1_25lookback_scan_determinismE0ELb0ES3_PKlN6hipcub16HIPCUB_304000_NS21ConstantInputIteratorIllEEPllNSB_3SumENSB_8EqualityElEE10hipError_tPvRmT2_T3_T4_T5_mT6_T7_P12ihipStream_tbENKUlT_T0_E_clISt17integral_constantIbLb1EESW_IbLb0EEEEDaSS_ST_EUlSS_E_NS1_11comp_targetILNS1_3genE4ELNS1_11target_archE910ELNS1_3gpuE8ELNS1_3repE0EEENS1_30default_config_static_selectorELNS0_4arch9wavefront6targetE1EEEvT1_
	.globl	_ZN7rocprim17ROCPRIM_400000_NS6detail17trampoline_kernelINS0_14default_configENS1_27scan_by_key_config_selectorIllEEZZNS1_16scan_by_key_implILNS1_25lookback_scan_determinismE0ELb0ES3_PKlN6hipcub16HIPCUB_304000_NS21ConstantInputIteratorIllEEPllNSB_3SumENSB_8EqualityElEE10hipError_tPvRmT2_T3_T4_T5_mT6_T7_P12ihipStream_tbENKUlT_T0_E_clISt17integral_constantIbLb1EESW_IbLb0EEEEDaSS_ST_EUlSS_E_NS1_11comp_targetILNS1_3genE4ELNS1_11target_archE910ELNS1_3gpuE8ELNS1_3repE0EEENS1_30default_config_static_selectorELNS0_4arch9wavefront6targetE1EEEvT1_
	.p2align	8
	.type	_ZN7rocprim17ROCPRIM_400000_NS6detail17trampoline_kernelINS0_14default_configENS1_27scan_by_key_config_selectorIllEEZZNS1_16scan_by_key_implILNS1_25lookback_scan_determinismE0ELb0ES3_PKlN6hipcub16HIPCUB_304000_NS21ConstantInputIteratorIllEEPllNSB_3SumENSB_8EqualityElEE10hipError_tPvRmT2_T3_T4_T5_mT6_T7_P12ihipStream_tbENKUlT_T0_E_clISt17integral_constantIbLb1EESW_IbLb0EEEEDaSS_ST_EUlSS_E_NS1_11comp_targetILNS1_3genE4ELNS1_11target_archE910ELNS1_3gpuE8ELNS1_3repE0EEENS1_30default_config_static_selectorELNS0_4arch9wavefront6targetE1EEEvT1_,@function
_ZN7rocprim17ROCPRIM_400000_NS6detail17trampoline_kernelINS0_14default_configENS1_27scan_by_key_config_selectorIllEEZZNS1_16scan_by_key_implILNS1_25lookback_scan_determinismE0ELb0ES3_PKlN6hipcub16HIPCUB_304000_NS21ConstantInputIteratorIllEEPllNSB_3SumENSB_8EqualityElEE10hipError_tPvRmT2_T3_T4_T5_mT6_T7_P12ihipStream_tbENKUlT_T0_E_clISt17integral_constantIbLb1EESW_IbLb0EEEEDaSS_ST_EUlSS_E_NS1_11comp_targetILNS1_3genE4ELNS1_11target_archE910ELNS1_3gpuE8ELNS1_3repE0EEENS1_30default_config_static_selectorELNS0_4arch9wavefront6targetE1EEEvT1_: ; @_ZN7rocprim17ROCPRIM_400000_NS6detail17trampoline_kernelINS0_14default_configENS1_27scan_by_key_config_selectorIllEEZZNS1_16scan_by_key_implILNS1_25lookback_scan_determinismE0ELb0ES3_PKlN6hipcub16HIPCUB_304000_NS21ConstantInputIteratorIllEEPllNSB_3SumENSB_8EqualityElEE10hipError_tPvRmT2_T3_T4_T5_mT6_T7_P12ihipStream_tbENKUlT_T0_E_clISt17integral_constantIbLb1EESW_IbLb0EEEEDaSS_ST_EUlSS_E_NS1_11comp_targetILNS1_3genE4ELNS1_11target_archE910ELNS1_3gpuE8ELNS1_3repE0EEENS1_30default_config_static_selectorELNS0_4arch9wavefront6targetE1EEEvT1_
; %bb.0:
	.section	.rodata,"a",@progbits
	.p2align	6, 0x0
	.amdhsa_kernel _ZN7rocprim17ROCPRIM_400000_NS6detail17trampoline_kernelINS0_14default_configENS1_27scan_by_key_config_selectorIllEEZZNS1_16scan_by_key_implILNS1_25lookback_scan_determinismE0ELb0ES3_PKlN6hipcub16HIPCUB_304000_NS21ConstantInputIteratorIllEEPllNSB_3SumENSB_8EqualityElEE10hipError_tPvRmT2_T3_T4_T5_mT6_T7_P12ihipStream_tbENKUlT_T0_E_clISt17integral_constantIbLb1EESW_IbLb0EEEEDaSS_ST_EUlSS_E_NS1_11comp_targetILNS1_3genE4ELNS1_11target_archE910ELNS1_3gpuE8ELNS1_3repE0EEENS1_30default_config_static_selectorELNS0_4arch9wavefront6targetE1EEEvT1_
		.amdhsa_group_segment_fixed_size 0
		.amdhsa_private_segment_fixed_size 0
		.amdhsa_kernarg_size 144
		.amdhsa_user_sgpr_count 2
		.amdhsa_user_sgpr_dispatch_ptr 0
		.amdhsa_user_sgpr_queue_ptr 0
		.amdhsa_user_sgpr_kernarg_segment_ptr 1
		.amdhsa_user_sgpr_dispatch_id 0
		.amdhsa_user_sgpr_kernarg_preload_length 0
		.amdhsa_user_sgpr_kernarg_preload_offset 0
		.amdhsa_user_sgpr_private_segment_size 0
		.amdhsa_uses_dynamic_stack 0
		.amdhsa_enable_private_segment 0
		.amdhsa_system_sgpr_workgroup_id_x 1
		.amdhsa_system_sgpr_workgroup_id_y 0
		.amdhsa_system_sgpr_workgroup_id_z 0
		.amdhsa_system_sgpr_workgroup_info 0
		.amdhsa_system_vgpr_workitem_id 0
		.amdhsa_next_free_vgpr 1
		.amdhsa_next_free_sgpr 0
		.amdhsa_accum_offset 4
		.amdhsa_reserve_vcc 0
		.amdhsa_float_round_mode_32 0
		.amdhsa_float_round_mode_16_64 0
		.amdhsa_float_denorm_mode_32 3
		.amdhsa_float_denorm_mode_16_64 3
		.amdhsa_dx10_clamp 1
		.amdhsa_ieee_mode 1
		.amdhsa_fp16_overflow 0
		.amdhsa_tg_split 0
		.amdhsa_exception_fp_ieee_invalid_op 0
		.amdhsa_exception_fp_denorm_src 0
		.amdhsa_exception_fp_ieee_div_zero 0
		.amdhsa_exception_fp_ieee_overflow 0
		.amdhsa_exception_fp_ieee_underflow 0
		.amdhsa_exception_fp_ieee_inexact 0
		.amdhsa_exception_int_div_zero 0
	.end_amdhsa_kernel
	.section	.text._ZN7rocprim17ROCPRIM_400000_NS6detail17trampoline_kernelINS0_14default_configENS1_27scan_by_key_config_selectorIllEEZZNS1_16scan_by_key_implILNS1_25lookback_scan_determinismE0ELb0ES3_PKlN6hipcub16HIPCUB_304000_NS21ConstantInputIteratorIllEEPllNSB_3SumENSB_8EqualityElEE10hipError_tPvRmT2_T3_T4_T5_mT6_T7_P12ihipStream_tbENKUlT_T0_E_clISt17integral_constantIbLb1EESW_IbLb0EEEEDaSS_ST_EUlSS_E_NS1_11comp_targetILNS1_3genE4ELNS1_11target_archE910ELNS1_3gpuE8ELNS1_3repE0EEENS1_30default_config_static_selectorELNS0_4arch9wavefront6targetE1EEEvT1_,"axG",@progbits,_ZN7rocprim17ROCPRIM_400000_NS6detail17trampoline_kernelINS0_14default_configENS1_27scan_by_key_config_selectorIllEEZZNS1_16scan_by_key_implILNS1_25lookback_scan_determinismE0ELb0ES3_PKlN6hipcub16HIPCUB_304000_NS21ConstantInputIteratorIllEEPllNSB_3SumENSB_8EqualityElEE10hipError_tPvRmT2_T3_T4_T5_mT6_T7_P12ihipStream_tbENKUlT_T0_E_clISt17integral_constantIbLb1EESW_IbLb0EEEEDaSS_ST_EUlSS_E_NS1_11comp_targetILNS1_3genE4ELNS1_11target_archE910ELNS1_3gpuE8ELNS1_3repE0EEENS1_30default_config_static_selectorELNS0_4arch9wavefront6targetE1EEEvT1_,comdat
.Lfunc_end119:
	.size	_ZN7rocprim17ROCPRIM_400000_NS6detail17trampoline_kernelINS0_14default_configENS1_27scan_by_key_config_selectorIllEEZZNS1_16scan_by_key_implILNS1_25lookback_scan_determinismE0ELb0ES3_PKlN6hipcub16HIPCUB_304000_NS21ConstantInputIteratorIllEEPllNSB_3SumENSB_8EqualityElEE10hipError_tPvRmT2_T3_T4_T5_mT6_T7_P12ihipStream_tbENKUlT_T0_E_clISt17integral_constantIbLb1EESW_IbLb0EEEEDaSS_ST_EUlSS_E_NS1_11comp_targetILNS1_3genE4ELNS1_11target_archE910ELNS1_3gpuE8ELNS1_3repE0EEENS1_30default_config_static_selectorELNS0_4arch9wavefront6targetE1EEEvT1_, .Lfunc_end119-_ZN7rocprim17ROCPRIM_400000_NS6detail17trampoline_kernelINS0_14default_configENS1_27scan_by_key_config_selectorIllEEZZNS1_16scan_by_key_implILNS1_25lookback_scan_determinismE0ELb0ES3_PKlN6hipcub16HIPCUB_304000_NS21ConstantInputIteratorIllEEPllNSB_3SumENSB_8EqualityElEE10hipError_tPvRmT2_T3_T4_T5_mT6_T7_P12ihipStream_tbENKUlT_T0_E_clISt17integral_constantIbLb1EESW_IbLb0EEEEDaSS_ST_EUlSS_E_NS1_11comp_targetILNS1_3genE4ELNS1_11target_archE910ELNS1_3gpuE8ELNS1_3repE0EEENS1_30default_config_static_selectorELNS0_4arch9wavefront6targetE1EEEvT1_
                                        ; -- End function
	.set _ZN7rocprim17ROCPRIM_400000_NS6detail17trampoline_kernelINS0_14default_configENS1_27scan_by_key_config_selectorIllEEZZNS1_16scan_by_key_implILNS1_25lookback_scan_determinismE0ELb0ES3_PKlN6hipcub16HIPCUB_304000_NS21ConstantInputIteratorIllEEPllNSB_3SumENSB_8EqualityElEE10hipError_tPvRmT2_T3_T4_T5_mT6_T7_P12ihipStream_tbENKUlT_T0_E_clISt17integral_constantIbLb1EESW_IbLb0EEEEDaSS_ST_EUlSS_E_NS1_11comp_targetILNS1_3genE4ELNS1_11target_archE910ELNS1_3gpuE8ELNS1_3repE0EEENS1_30default_config_static_selectorELNS0_4arch9wavefront6targetE1EEEvT1_.num_vgpr, 0
	.set _ZN7rocprim17ROCPRIM_400000_NS6detail17trampoline_kernelINS0_14default_configENS1_27scan_by_key_config_selectorIllEEZZNS1_16scan_by_key_implILNS1_25lookback_scan_determinismE0ELb0ES3_PKlN6hipcub16HIPCUB_304000_NS21ConstantInputIteratorIllEEPllNSB_3SumENSB_8EqualityElEE10hipError_tPvRmT2_T3_T4_T5_mT6_T7_P12ihipStream_tbENKUlT_T0_E_clISt17integral_constantIbLb1EESW_IbLb0EEEEDaSS_ST_EUlSS_E_NS1_11comp_targetILNS1_3genE4ELNS1_11target_archE910ELNS1_3gpuE8ELNS1_3repE0EEENS1_30default_config_static_selectorELNS0_4arch9wavefront6targetE1EEEvT1_.num_agpr, 0
	.set _ZN7rocprim17ROCPRIM_400000_NS6detail17trampoline_kernelINS0_14default_configENS1_27scan_by_key_config_selectorIllEEZZNS1_16scan_by_key_implILNS1_25lookback_scan_determinismE0ELb0ES3_PKlN6hipcub16HIPCUB_304000_NS21ConstantInputIteratorIllEEPllNSB_3SumENSB_8EqualityElEE10hipError_tPvRmT2_T3_T4_T5_mT6_T7_P12ihipStream_tbENKUlT_T0_E_clISt17integral_constantIbLb1EESW_IbLb0EEEEDaSS_ST_EUlSS_E_NS1_11comp_targetILNS1_3genE4ELNS1_11target_archE910ELNS1_3gpuE8ELNS1_3repE0EEENS1_30default_config_static_selectorELNS0_4arch9wavefront6targetE1EEEvT1_.numbered_sgpr, 0
	.set _ZN7rocprim17ROCPRIM_400000_NS6detail17trampoline_kernelINS0_14default_configENS1_27scan_by_key_config_selectorIllEEZZNS1_16scan_by_key_implILNS1_25lookback_scan_determinismE0ELb0ES3_PKlN6hipcub16HIPCUB_304000_NS21ConstantInputIteratorIllEEPllNSB_3SumENSB_8EqualityElEE10hipError_tPvRmT2_T3_T4_T5_mT6_T7_P12ihipStream_tbENKUlT_T0_E_clISt17integral_constantIbLb1EESW_IbLb0EEEEDaSS_ST_EUlSS_E_NS1_11comp_targetILNS1_3genE4ELNS1_11target_archE910ELNS1_3gpuE8ELNS1_3repE0EEENS1_30default_config_static_selectorELNS0_4arch9wavefront6targetE1EEEvT1_.num_named_barrier, 0
	.set _ZN7rocprim17ROCPRIM_400000_NS6detail17trampoline_kernelINS0_14default_configENS1_27scan_by_key_config_selectorIllEEZZNS1_16scan_by_key_implILNS1_25lookback_scan_determinismE0ELb0ES3_PKlN6hipcub16HIPCUB_304000_NS21ConstantInputIteratorIllEEPllNSB_3SumENSB_8EqualityElEE10hipError_tPvRmT2_T3_T4_T5_mT6_T7_P12ihipStream_tbENKUlT_T0_E_clISt17integral_constantIbLb1EESW_IbLb0EEEEDaSS_ST_EUlSS_E_NS1_11comp_targetILNS1_3genE4ELNS1_11target_archE910ELNS1_3gpuE8ELNS1_3repE0EEENS1_30default_config_static_selectorELNS0_4arch9wavefront6targetE1EEEvT1_.private_seg_size, 0
	.set _ZN7rocprim17ROCPRIM_400000_NS6detail17trampoline_kernelINS0_14default_configENS1_27scan_by_key_config_selectorIllEEZZNS1_16scan_by_key_implILNS1_25lookback_scan_determinismE0ELb0ES3_PKlN6hipcub16HIPCUB_304000_NS21ConstantInputIteratorIllEEPllNSB_3SumENSB_8EqualityElEE10hipError_tPvRmT2_T3_T4_T5_mT6_T7_P12ihipStream_tbENKUlT_T0_E_clISt17integral_constantIbLb1EESW_IbLb0EEEEDaSS_ST_EUlSS_E_NS1_11comp_targetILNS1_3genE4ELNS1_11target_archE910ELNS1_3gpuE8ELNS1_3repE0EEENS1_30default_config_static_selectorELNS0_4arch9wavefront6targetE1EEEvT1_.uses_vcc, 0
	.set _ZN7rocprim17ROCPRIM_400000_NS6detail17trampoline_kernelINS0_14default_configENS1_27scan_by_key_config_selectorIllEEZZNS1_16scan_by_key_implILNS1_25lookback_scan_determinismE0ELb0ES3_PKlN6hipcub16HIPCUB_304000_NS21ConstantInputIteratorIllEEPllNSB_3SumENSB_8EqualityElEE10hipError_tPvRmT2_T3_T4_T5_mT6_T7_P12ihipStream_tbENKUlT_T0_E_clISt17integral_constantIbLb1EESW_IbLb0EEEEDaSS_ST_EUlSS_E_NS1_11comp_targetILNS1_3genE4ELNS1_11target_archE910ELNS1_3gpuE8ELNS1_3repE0EEENS1_30default_config_static_selectorELNS0_4arch9wavefront6targetE1EEEvT1_.uses_flat_scratch, 0
	.set _ZN7rocprim17ROCPRIM_400000_NS6detail17trampoline_kernelINS0_14default_configENS1_27scan_by_key_config_selectorIllEEZZNS1_16scan_by_key_implILNS1_25lookback_scan_determinismE0ELb0ES3_PKlN6hipcub16HIPCUB_304000_NS21ConstantInputIteratorIllEEPllNSB_3SumENSB_8EqualityElEE10hipError_tPvRmT2_T3_T4_T5_mT6_T7_P12ihipStream_tbENKUlT_T0_E_clISt17integral_constantIbLb1EESW_IbLb0EEEEDaSS_ST_EUlSS_E_NS1_11comp_targetILNS1_3genE4ELNS1_11target_archE910ELNS1_3gpuE8ELNS1_3repE0EEENS1_30default_config_static_selectorELNS0_4arch9wavefront6targetE1EEEvT1_.has_dyn_sized_stack, 0
	.set _ZN7rocprim17ROCPRIM_400000_NS6detail17trampoline_kernelINS0_14default_configENS1_27scan_by_key_config_selectorIllEEZZNS1_16scan_by_key_implILNS1_25lookback_scan_determinismE0ELb0ES3_PKlN6hipcub16HIPCUB_304000_NS21ConstantInputIteratorIllEEPllNSB_3SumENSB_8EqualityElEE10hipError_tPvRmT2_T3_T4_T5_mT6_T7_P12ihipStream_tbENKUlT_T0_E_clISt17integral_constantIbLb1EESW_IbLb0EEEEDaSS_ST_EUlSS_E_NS1_11comp_targetILNS1_3genE4ELNS1_11target_archE910ELNS1_3gpuE8ELNS1_3repE0EEENS1_30default_config_static_selectorELNS0_4arch9wavefront6targetE1EEEvT1_.has_recursion, 0
	.set _ZN7rocprim17ROCPRIM_400000_NS6detail17trampoline_kernelINS0_14default_configENS1_27scan_by_key_config_selectorIllEEZZNS1_16scan_by_key_implILNS1_25lookback_scan_determinismE0ELb0ES3_PKlN6hipcub16HIPCUB_304000_NS21ConstantInputIteratorIllEEPllNSB_3SumENSB_8EqualityElEE10hipError_tPvRmT2_T3_T4_T5_mT6_T7_P12ihipStream_tbENKUlT_T0_E_clISt17integral_constantIbLb1EESW_IbLb0EEEEDaSS_ST_EUlSS_E_NS1_11comp_targetILNS1_3genE4ELNS1_11target_archE910ELNS1_3gpuE8ELNS1_3repE0EEENS1_30default_config_static_selectorELNS0_4arch9wavefront6targetE1EEEvT1_.has_indirect_call, 0
	.section	.AMDGPU.csdata,"",@progbits
; Kernel info:
; codeLenInByte = 0
; TotalNumSgprs: 6
; NumVgprs: 0
; NumAgprs: 0
; TotalNumVgprs: 0
; ScratchSize: 0
; MemoryBound: 0
; FloatMode: 240
; IeeeMode: 1
; LDSByteSize: 0 bytes/workgroup (compile time only)
; SGPRBlocks: 0
; VGPRBlocks: 0
; NumSGPRsForWavesPerEU: 6
; NumVGPRsForWavesPerEU: 1
; AccumOffset: 4
; Occupancy: 8
; WaveLimiterHint : 0
; COMPUTE_PGM_RSRC2:SCRATCH_EN: 0
; COMPUTE_PGM_RSRC2:USER_SGPR: 2
; COMPUTE_PGM_RSRC2:TRAP_HANDLER: 0
; COMPUTE_PGM_RSRC2:TGID_X_EN: 1
; COMPUTE_PGM_RSRC2:TGID_Y_EN: 0
; COMPUTE_PGM_RSRC2:TGID_Z_EN: 0
; COMPUTE_PGM_RSRC2:TIDIG_COMP_CNT: 0
; COMPUTE_PGM_RSRC3_GFX90A:ACCUM_OFFSET: 0
; COMPUTE_PGM_RSRC3_GFX90A:TG_SPLIT: 0
	.section	.text._ZN7rocprim17ROCPRIM_400000_NS6detail17trampoline_kernelINS0_14default_configENS1_27scan_by_key_config_selectorIllEEZZNS1_16scan_by_key_implILNS1_25lookback_scan_determinismE0ELb0ES3_PKlN6hipcub16HIPCUB_304000_NS21ConstantInputIteratorIllEEPllNSB_3SumENSB_8EqualityElEE10hipError_tPvRmT2_T3_T4_T5_mT6_T7_P12ihipStream_tbENKUlT_T0_E_clISt17integral_constantIbLb1EESW_IbLb0EEEEDaSS_ST_EUlSS_E_NS1_11comp_targetILNS1_3genE3ELNS1_11target_archE908ELNS1_3gpuE7ELNS1_3repE0EEENS1_30default_config_static_selectorELNS0_4arch9wavefront6targetE1EEEvT1_,"axG",@progbits,_ZN7rocprim17ROCPRIM_400000_NS6detail17trampoline_kernelINS0_14default_configENS1_27scan_by_key_config_selectorIllEEZZNS1_16scan_by_key_implILNS1_25lookback_scan_determinismE0ELb0ES3_PKlN6hipcub16HIPCUB_304000_NS21ConstantInputIteratorIllEEPllNSB_3SumENSB_8EqualityElEE10hipError_tPvRmT2_T3_T4_T5_mT6_T7_P12ihipStream_tbENKUlT_T0_E_clISt17integral_constantIbLb1EESW_IbLb0EEEEDaSS_ST_EUlSS_E_NS1_11comp_targetILNS1_3genE3ELNS1_11target_archE908ELNS1_3gpuE7ELNS1_3repE0EEENS1_30default_config_static_selectorELNS0_4arch9wavefront6targetE1EEEvT1_,comdat
	.protected	_ZN7rocprim17ROCPRIM_400000_NS6detail17trampoline_kernelINS0_14default_configENS1_27scan_by_key_config_selectorIllEEZZNS1_16scan_by_key_implILNS1_25lookback_scan_determinismE0ELb0ES3_PKlN6hipcub16HIPCUB_304000_NS21ConstantInputIteratorIllEEPllNSB_3SumENSB_8EqualityElEE10hipError_tPvRmT2_T3_T4_T5_mT6_T7_P12ihipStream_tbENKUlT_T0_E_clISt17integral_constantIbLb1EESW_IbLb0EEEEDaSS_ST_EUlSS_E_NS1_11comp_targetILNS1_3genE3ELNS1_11target_archE908ELNS1_3gpuE7ELNS1_3repE0EEENS1_30default_config_static_selectorELNS0_4arch9wavefront6targetE1EEEvT1_ ; -- Begin function _ZN7rocprim17ROCPRIM_400000_NS6detail17trampoline_kernelINS0_14default_configENS1_27scan_by_key_config_selectorIllEEZZNS1_16scan_by_key_implILNS1_25lookback_scan_determinismE0ELb0ES3_PKlN6hipcub16HIPCUB_304000_NS21ConstantInputIteratorIllEEPllNSB_3SumENSB_8EqualityElEE10hipError_tPvRmT2_T3_T4_T5_mT6_T7_P12ihipStream_tbENKUlT_T0_E_clISt17integral_constantIbLb1EESW_IbLb0EEEEDaSS_ST_EUlSS_E_NS1_11comp_targetILNS1_3genE3ELNS1_11target_archE908ELNS1_3gpuE7ELNS1_3repE0EEENS1_30default_config_static_selectorELNS0_4arch9wavefront6targetE1EEEvT1_
	.globl	_ZN7rocprim17ROCPRIM_400000_NS6detail17trampoline_kernelINS0_14default_configENS1_27scan_by_key_config_selectorIllEEZZNS1_16scan_by_key_implILNS1_25lookback_scan_determinismE0ELb0ES3_PKlN6hipcub16HIPCUB_304000_NS21ConstantInputIteratorIllEEPllNSB_3SumENSB_8EqualityElEE10hipError_tPvRmT2_T3_T4_T5_mT6_T7_P12ihipStream_tbENKUlT_T0_E_clISt17integral_constantIbLb1EESW_IbLb0EEEEDaSS_ST_EUlSS_E_NS1_11comp_targetILNS1_3genE3ELNS1_11target_archE908ELNS1_3gpuE7ELNS1_3repE0EEENS1_30default_config_static_selectorELNS0_4arch9wavefront6targetE1EEEvT1_
	.p2align	8
	.type	_ZN7rocprim17ROCPRIM_400000_NS6detail17trampoline_kernelINS0_14default_configENS1_27scan_by_key_config_selectorIllEEZZNS1_16scan_by_key_implILNS1_25lookback_scan_determinismE0ELb0ES3_PKlN6hipcub16HIPCUB_304000_NS21ConstantInputIteratorIllEEPllNSB_3SumENSB_8EqualityElEE10hipError_tPvRmT2_T3_T4_T5_mT6_T7_P12ihipStream_tbENKUlT_T0_E_clISt17integral_constantIbLb1EESW_IbLb0EEEEDaSS_ST_EUlSS_E_NS1_11comp_targetILNS1_3genE3ELNS1_11target_archE908ELNS1_3gpuE7ELNS1_3repE0EEENS1_30default_config_static_selectorELNS0_4arch9wavefront6targetE1EEEvT1_,@function
_ZN7rocprim17ROCPRIM_400000_NS6detail17trampoline_kernelINS0_14default_configENS1_27scan_by_key_config_selectorIllEEZZNS1_16scan_by_key_implILNS1_25lookback_scan_determinismE0ELb0ES3_PKlN6hipcub16HIPCUB_304000_NS21ConstantInputIteratorIllEEPllNSB_3SumENSB_8EqualityElEE10hipError_tPvRmT2_T3_T4_T5_mT6_T7_P12ihipStream_tbENKUlT_T0_E_clISt17integral_constantIbLb1EESW_IbLb0EEEEDaSS_ST_EUlSS_E_NS1_11comp_targetILNS1_3genE3ELNS1_11target_archE908ELNS1_3gpuE7ELNS1_3repE0EEENS1_30default_config_static_selectorELNS0_4arch9wavefront6targetE1EEEvT1_: ; @_ZN7rocprim17ROCPRIM_400000_NS6detail17trampoline_kernelINS0_14default_configENS1_27scan_by_key_config_selectorIllEEZZNS1_16scan_by_key_implILNS1_25lookback_scan_determinismE0ELb0ES3_PKlN6hipcub16HIPCUB_304000_NS21ConstantInputIteratorIllEEPllNSB_3SumENSB_8EqualityElEE10hipError_tPvRmT2_T3_T4_T5_mT6_T7_P12ihipStream_tbENKUlT_T0_E_clISt17integral_constantIbLb1EESW_IbLb0EEEEDaSS_ST_EUlSS_E_NS1_11comp_targetILNS1_3genE3ELNS1_11target_archE908ELNS1_3gpuE7ELNS1_3repE0EEENS1_30default_config_static_selectorELNS0_4arch9wavefront6targetE1EEEvT1_
; %bb.0:
	.section	.rodata,"a",@progbits
	.p2align	6, 0x0
	.amdhsa_kernel _ZN7rocprim17ROCPRIM_400000_NS6detail17trampoline_kernelINS0_14default_configENS1_27scan_by_key_config_selectorIllEEZZNS1_16scan_by_key_implILNS1_25lookback_scan_determinismE0ELb0ES3_PKlN6hipcub16HIPCUB_304000_NS21ConstantInputIteratorIllEEPllNSB_3SumENSB_8EqualityElEE10hipError_tPvRmT2_T3_T4_T5_mT6_T7_P12ihipStream_tbENKUlT_T0_E_clISt17integral_constantIbLb1EESW_IbLb0EEEEDaSS_ST_EUlSS_E_NS1_11comp_targetILNS1_3genE3ELNS1_11target_archE908ELNS1_3gpuE7ELNS1_3repE0EEENS1_30default_config_static_selectorELNS0_4arch9wavefront6targetE1EEEvT1_
		.amdhsa_group_segment_fixed_size 0
		.amdhsa_private_segment_fixed_size 0
		.amdhsa_kernarg_size 144
		.amdhsa_user_sgpr_count 2
		.amdhsa_user_sgpr_dispatch_ptr 0
		.amdhsa_user_sgpr_queue_ptr 0
		.amdhsa_user_sgpr_kernarg_segment_ptr 1
		.amdhsa_user_sgpr_dispatch_id 0
		.amdhsa_user_sgpr_kernarg_preload_length 0
		.amdhsa_user_sgpr_kernarg_preload_offset 0
		.amdhsa_user_sgpr_private_segment_size 0
		.amdhsa_uses_dynamic_stack 0
		.amdhsa_enable_private_segment 0
		.amdhsa_system_sgpr_workgroup_id_x 1
		.amdhsa_system_sgpr_workgroup_id_y 0
		.amdhsa_system_sgpr_workgroup_id_z 0
		.amdhsa_system_sgpr_workgroup_info 0
		.amdhsa_system_vgpr_workitem_id 0
		.amdhsa_next_free_vgpr 1
		.amdhsa_next_free_sgpr 0
		.amdhsa_accum_offset 4
		.amdhsa_reserve_vcc 0
		.amdhsa_float_round_mode_32 0
		.amdhsa_float_round_mode_16_64 0
		.amdhsa_float_denorm_mode_32 3
		.amdhsa_float_denorm_mode_16_64 3
		.amdhsa_dx10_clamp 1
		.amdhsa_ieee_mode 1
		.amdhsa_fp16_overflow 0
		.amdhsa_tg_split 0
		.amdhsa_exception_fp_ieee_invalid_op 0
		.amdhsa_exception_fp_denorm_src 0
		.amdhsa_exception_fp_ieee_div_zero 0
		.amdhsa_exception_fp_ieee_overflow 0
		.amdhsa_exception_fp_ieee_underflow 0
		.amdhsa_exception_fp_ieee_inexact 0
		.amdhsa_exception_int_div_zero 0
	.end_amdhsa_kernel
	.section	.text._ZN7rocprim17ROCPRIM_400000_NS6detail17trampoline_kernelINS0_14default_configENS1_27scan_by_key_config_selectorIllEEZZNS1_16scan_by_key_implILNS1_25lookback_scan_determinismE0ELb0ES3_PKlN6hipcub16HIPCUB_304000_NS21ConstantInputIteratorIllEEPllNSB_3SumENSB_8EqualityElEE10hipError_tPvRmT2_T3_T4_T5_mT6_T7_P12ihipStream_tbENKUlT_T0_E_clISt17integral_constantIbLb1EESW_IbLb0EEEEDaSS_ST_EUlSS_E_NS1_11comp_targetILNS1_3genE3ELNS1_11target_archE908ELNS1_3gpuE7ELNS1_3repE0EEENS1_30default_config_static_selectorELNS0_4arch9wavefront6targetE1EEEvT1_,"axG",@progbits,_ZN7rocprim17ROCPRIM_400000_NS6detail17trampoline_kernelINS0_14default_configENS1_27scan_by_key_config_selectorIllEEZZNS1_16scan_by_key_implILNS1_25lookback_scan_determinismE0ELb0ES3_PKlN6hipcub16HIPCUB_304000_NS21ConstantInputIteratorIllEEPllNSB_3SumENSB_8EqualityElEE10hipError_tPvRmT2_T3_T4_T5_mT6_T7_P12ihipStream_tbENKUlT_T0_E_clISt17integral_constantIbLb1EESW_IbLb0EEEEDaSS_ST_EUlSS_E_NS1_11comp_targetILNS1_3genE3ELNS1_11target_archE908ELNS1_3gpuE7ELNS1_3repE0EEENS1_30default_config_static_selectorELNS0_4arch9wavefront6targetE1EEEvT1_,comdat
.Lfunc_end120:
	.size	_ZN7rocprim17ROCPRIM_400000_NS6detail17trampoline_kernelINS0_14default_configENS1_27scan_by_key_config_selectorIllEEZZNS1_16scan_by_key_implILNS1_25lookback_scan_determinismE0ELb0ES3_PKlN6hipcub16HIPCUB_304000_NS21ConstantInputIteratorIllEEPllNSB_3SumENSB_8EqualityElEE10hipError_tPvRmT2_T3_T4_T5_mT6_T7_P12ihipStream_tbENKUlT_T0_E_clISt17integral_constantIbLb1EESW_IbLb0EEEEDaSS_ST_EUlSS_E_NS1_11comp_targetILNS1_3genE3ELNS1_11target_archE908ELNS1_3gpuE7ELNS1_3repE0EEENS1_30default_config_static_selectorELNS0_4arch9wavefront6targetE1EEEvT1_, .Lfunc_end120-_ZN7rocprim17ROCPRIM_400000_NS6detail17trampoline_kernelINS0_14default_configENS1_27scan_by_key_config_selectorIllEEZZNS1_16scan_by_key_implILNS1_25lookback_scan_determinismE0ELb0ES3_PKlN6hipcub16HIPCUB_304000_NS21ConstantInputIteratorIllEEPllNSB_3SumENSB_8EqualityElEE10hipError_tPvRmT2_T3_T4_T5_mT6_T7_P12ihipStream_tbENKUlT_T0_E_clISt17integral_constantIbLb1EESW_IbLb0EEEEDaSS_ST_EUlSS_E_NS1_11comp_targetILNS1_3genE3ELNS1_11target_archE908ELNS1_3gpuE7ELNS1_3repE0EEENS1_30default_config_static_selectorELNS0_4arch9wavefront6targetE1EEEvT1_
                                        ; -- End function
	.set _ZN7rocprim17ROCPRIM_400000_NS6detail17trampoline_kernelINS0_14default_configENS1_27scan_by_key_config_selectorIllEEZZNS1_16scan_by_key_implILNS1_25lookback_scan_determinismE0ELb0ES3_PKlN6hipcub16HIPCUB_304000_NS21ConstantInputIteratorIllEEPllNSB_3SumENSB_8EqualityElEE10hipError_tPvRmT2_T3_T4_T5_mT6_T7_P12ihipStream_tbENKUlT_T0_E_clISt17integral_constantIbLb1EESW_IbLb0EEEEDaSS_ST_EUlSS_E_NS1_11comp_targetILNS1_3genE3ELNS1_11target_archE908ELNS1_3gpuE7ELNS1_3repE0EEENS1_30default_config_static_selectorELNS0_4arch9wavefront6targetE1EEEvT1_.num_vgpr, 0
	.set _ZN7rocprim17ROCPRIM_400000_NS6detail17trampoline_kernelINS0_14default_configENS1_27scan_by_key_config_selectorIllEEZZNS1_16scan_by_key_implILNS1_25lookback_scan_determinismE0ELb0ES3_PKlN6hipcub16HIPCUB_304000_NS21ConstantInputIteratorIllEEPllNSB_3SumENSB_8EqualityElEE10hipError_tPvRmT2_T3_T4_T5_mT6_T7_P12ihipStream_tbENKUlT_T0_E_clISt17integral_constantIbLb1EESW_IbLb0EEEEDaSS_ST_EUlSS_E_NS1_11comp_targetILNS1_3genE3ELNS1_11target_archE908ELNS1_3gpuE7ELNS1_3repE0EEENS1_30default_config_static_selectorELNS0_4arch9wavefront6targetE1EEEvT1_.num_agpr, 0
	.set _ZN7rocprim17ROCPRIM_400000_NS6detail17trampoline_kernelINS0_14default_configENS1_27scan_by_key_config_selectorIllEEZZNS1_16scan_by_key_implILNS1_25lookback_scan_determinismE0ELb0ES3_PKlN6hipcub16HIPCUB_304000_NS21ConstantInputIteratorIllEEPllNSB_3SumENSB_8EqualityElEE10hipError_tPvRmT2_T3_T4_T5_mT6_T7_P12ihipStream_tbENKUlT_T0_E_clISt17integral_constantIbLb1EESW_IbLb0EEEEDaSS_ST_EUlSS_E_NS1_11comp_targetILNS1_3genE3ELNS1_11target_archE908ELNS1_3gpuE7ELNS1_3repE0EEENS1_30default_config_static_selectorELNS0_4arch9wavefront6targetE1EEEvT1_.numbered_sgpr, 0
	.set _ZN7rocprim17ROCPRIM_400000_NS6detail17trampoline_kernelINS0_14default_configENS1_27scan_by_key_config_selectorIllEEZZNS1_16scan_by_key_implILNS1_25lookback_scan_determinismE0ELb0ES3_PKlN6hipcub16HIPCUB_304000_NS21ConstantInputIteratorIllEEPllNSB_3SumENSB_8EqualityElEE10hipError_tPvRmT2_T3_T4_T5_mT6_T7_P12ihipStream_tbENKUlT_T0_E_clISt17integral_constantIbLb1EESW_IbLb0EEEEDaSS_ST_EUlSS_E_NS1_11comp_targetILNS1_3genE3ELNS1_11target_archE908ELNS1_3gpuE7ELNS1_3repE0EEENS1_30default_config_static_selectorELNS0_4arch9wavefront6targetE1EEEvT1_.num_named_barrier, 0
	.set _ZN7rocprim17ROCPRIM_400000_NS6detail17trampoline_kernelINS0_14default_configENS1_27scan_by_key_config_selectorIllEEZZNS1_16scan_by_key_implILNS1_25lookback_scan_determinismE0ELb0ES3_PKlN6hipcub16HIPCUB_304000_NS21ConstantInputIteratorIllEEPllNSB_3SumENSB_8EqualityElEE10hipError_tPvRmT2_T3_T4_T5_mT6_T7_P12ihipStream_tbENKUlT_T0_E_clISt17integral_constantIbLb1EESW_IbLb0EEEEDaSS_ST_EUlSS_E_NS1_11comp_targetILNS1_3genE3ELNS1_11target_archE908ELNS1_3gpuE7ELNS1_3repE0EEENS1_30default_config_static_selectorELNS0_4arch9wavefront6targetE1EEEvT1_.private_seg_size, 0
	.set _ZN7rocprim17ROCPRIM_400000_NS6detail17trampoline_kernelINS0_14default_configENS1_27scan_by_key_config_selectorIllEEZZNS1_16scan_by_key_implILNS1_25lookback_scan_determinismE0ELb0ES3_PKlN6hipcub16HIPCUB_304000_NS21ConstantInputIteratorIllEEPllNSB_3SumENSB_8EqualityElEE10hipError_tPvRmT2_T3_T4_T5_mT6_T7_P12ihipStream_tbENKUlT_T0_E_clISt17integral_constantIbLb1EESW_IbLb0EEEEDaSS_ST_EUlSS_E_NS1_11comp_targetILNS1_3genE3ELNS1_11target_archE908ELNS1_3gpuE7ELNS1_3repE0EEENS1_30default_config_static_selectorELNS0_4arch9wavefront6targetE1EEEvT1_.uses_vcc, 0
	.set _ZN7rocprim17ROCPRIM_400000_NS6detail17trampoline_kernelINS0_14default_configENS1_27scan_by_key_config_selectorIllEEZZNS1_16scan_by_key_implILNS1_25lookback_scan_determinismE0ELb0ES3_PKlN6hipcub16HIPCUB_304000_NS21ConstantInputIteratorIllEEPllNSB_3SumENSB_8EqualityElEE10hipError_tPvRmT2_T3_T4_T5_mT6_T7_P12ihipStream_tbENKUlT_T0_E_clISt17integral_constantIbLb1EESW_IbLb0EEEEDaSS_ST_EUlSS_E_NS1_11comp_targetILNS1_3genE3ELNS1_11target_archE908ELNS1_3gpuE7ELNS1_3repE0EEENS1_30default_config_static_selectorELNS0_4arch9wavefront6targetE1EEEvT1_.uses_flat_scratch, 0
	.set _ZN7rocprim17ROCPRIM_400000_NS6detail17trampoline_kernelINS0_14default_configENS1_27scan_by_key_config_selectorIllEEZZNS1_16scan_by_key_implILNS1_25lookback_scan_determinismE0ELb0ES3_PKlN6hipcub16HIPCUB_304000_NS21ConstantInputIteratorIllEEPllNSB_3SumENSB_8EqualityElEE10hipError_tPvRmT2_T3_T4_T5_mT6_T7_P12ihipStream_tbENKUlT_T0_E_clISt17integral_constantIbLb1EESW_IbLb0EEEEDaSS_ST_EUlSS_E_NS1_11comp_targetILNS1_3genE3ELNS1_11target_archE908ELNS1_3gpuE7ELNS1_3repE0EEENS1_30default_config_static_selectorELNS0_4arch9wavefront6targetE1EEEvT1_.has_dyn_sized_stack, 0
	.set _ZN7rocprim17ROCPRIM_400000_NS6detail17trampoline_kernelINS0_14default_configENS1_27scan_by_key_config_selectorIllEEZZNS1_16scan_by_key_implILNS1_25lookback_scan_determinismE0ELb0ES3_PKlN6hipcub16HIPCUB_304000_NS21ConstantInputIteratorIllEEPllNSB_3SumENSB_8EqualityElEE10hipError_tPvRmT2_T3_T4_T5_mT6_T7_P12ihipStream_tbENKUlT_T0_E_clISt17integral_constantIbLb1EESW_IbLb0EEEEDaSS_ST_EUlSS_E_NS1_11comp_targetILNS1_3genE3ELNS1_11target_archE908ELNS1_3gpuE7ELNS1_3repE0EEENS1_30default_config_static_selectorELNS0_4arch9wavefront6targetE1EEEvT1_.has_recursion, 0
	.set _ZN7rocprim17ROCPRIM_400000_NS6detail17trampoline_kernelINS0_14default_configENS1_27scan_by_key_config_selectorIllEEZZNS1_16scan_by_key_implILNS1_25lookback_scan_determinismE0ELb0ES3_PKlN6hipcub16HIPCUB_304000_NS21ConstantInputIteratorIllEEPllNSB_3SumENSB_8EqualityElEE10hipError_tPvRmT2_T3_T4_T5_mT6_T7_P12ihipStream_tbENKUlT_T0_E_clISt17integral_constantIbLb1EESW_IbLb0EEEEDaSS_ST_EUlSS_E_NS1_11comp_targetILNS1_3genE3ELNS1_11target_archE908ELNS1_3gpuE7ELNS1_3repE0EEENS1_30default_config_static_selectorELNS0_4arch9wavefront6targetE1EEEvT1_.has_indirect_call, 0
	.section	.AMDGPU.csdata,"",@progbits
; Kernel info:
; codeLenInByte = 0
; TotalNumSgprs: 6
; NumVgprs: 0
; NumAgprs: 0
; TotalNumVgprs: 0
; ScratchSize: 0
; MemoryBound: 0
; FloatMode: 240
; IeeeMode: 1
; LDSByteSize: 0 bytes/workgroup (compile time only)
; SGPRBlocks: 0
; VGPRBlocks: 0
; NumSGPRsForWavesPerEU: 6
; NumVGPRsForWavesPerEU: 1
; AccumOffset: 4
; Occupancy: 8
; WaveLimiterHint : 0
; COMPUTE_PGM_RSRC2:SCRATCH_EN: 0
; COMPUTE_PGM_RSRC2:USER_SGPR: 2
; COMPUTE_PGM_RSRC2:TRAP_HANDLER: 0
; COMPUTE_PGM_RSRC2:TGID_X_EN: 1
; COMPUTE_PGM_RSRC2:TGID_Y_EN: 0
; COMPUTE_PGM_RSRC2:TGID_Z_EN: 0
; COMPUTE_PGM_RSRC2:TIDIG_COMP_CNT: 0
; COMPUTE_PGM_RSRC3_GFX90A:ACCUM_OFFSET: 0
; COMPUTE_PGM_RSRC3_GFX90A:TG_SPLIT: 0
	.section	.text._ZN7rocprim17ROCPRIM_400000_NS6detail17trampoline_kernelINS0_14default_configENS1_27scan_by_key_config_selectorIllEEZZNS1_16scan_by_key_implILNS1_25lookback_scan_determinismE0ELb0ES3_PKlN6hipcub16HIPCUB_304000_NS21ConstantInputIteratorIllEEPllNSB_3SumENSB_8EqualityElEE10hipError_tPvRmT2_T3_T4_T5_mT6_T7_P12ihipStream_tbENKUlT_T0_E_clISt17integral_constantIbLb1EESW_IbLb0EEEEDaSS_ST_EUlSS_E_NS1_11comp_targetILNS1_3genE2ELNS1_11target_archE906ELNS1_3gpuE6ELNS1_3repE0EEENS1_30default_config_static_selectorELNS0_4arch9wavefront6targetE1EEEvT1_,"axG",@progbits,_ZN7rocprim17ROCPRIM_400000_NS6detail17trampoline_kernelINS0_14default_configENS1_27scan_by_key_config_selectorIllEEZZNS1_16scan_by_key_implILNS1_25lookback_scan_determinismE0ELb0ES3_PKlN6hipcub16HIPCUB_304000_NS21ConstantInputIteratorIllEEPllNSB_3SumENSB_8EqualityElEE10hipError_tPvRmT2_T3_T4_T5_mT6_T7_P12ihipStream_tbENKUlT_T0_E_clISt17integral_constantIbLb1EESW_IbLb0EEEEDaSS_ST_EUlSS_E_NS1_11comp_targetILNS1_3genE2ELNS1_11target_archE906ELNS1_3gpuE6ELNS1_3repE0EEENS1_30default_config_static_selectorELNS0_4arch9wavefront6targetE1EEEvT1_,comdat
	.protected	_ZN7rocprim17ROCPRIM_400000_NS6detail17trampoline_kernelINS0_14default_configENS1_27scan_by_key_config_selectorIllEEZZNS1_16scan_by_key_implILNS1_25lookback_scan_determinismE0ELb0ES3_PKlN6hipcub16HIPCUB_304000_NS21ConstantInputIteratorIllEEPllNSB_3SumENSB_8EqualityElEE10hipError_tPvRmT2_T3_T4_T5_mT6_T7_P12ihipStream_tbENKUlT_T0_E_clISt17integral_constantIbLb1EESW_IbLb0EEEEDaSS_ST_EUlSS_E_NS1_11comp_targetILNS1_3genE2ELNS1_11target_archE906ELNS1_3gpuE6ELNS1_3repE0EEENS1_30default_config_static_selectorELNS0_4arch9wavefront6targetE1EEEvT1_ ; -- Begin function _ZN7rocprim17ROCPRIM_400000_NS6detail17trampoline_kernelINS0_14default_configENS1_27scan_by_key_config_selectorIllEEZZNS1_16scan_by_key_implILNS1_25lookback_scan_determinismE0ELb0ES3_PKlN6hipcub16HIPCUB_304000_NS21ConstantInputIteratorIllEEPllNSB_3SumENSB_8EqualityElEE10hipError_tPvRmT2_T3_T4_T5_mT6_T7_P12ihipStream_tbENKUlT_T0_E_clISt17integral_constantIbLb1EESW_IbLb0EEEEDaSS_ST_EUlSS_E_NS1_11comp_targetILNS1_3genE2ELNS1_11target_archE906ELNS1_3gpuE6ELNS1_3repE0EEENS1_30default_config_static_selectorELNS0_4arch9wavefront6targetE1EEEvT1_
	.globl	_ZN7rocprim17ROCPRIM_400000_NS6detail17trampoline_kernelINS0_14default_configENS1_27scan_by_key_config_selectorIllEEZZNS1_16scan_by_key_implILNS1_25lookback_scan_determinismE0ELb0ES3_PKlN6hipcub16HIPCUB_304000_NS21ConstantInputIteratorIllEEPllNSB_3SumENSB_8EqualityElEE10hipError_tPvRmT2_T3_T4_T5_mT6_T7_P12ihipStream_tbENKUlT_T0_E_clISt17integral_constantIbLb1EESW_IbLb0EEEEDaSS_ST_EUlSS_E_NS1_11comp_targetILNS1_3genE2ELNS1_11target_archE906ELNS1_3gpuE6ELNS1_3repE0EEENS1_30default_config_static_selectorELNS0_4arch9wavefront6targetE1EEEvT1_
	.p2align	8
	.type	_ZN7rocprim17ROCPRIM_400000_NS6detail17trampoline_kernelINS0_14default_configENS1_27scan_by_key_config_selectorIllEEZZNS1_16scan_by_key_implILNS1_25lookback_scan_determinismE0ELb0ES3_PKlN6hipcub16HIPCUB_304000_NS21ConstantInputIteratorIllEEPllNSB_3SumENSB_8EqualityElEE10hipError_tPvRmT2_T3_T4_T5_mT6_T7_P12ihipStream_tbENKUlT_T0_E_clISt17integral_constantIbLb1EESW_IbLb0EEEEDaSS_ST_EUlSS_E_NS1_11comp_targetILNS1_3genE2ELNS1_11target_archE906ELNS1_3gpuE6ELNS1_3repE0EEENS1_30default_config_static_selectorELNS0_4arch9wavefront6targetE1EEEvT1_,@function
_ZN7rocprim17ROCPRIM_400000_NS6detail17trampoline_kernelINS0_14default_configENS1_27scan_by_key_config_selectorIllEEZZNS1_16scan_by_key_implILNS1_25lookback_scan_determinismE0ELb0ES3_PKlN6hipcub16HIPCUB_304000_NS21ConstantInputIteratorIllEEPllNSB_3SumENSB_8EqualityElEE10hipError_tPvRmT2_T3_T4_T5_mT6_T7_P12ihipStream_tbENKUlT_T0_E_clISt17integral_constantIbLb1EESW_IbLb0EEEEDaSS_ST_EUlSS_E_NS1_11comp_targetILNS1_3genE2ELNS1_11target_archE906ELNS1_3gpuE6ELNS1_3repE0EEENS1_30default_config_static_selectorELNS0_4arch9wavefront6targetE1EEEvT1_: ; @_ZN7rocprim17ROCPRIM_400000_NS6detail17trampoline_kernelINS0_14default_configENS1_27scan_by_key_config_selectorIllEEZZNS1_16scan_by_key_implILNS1_25lookback_scan_determinismE0ELb0ES3_PKlN6hipcub16HIPCUB_304000_NS21ConstantInputIteratorIllEEPllNSB_3SumENSB_8EqualityElEE10hipError_tPvRmT2_T3_T4_T5_mT6_T7_P12ihipStream_tbENKUlT_T0_E_clISt17integral_constantIbLb1EESW_IbLb0EEEEDaSS_ST_EUlSS_E_NS1_11comp_targetILNS1_3genE2ELNS1_11target_archE906ELNS1_3gpuE6ELNS1_3repE0EEENS1_30default_config_static_selectorELNS0_4arch9wavefront6targetE1EEEvT1_
; %bb.0:
	.section	.rodata,"a",@progbits
	.p2align	6, 0x0
	.amdhsa_kernel _ZN7rocprim17ROCPRIM_400000_NS6detail17trampoline_kernelINS0_14default_configENS1_27scan_by_key_config_selectorIllEEZZNS1_16scan_by_key_implILNS1_25lookback_scan_determinismE0ELb0ES3_PKlN6hipcub16HIPCUB_304000_NS21ConstantInputIteratorIllEEPllNSB_3SumENSB_8EqualityElEE10hipError_tPvRmT2_T3_T4_T5_mT6_T7_P12ihipStream_tbENKUlT_T0_E_clISt17integral_constantIbLb1EESW_IbLb0EEEEDaSS_ST_EUlSS_E_NS1_11comp_targetILNS1_3genE2ELNS1_11target_archE906ELNS1_3gpuE6ELNS1_3repE0EEENS1_30default_config_static_selectorELNS0_4arch9wavefront6targetE1EEEvT1_
		.amdhsa_group_segment_fixed_size 0
		.amdhsa_private_segment_fixed_size 0
		.amdhsa_kernarg_size 144
		.amdhsa_user_sgpr_count 2
		.amdhsa_user_sgpr_dispatch_ptr 0
		.amdhsa_user_sgpr_queue_ptr 0
		.amdhsa_user_sgpr_kernarg_segment_ptr 1
		.amdhsa_user_sgpr_dispatch_id 0
		.amdhsa_user_sgpr_kernarg_preload_length 0
		.amdhsa_user_sgpr_kernarg_preload_offset 0
		.amdhsa_user_sgpr_private_segment_size 0
		.amdhsa_uses_dynamic_stack 0
		.amdhsa_enable_private_segment 0
		.amdhsa_system_sgpr_workgroup_id_x 1
		.amdhsa_system_sgpr_workgroup_id_y 0
		.amdhsa_system_sgpr_workgroup_id_z 0
		.amdhsa_system_sgpr_workgroup_info 0
		.amdhsa_system_vgpr_workitem_id 0
		.amdhsa_next_free_vgpr 1
		.amdhsa_next_free_sgpr 0
		.amdhsa_accum_offset 4
		.amdhsa_reserve_vcc 0
		.amdhsa_float_round_mode_32 0
		.amdhsa_float_round_mode_16_64 0
		.amdhsa_float_denorm_mode_32 3
		.amdhsa_float_denorm_mode_16_64 3
		.amdhsa_dx10_clamp 1
		.amdhsa_ieee_mode 1
		.amdhsa_fp16_overflow 0
		.amdhsa_tg_split 0
		.amdhsa_exception_fp_ieee_invalid_op 0
		.amdhsa_exception_fp_denorm_src 0
		.amdhsa_exception_fp_ieee_div_zero 0
		.amdhsa_exception_fp_ieee_overflow 0
		.amdhsa_exception_fp_ieee_underflow 0
		.amdhsa_exception_fp_ieee_inexact 0
		.amdhsa_exception_int_div_zero 0
	.end_amdhsa_kernel
	.section	.text._ZN7rocprim17ROCPRIM_400000_NS6detail17trampoline_kernelINS0_14default_configENS1_27scan_by_key_config_selectorIllEEZZNS1_16scan_by_key_implILNS1_25lookback_scan_determinismE0ELb0ES3_PKlN6hipcub16HIPCUB_304000_NS21ConstantInputIteratorIllEEPllNSB_3SumENSB_8EqualityElEE10hipError_tPvRmT2_T3_T4_T5_mT6_T7_P12ihipStream_tbENKUlT_T0_E_clISt17integral_constantIbLb1EESW_IbLb0EEEEDaSS_ST_EUlSS_E_NS1_11comp_targetILNS1_3genE2ELNS1_11target_archE906ELNS1_3gpuE6ELNS1_3repE0EEENS1_30default_config_static_selectorELNS0_4arch9wavefront6targetE1EEEvT1_,"axG",@progbits,_ZN7rocprim17ROCPRIM_400000_NS6detail17trampoline_kernelINS0_14default_configENS1_27scan_by_key_config_selectorIllEEZZNS1_16scan_by_key_implILNS1_25lookback_scan_determinismE0ELb0ES3_PKlN6hipcub16HIPCUB_304000_NS21ConstantInputIteratorIllEEPllNSB_3SumENSB_8EqualityElEE10hipError_tPvRmT2_T3_T4_T5_mT6_T7_P12ihipStream_tbENKUlT_T0_E_clISt17integral_constantIbLb1EESW_IbLb0EEEEDaSS_ST_EUlSS_E_NS1_11comp_targetILNS1_3genE2ELNS1_11target_archE906ELNS1_3gpuE6ELNS1_3repE0EEENS1_30default_config_static_selectorELNS0_4arch9wavefront6targetE1EEEvT1_,comdat
.Lfunc_end121:
	.size	_ZN7rocprim17ROCPRIM_400000_NS6detail17trampoline_kernelINS0_14default_configENS1_27scan_by_key_config_selectorIllEEZZNS1_16scan_by_key_implILNS1_25lookback_scan_determinismE0ELb0ES3_PKlN6hipcub16HIPCUB_304000_NS21ConstantInputIteratorIllEEPllNSB_3SumENSB_8EqualityElEE10hipError_tPvRmT2_T3_T4_T5_mT6_T7_P12ihipStream_tbENKUlT_T0_E_clISt17integral_constantIbLb1EESW_IbLb0EEEEDaSS_ST_EUlSS_E_NS1_11comp_targetILNS1_3genE2ELNS1_11target_archE906ELNS1_3gpuE6ELNS1_3repE0EEENS1_30default_config_static_selectorELNS0_4arch9wavefront6targetE1EEEvT1_, .Lfunc_end121-_ZN7rocprim17ROCPRIM_400000_NS6detail17trampoline_kernelINS0_14default_configENS1_27scan_by_key_config_selectorIllEEZZNS1_16scan_by_key_implILNS1_25lookback_scan_determinismE0ELb0ES3_PKlN6hipcub16HIPCUB_304000_NS21ConstantInputIteratorIllEEPllNSB_3SumENSB_8EqualityElEE10hipError_tPvRmT2_T3_T4_T5_mT6_T7_P12ihipStream_tbENKUlT_T0_E_clISt17integral_constantIbLb1EESW_IbLb0EEEEDaSS_ST_EUlSS_E_NS1_11comp_targetILNS1_3genE2ELNS1_11target_archE906ELNS1_3gpuE6ELNS1_3repE0EEENS1_30default_config_static_selectorELNS0_4arch9wavefront6targetE1EEEvT1_
                                        ; -- End function
	.set _ZN7rocprim17ROCPRIM_400000_NS6detail17trampoline_kernelINS0_14default_configENS1_27scan_by_key_config_selectorIllEEZZNS1_16scan_by_key_implILNS1_25lookback_scan_determinismE0ELb0ES3_PKlN6hipcub16HIPCUB_304000_NS21ConstantInputIteratorIllEEPllNSB_3SumENSB_8EqualityElEE10hipError_tPvRmT2_T3_T4_T5_mT6_T7_P12ihipStream_tbENKUlT_T0_E_clISt17integral_constantIbLb1EESW_IbLb0EEEEDaSS_ST_EUlSS_E_NS1_11comp_targetILNS1_3genE2ELNS1_11target_archE906ELNS1_3gpuE6ELNS1_3repE0EEENS1_30default_config_static_selectorELNS0_4arch9wavefront6targetE1EEEvT1_.num_vgpr, 0
	.set _ZN7rocprim17ROCPRIM_400000_NS6detail17trampoline_kernelINS0_14default_configENS1_27scan_by_key_config_selectorIllEEZZNS1_16scan_by_key_implILNS1_25lookback_scan_determinismE0ELb0ES3_PKlN6hipcub16HIPCUB_304000_NS21ConstantInputIteratorIllEEPllNSB_3SumENSB_8EqualityElEE10hipError_tPvRmT2_T3_T4_T5_mT6_T7_P12ihipStream_tbENKUlT_T0_E_clISt17integral_constantIbLb1EESW_IbLb0EEEEDaSS_ST_EUlSS_E_NS1_11comp_targetILNS1_3genE2ELNS1_11target_archE906ELNS1_3gpuE6ELNS1_3repE0EEENS1_30default_config_static_selectorELNS0_4arch9wavefront6targetE1EEEvT1_.num_agpr, 0
	.set _ZN7rocprim17ROCPRIM_400000_NS6detail17trampoline_kernelINS0_14default_configENS1_27scan_by_key_config_selectorIllEEZZNS1_16scan_by_key_implILNS1_25lookback_scan_determinismE0ELb0ES3_PKlN6hipcub16HIPCUB_304000_NS21ConstantInputIteratorIllEEPllNSB_3SumENSB_8EqualityElEE10hipError_tPvRmT2_T3_T4_T5_mT6_T7_P12ihipStream_tbENKUlT_T0_E_clISt17integral_constantIbLb1EESW_IbLb0EEEEDaSS_ST_EUlSS_E_NS1_11comp_targetILNS1_3genE2ELNS1_11target_archE906ELNS1_3gpuE6ELNS1_3repE0EEENS1_30default_config_static_selectorELNS0_4arch9wavefront6targetE1EEEvT1_.numbered_sgpr, 0
	.set _ZN7rocprim17ROCPRIM_400000_NS6detail17trampoline_kernelINS0_14default_configENS1_27scan_by_key_config_selectorIllEEZZNS1_16scan_by_key_implILNS1_25lookback_scan_determinismE0ELb0ES3_PKlN6hipcub16HIPCUB_304000_NS21ConstantInputIteratorIllEEPllNSB_3SumENSB_8EqualityElEE10hipError_tPvRmT2_T3_T4_T5_mT6_T7_P12ihipStream_tbENKUlT_T0_E_clISt17integral_constantIbLb1EESW_IbLb0EEEEDaSS_ST_EUlSS_E_NS1_11comp_targetILNS1_3genE2ELNS1_11target_archE906ELNS1_3gpuE6ELNS1_3repE0EEENS1_30default_config_static_selectorELNS0_4arch9wavefront6targetE1EEEvT1_.num_named_barrier, 0
	.set _ZN7rocprim17ROCPRIM_400000_NS6detail17trampoline_kernelINS0_14default_configENS1_27scan_by_key_config_selectorIllEEZZNS1_16scan_by_key_implILNS1_25lookback_scan_determinismE0ELb0ES3_PKlN6hipcub16HIPCUB_304000_NS21ConstantInputIteratorIllEEPllNSB_3SumENSB_8EqualityElEE10hipError_tPvRmT2_T3_T4_T5_mT6_T7_P12ihipStream_tbENKUlT_T0_E_clISt17integral_constantIbLb1EESW_IbLb0EEEEDaSS_ST_EUlSS_E_NS1_11comp_targetILNS1_3genE2ELNS1_11target_archE906ELNS1_3gpuE6ELNS1_3repE0EEENS1_30default_config_static_selectorELNS0_4arch9wavefront6targetE1EEEvT1_.private_seg_size, 0
	.set _ZN7rocprim17ROCPRIM_400000_NS6detail17trampoline_kernelINS0_14default_configENS1_27scan_by_key_config_selectorIllEEZZNS1_16scan_by_key_implILNS1_25lookback_scan_determinismE0ELb0ES3_PKlN6hipcub16HIPCUB_304000_NS21ConstantInputIteratorIllEEPllNSB_3SumENSB_8EqualityElEE10hipError_tPvRmT2_T3_T4_T5_mT6_T7_P12ihipStream_tbENKUlT_T0_E_clISt17integral_constantIbLb1EESW_IbLb0EEEEDaSS_ST_EUlSS_E_NS1_11comp_targetILNS1_3genE2ELNS1_11target_archE906ELNS1_3gpuE6ELNS1_3repE0EEENS1_30default_config_static_selectorELNS0_4arch9wavefront6targetE1EEEvT1_.uses_vcc, 0
	.set _ZN7rocprim17ROCPRIM_400000_NS6detail17trampoline_kernelINS0_14default_configENS1_27scan_by_key_config_selectorIllEEZZNS1_16scan_by_key_implILNS1_25lookback_scan_determinismE0ELb0ES3_PKlN6hipcub16HIPCUB_304000_NS21ConstantInputIteratorIllEEPllNSB_3SumENSB_8EqualityElEE10hipError_tPvRmT2_T3_T4_T5_mT6_T7_P12ihipStream_tbENKUlT_T0_E_clISt17integral_constantIbLb1EESW_IbLb0EEEEDaSS_ST_EUlSS_E_NS1_11comp_targetILNS1_3genE2ELNS1_11target_archE906ELNS1_3gpuE6ELNS1_3repE0EEENS1_30default_config_static_selectorELNS0_4arch9wavefront6targetE1EEEvT1_.uses_flat_scratch, 0
	.set _ZN7rocprim17ROCPRIM_400000_NS6detail17trampoline_kernelINS0_14default_configENS1_27scan_by_key_config_selectorIllEEZZNS1_16scan_by_key_implILNS1_25lookback_scan_determinismE0ELb0ES3_PKlN6hipcub16HIPCUB_304000_NS21ConstantInputIteratorIllEEPllNSB_3SumENSB_8EqualityElEE10hipError_tPvRmT2_T3_T4_T5_mT6_T7_P12ihipStream_tbENKUlT_T0_E_clISt17integral_constantIbLb1EESW_IbLb0EEEEDaSS_ST_EUlSS_E_NS1_11comp_targetILNS1_3genE2ELNS1_11target_archE906ELNS1_3gpuE6ELNS1_3repE0EEENS1_30default_config_static_selectorELNS0_4arch9wavefront6targetE1EEEvT1_.has_dyn_sized_stack, 0
	.set _ZN7rocprim17ROCPRIM_400000_NS6detail17trampoline_kernelINS0_14default_configENS1_27scan_by_key_config_selectorIllEEZZNS1_16scan_by_key_implILNS1_25lookback_scan_determinismE0ELb0ES3_PKlN6hipcub16HIPCUB_304000_NS21ConstantInputIteratorIllEEPllNSB_3SumENSB_8EqualityElEE10hipError_tPvRmT2_T3_T4_T5_mT6_T7_P12ihipStream_tbENKUlT_T0_E_clISt17integral_constantIbLb1EESW_IbLb0EEEEDaSS_ST_EUlSS_E_NS1_11comp_targetILNS1_3genE2ELNS1_11target_archE906ELNS1_3gpuE6ELNS1_3repE0EEENS1_30default_config_static_selectorELNS0_4arch9wavefront6targetE1EEEvT1_.has_recursion, 0
	.set _ZN7rocprim17ROCPRIM_400000_NS6detail17trampoline_kernelINS0_14default_configENS1_27scan_by_key_config_selectorIllEEZZNS1_16scan_by_key_implILNS1_25lookback_scan_determinismE0ELb0ES3_PKlN6hipcub16HIPCUB_304000_NS21ConstantInputIteratorIllEEPllNSB_3SumENSB_8EqualityElEE10hipError_tPvRmT2_T3_T4_T5_mT6_T7_P12ihipStream_tbENKUlT_T0_E_clISt17integral_constantIbLb1EESW_IbLb0EEEEDaSS_ST_EUlSS_E_NS1_11comp_targetILNS1_3genE2ELNS1_11target_archE906ELNS1_3gpuE6ELNS1_3repE0EEENS1_30default_config_static_selectorELNS0_4arch9wavefront6targetE1EEEvT1_.has_indirect_call, 0
	.section	.AMDGPU.csdata,"",@progbits
; Kernel info:
; codeLenInByte = 0
; TotalNumSgprs: 6
; NumVgprs: 0
; NumAgprs: 0
; TotalNumVgprs: 0
; ScratchSize: 0
; MemoryBound: 0
; FloatMode: 240
; IeeeMode: 1
; LDSByteSize: 0 bytes/workgroup (compile time only)
; SGPRBlocks: 0
; VGPRBlocks: 0
; NumSGPRsForWavesPerEU: 6
; NumVGPRsForWavesPerEU: 1
; AccumOffset: 4
; Occupancy: 8
; WaveLimiterHint : 0
; COMPUTE_PGM_RSRC2:SCRATCH_EN: 0
; COMPUTE_PGM_RSRC2:USER_SGPR: 2
; COMPUTE_PGM_RSRC2:TRAP_HANDLER: 0
; COMPUTE_PGM_RSRC2:TGID_X_EN: 1
; COMPUTE_PGM_RSRC2:TGID_Y_EN: 0
; COMPUTE_PGM_RSRC2:TGID_Z_EN: 0
; COMPUTE_PGM_RSRC2:TIDIG_COMP_CNT: 0
; COMPUTE_PGM_RSRC3_GFX90A:ACCUM_OFFSET: 0
; COMPUTE_PGM_RSRC3_GFX90A:TG_SPLIT: 0
	.section	.text._ZN7rocprim17ROCPRIM_400000_NS6detail17trampoline_kernelINS0_14default_configENS1_27scan_by_key_config_selectorIllEEZZNS1_16scan_by_key_implILNS1_25lookback_scan_determinismE0ELb0ES3_PKlN6hipcub16HIPCUB_304000_NS21ConstantInputIteratorIllEEPllNSB_3SumENSB_8EqualityElEE10hipError_tPvRmT2_T3_T4_T5_mT6_T7_P12ihipStream_tbENKUlT_T0_E_clISt17integral_constantIbLb1EESW_IbLb0EEEEDaSS_ST_EUlSS_E_NS1_11comp_targetILNS1_3genE10ELNS1_11target_archE1200ELNS1_3gpuE4ELNS1_3repE0EEENS1_30default_config_static_selectorELNS0_4arch9wavefront6targetE1EEEvT1_,"axG",@progbits,_ZN7rocprim17ROCPRIM_400000_NS6detail17trampoline_kernelINS0_14default_configENS1_27scan_by_key_config_selectorIllEEZZNS1_16scan_by_key_implILNS1_25lookback_scan_determinismE0ELb0ES3_PKlN6hipcub16HIPCUB_304000_NS21ConstantInputIteratorIllEEPllNSB_3SumENSB_8EqualityElEE10hipError_tPvRmT2_T3_T4_T5_mT6_T7_P12ihipStream_tbENKUlT_T0_E_clISt17integral_constantIbLb1EESW_IbLb0EEEEDaSS_ST_EUlSS_E_NS1_11comp_targetILNS1_3genE10ELNS1_11target_archE1200ELNS1_3gpuE4ELNS1_3repE0EEENS1_30default_config_static_selectorELNS0_4arch9wavefront6targetE1EEEvT1_,comdat
	.protected	_ZN7rocprim17ROCPRIM_400000_NS6detail17trampoline_kernelINS0_14default_configENS1_27scan_by_key_config_selectorIllEEZZNS1_16scan_by_key_implILNS1_25lookback_scan_determinismE0ELb0ES3_PKlN6hipcub16HIPCUB_304000_NS21ConstantInputIteratorIllEEPllNSB_3SumENSB_8EqualityElEE10hipError_tPvRmT2_T3_T4_T5_mT6_T7_P12ihipStream_tbENKUlT_T0_E_clISt17integral_constantIbLb1EESW_IbLb0EEEEDaSS_ST_EUlSS_E_NS1_11comp_targetILNS1_3genE10ELNS1_11target_archE1200ELNS1_3gpuE4ELNS1_3repE0EEENS1_30default_config_static_selectorELNS0_4arch9wavefront6targetE1EEEvT1_ ; -- Begin function _ZN7rocprim17ROCPRIM_400000_NS6detail17trampoline_kernelINS0_14default_configENS1_27scan_by_key_config_selectorIllEEZZNS1_16scan_by_key_implILNS1_25lookback_scan_determinismE0ELb0ES3_PKlN6hipcub16HIPCUB_304000_NS21ConstantInputIteratorIllEEPllNSB_3SumENSB_8EqualityElEE10hipError_tPvRmT2_T3_T4_T5_mT6_T7_P12ihipStream_tbENKUlT_T0_E_clISt17integral_constantIbLb1EESW_IbLb0EEEEDaSS_ST_EUlSS_E_NS1_11comp_targetILNS1_3genE10ELNS1_11target_archE1200ELNS1_3gpuE4ELNS1_3repE0EEENS1_30default_config_static_selectorELNS0_4arch9wavefront6targetE1EEEvT1_
	.globl	_ZN7rocprim17ROCPRIM_400000_NS6detail17trampoline_kernelINS0_14default_configENS1_27scan_by_key_config_selectorIllEEZZNS1_16scan_by_key_implILNS1_25lookback_scan_determinismE0ELb0ES3_PKlN6hipcub16HIPCUB_304000_NS21ConstantInputIteratorIllEEPllNSB_3SumENSB_8EqualityElEE10hipError_tPvRmT2_T3_T4_T5_mT6_T7_P12ihipStream_tbENKUlT_T0_E_clISt17integral_constantIbLb1EESW_IbLb0EEEEDaSS_ST_EUlSS_E_NS1_11comp_targetILNS1_3genE10ELNS1_11target_archE1200ELNS1_3gpuE4ELNS1_3repE0EEENS1_30default_config_static_selectorELNS0_4arch9wavefront6targetE1EEEvT1_
	.p2align	8
	.type	_ZN7rocprim17ROCPRIM_400000_NS6detail17trampoline_kernelINS0_14default_configENS1_27scan_by_key_config_selectorIllEEZZNS1_16scan_by_key_implILNS1_25lookback_scan_determinismE0ELb0ES3_PKlN6hipcub16HIPCUB_304000_NS21ConstantInputIteratorIllEEPllNSB_3SumENSB_8EqualityElEE10hipError_tPvRmT2_T3_T4_T5_mT6_T7_P12ihipStream_tbENKUlT_T0_E_clISt17integral_constantIbLb1EESW_IbLb0EEEEDaSS_ST_EUlSS_E_NS1_11comp_targetILNS1_3genE10ELNS1_11target_archE1200ELNS1_3gpuE4ELNS1_3repE0EEENS1_30default_config_static_selectorELNS0_4arch9wavefront6targetE1EEEvT1_,@function
_ZN7rocprim17ROCPRIM_400000_NS6detail17trampoline_kernelINS0_14default_configENS1_27scan_by_key_config_selectorIllEEZZNS1_16scan_by_key_implILNS1_25lookback_scan_determinismE0ELb0ES3_PKlN6hipcub16HIPCUB_304000_NS21ConstantInputIteratorIllEEPllNSB_3SumENSB_8EqualityElEE10hipError_tPvRmT2_T3_T4_T5_mT6_T7_P12ihipStream_tbENKUlT_T0_E_clISt17integral_constantIbLb1EESW_IbLb0EEEEDaSS_ST_EUlSS_E_NS1_11comp_targetILNS1_3genE10ELNS1_11target_archE1200ELNS1_3gpuE4ELNS1_3repE0EEENS1_30default_config_static_selectorELNS0_4arch9wavefront6targetE1EEEvT1_: ; @_ZN7rocprim17ROCPRIM_400000_NS6detail17trampoline_kernelINS0_14default_configENS1_27scan_by_key_config_selectorIllEEZZNS1_16scan_by_key_implILNS1_25lookback_scan_determinismE0ELb0ES3_PKlN6hipcub16HIPCUB_304000_NS21ConstantInputIteratorIllEEPllNSB_3SumENSB_8EqualityElEE10hipError_tPvRmT2_T3_T4_T5_mT6_T7_P12ihipStream_tbENKUlT_T0_E_clISt17integral_constantIbLb1EESW_IbLb0EEEEDaSS_ST_EUlSS_E_NS1_11comp_targetILNS1_3genE10ELNS1_11target_archE1200ELNS1_3gpuE4ELNS1_3repE0EEENS1_30default_config_static_selectorELNS0_4arch9wavefront6targetE1EEEvT1_
; %bb.0:
	.section	.rodata,"a",@progbits
	.p2align	6, 0x0
	.amdhsa_kernel _ZN7rocprim17ROCPRIM_400000_NS6detail17trampoline_kernelINS0_14default_configENS1_27scan_by_key_config_selectorIllEEZZNS1_16scan_by_key_implILNS1_25lookback_scan_determinismE0ELb0ES3_PKlN6hipcub16HIPCUB_304000_NS21ConstantInputIteratorIllEEPllNSB_3SumENSB_8EqualityElEE10hipError_tPvRmT2_T3_T4_T5_mT6_T7_P12ihipStream_tbENKUlT_T0_E_clISt17integral_constantIbLb1EESW_IbLb0EEEEDaSS_ST_EUlSS_E_NS1_11comp_targetILNS1_3genE10ELNS1_11target_archE1200ELNS1_3gpuE4ELNS1_3repE0EEENS1_30default_config_static_selectorELNS0_4arch9wavefront6targetE1EEEvT1_
		.amdhsa_group_segment_fixed_size 0
		.amdhsa_private_segment_fixed_size 0
		.amdhsa_kernarg_size 144
		.amdhsa_user_sgpr_count 2
		.amdhsa_user_sgpr_dispatch_ptr 0
		.amdhsa_user_sgpr_queue_ptr 0
		.amdhsa_user_sgpr_kernarg_segment_ptr 1
		.amdhsa_user_sgpr_dispatch_id 0
		.amdhsa_user_sgpr_kernarg_preload_length 0
		.amdhsa_user_sgpr_kernarg_preload_offset 0
		.amdhsa_user_sgpr_private_segment_size 0
		.amdhsa_uses_dynamic_stack 0
		.amdhsa_enable_private_segment 0
		.amdhsa_system_sgpr_workgroup_id_x 1
		.amdhsa_system_sgpr_workgroup_id_y 0
		.amdhsa_system_sgpr_workgroup_id_z 0
		.amdhsa_system_sgpr_workgroup_info 0
		.amdhsa_system_vgpr_workitem_id 0
		.amdhsa_next_free_vgpr 1
		.amdhsa_next_free_sgpr 0
		.amdhsa_accum_offset 4
		.amdhsa_reserve_vcc 0
		.amdhsa_float_round_mode_32 0
		.amdhsa_float_round_mode_16_64 0
		.amdhsa_float_denorm_mode_32 3
		.amdhsa_float_denorm_mode_16_64 3
		.amdhsa_dx10_clamp 1
		.amdhsa_ieee_mode 1
		.amdhsa_fp16_overflow 0
		.amdhsa_tg_split 0
		.amdhsa_exception_fp_ieee_invalid_op 0
		.amdhsa_exception_fp_denorm_src 0
		.amdhsa_exception_fp_ieee_div_zero 0
		.amdhsa_exception_fp_ieee_overflow 0
		.amdhsa_exception_fp_ieee_underflow 0
		.amdhsa_exception_fp_ieee_inexact 0
		.amdhsa_exception_int_div_zero 0
	.end_amdhsa_kernel
	.section	.text._ZN7rocprim17ROCPRIM_400000_NS6detail17trampoline_kernelINS0_14default_configENS1_27scan_by_key_config_selectorIllEEZZNS1_16scan_by_key_implILNS1_25lookback_scan_determinismE0ELb0ES3_PKlN6hipcub16HIPCUB_304000_NS21ConstantInputIteratorIllEEPllNSB_3SumENSB_8EqualityElEE10hipError_tPvRmT2_T3_T4_T5_mT6_T7_P12ihipStream_tbENKUlT_T0_E_clISt17integral_constantIbLb1EESW_IbLb0EEEEDaSS_ST_EUlSS_E_NS1_11comp_targetILNS1_3genE10ELNS1_11target_archE1200ELNS1_3gpuE4ELNS1_3repE0EEENS1_30default_config_static_selectorELNS0_4arch9wavefront6targetE1EEEvT1_,"axG",@progbits,_ZN7rocprim17ROCPRIM_400000_NS6detail17trampoline_kernelINS0_14default_configENS1_27scan_by_key_config_selectorIllEEZZNS1_16scan_by_key_implILNS1_25lookback_scan_determinismE0ELb0ES3_PKlN6hipcub16HIPCUB_304000_NS21ConstantInputIteratorIllEEPllNSB_3SumENSB_8EqualityElEE10hipError_tPvRmT2_T3_T4_T5_mT6_T7_P12ihipStream_tbENKUlT_T0_E_clISt17integral_constantIbLb1EESW_IbLb0EEEEDaSS_ST_EUlSS_E_NS1_11comp_targetILNS1_3genE10ELNS1_11target_archE1200ELNS1_3gpuE4ELNS1_3repE0EEENS1_30default_config_static_selectorELNS0_4arch9wavefront6targetE1EEEvT1_,comdat
.Lfunc_end122:
	.size	_ZN7rocprim17ROCPRIM_400000_NS6detail17trampoline_kernelINS0_14default_configENS1_27scan_by_key_config_selectorIllEEZZNS1_16scan_by_key_implILNS1_25lookback_scan_determinismE0ELb0ES3_PKlN6hipcub16HIPCUB_304000_NS21ConstantInputIteratorIllEEPllNSB_3SumENSB_8EqualityElEE10hipError_tPvRmT2_T3_T4_T5_mT6_T7_P12ihipStream_tbENKUlT_T0_E_clISt17integral_constantIbLb1EESW_IbLb0EEEEDaSS_ST_EUlSS_E_NS1_11comp_targetILNS1_3genE10ELNS1_11target_archE1200ELNS1_3gpuE4ELNS1_3repE0EEENS1_30default_config_static_selectorELNS0_4arch9wavefront6targetE1EEEvT1_, .Lfunc_end122-_ZN7rocprim17ROCPRIM_400000_NS6detail17trampoline_kernelINS0_14default_configENS1_27scan_by_key_config_selectorIllEEZZNS1_16scan_by_key_implILNS1_25lookback_scan_determinismE0ELb0ES3_PKlN6hipcub16HIPCUB_304000_NS21ConstantInputIteratorIllEEPllNSB_3SumENSB_8EqualityElEE10hipError_tPvRmT2_T3_T4_T5_mT6_T7_P12ihipStream_tbENKUlT_T0_E_clISt17integral_constantIbLb1EESW_IbLb0EEEEDaSS_ST_EUlSS_E_NS1_11comp_targetILNS1_3genE10ELNS1_11target_archE1200ELNS1_3gpuE4ELNS1_3repE0EEENS1_30default_config_static_selectorELNS0_4arch9wavefront6targetE1EEEvT1_
                                        ; -- End function
	.set _ZN7rocprim17ROCPRIM_400000_NS6detail17trampoline_kernelINS0_14default_configENS1_27scan_by_key_config_selectorIllEEZZNS1_16scan_by_key_implILNS1_25lookback_scan_determinismE0ELb0ES3_PKlN6hipcub16HIPCUB_304000_NS21ConstantInputIteratorIllEEPllNSB_3SumENSB_8EqualityElEE10hipError_tPvRmT2_T3_T4_T5_mT6_T7_P12ihipStream_tbENKUlT_T0_E_clISt17integral_constantIbLb1EESW_IbLb0EEEEDaSS_ST_EUlSS_E_NS1_11comp_targetILNS1_3genE10ELNS1_11target_archE1200ELNS1_3gpuE4ELNS1_3repE0EEENS1_30default_config_static_selectorELNS0_4arch9wavefront6targetE1EEEvT1_.num_vgpr, 0
	.set _ZN7rocprim17ROCPRIM_400000_NS6detail17trampoline_kernelINS0_14default_configENS1_27scan_by_key_config_selectorIllEEZZNS1_16scan_by_key_implILNS1_25lookback_scan_determinismE0ELb0ES3_PKlN6hipcub16HIPCUB_304000_NS21ConstantInputIteratorIllEEPllNSB_3SumENSB_8EqualityElEE10hipError_tPvRmT2_T3_T4_T5_mT6_T7_P12ihipStream_tbENKUlT_T0_E_clISt17integral_constantIbLb1EESW_IbLb0EEEEDaSS_ST_EUlSS_E_NS1_11comp_targetILNS1_3genE10ELNS1_11target_archE1200ELNS1_3gpuE4ELNS1_3repE0EEENS1_30default_config_static_selectorELNS0_4arch9wavefront6targetE1EEEvT1_.num_agpr, 0
	.set _ZN7rocprim17ROCPRIM_400000_NS6detail17trampoline_kernelINS0_14default_configENS1_27scan_by_key_config_selectorIllEEZZNS1_16scan_by_key_implILNS1_25lookback_scan_determinismE0ELb0ES3_PKlN6hipcub16HIPCUB_304000_NS21ConstantInputIteratorIllEEPllNSB_3SumENSB_8EqualityElEE10hipError_tPvRmT2_T3_T4_T5_mT6_T7_P12ihipStream_tbENKUlT_T0_E_clISt17integral_constantIbLb1EESW_IbLb0EEEEDaSS_ST_EUlSS_E_NS1_11comp_targetILNS1_3genE10ELNS1_11target_archE1200ELNS1_3gpuE4ELNS1_3repE0EEENS1_30default_config_static_selectorELNS0_4arch9wavefront6targetE1EEEvT1_.numbered_sgpr, 0
	.set _ZN7rocprim17ROCPRIM_400000_NS6detail17trampoline_kernelINS0_14default_configENS1_27scan_by_key_config_selectorIllEEZZNS1_16scan_by_key_implILNS1_25lookback_scan_determinismE0ELb0ES3_PKlN6hipcub16HIPCUB_304000_NS21ConstantInputIteratorIllEEPllNSB_3SumENSB_8EqualityElEE10hipError_tPvRmT2_T3_T4_T5_mT6_T7_P12ihipStream_tbENKUlT_T0_E_clISt17integral_constantIbLb1EESW_IbLb0EEEEDaSS_ST_EUlSS_E_NS1_11comp_targetILNS1_3genE10ELNS1_11target_archE1200ELNS1_3gpuE4ELNS1_3repE0EEENS1_30default_config_static_selectorELNS0_4arch9wavefront6targetE1EEEvT1_.num_named_barrier, 0
	.set _ZN7rocprim17ROCPRIM_400000_NS6detail17trampoline_kernelINS0_14default_configENS1_27scan_by_key_config_selectorIllEEZZNS1_16scan_by_key_implILNS1_25lookback_scan_determinismE0ELb0ES3_PKlN6hipcub16HIPCUB_304000_NS21ConstantInputIteratorIllEEPllNSB_3SumENSB_8EqualityElEE10hipError_tPvRmT2_T3_T4_T5_mT6_T7_P12ihipStream_tbENKUlT_T0_E_clISt17integral_constantIbLb1EESW_IbLb0EEEEDaSS_ST_EUlSS_E_NS1_11comp_targetILNS1_3genE10ELNS1_11target_archE1200ELNS1_3gpuE4ELNS1_3repE0EEENS1_30default_config_static_selectorELNS0_4arch9wavefront6targetE1EEEvT1_.private_seg_size, 0
	.set _ZN7rocprim17ROCPRIM_400000_NS6detail17trampoline_kernelINS0_14default_configENS1_27scan_by_key_config_selectorIllEEZZNS1_16scan_by_key_implILNS1_25lookback_scan_determinismE0ELb0ES3_PKlN6hipcub16HIPCUB_304000_NS21ConstantInputIteratorIllEEPllNSB_3SumENSB_8EqualityElEE10hipError_tPvRmT2_T3_T4_T5_mT6_T7_P12ihipStream_tbENKUlT_T0_E_clISt17integral_constantIbLb1EESW_IbLb0EEEEDaSS_ST_EUlSS_E_NS1_11comp_targetILNS1_3genE10ELNS1_11target_archE1200ELNS1_3gpuE4ELNS1_3repE0EEENS1_30default_config_static_selectorELNS0_4arch9wavefront6targetE1EEEvT1_.uses_vcc, 0
	.set _ZN7rocprim17ROCPRIM_400000_NS6detail17trampoline_kernelINS0_14default_configENS1_27scan_by_key_config_selectorIllEEZZNS1_16scan_by_key_implILNS1_25lookback_scan_determinismE0ELb0ES3_PKlN6hipcub16HIPCUB_304000_NS21ConstantInputIteratorIllEEPllNSB_3SumENSB_8EqualityElEE10hipError_tPvRmT2_T3_T4_T5_mT6_T7_P12ihipStream_tbENKUlT_T0_E_clISt17integral_constantIbLb1EESW_IbLb0EEEEDaSS_ST_EUlSS_E_NS1_11comp_targetILNS1_3genE10ELNS1_11target_archE1200ELNS1_3gpuE4ELNS1_3repE0EEENS1_30default_config_static_selectorELNS0_4arch9wavefront6targetE1EEEvT1_.uses_flat_scratch, 0
	.set _ZN7rocprim17ROCPRIM_400000_NS6detail17trampoline_kernelINS0_14default_configENS1_27scan_by_key_config_selectorIllEEZZNS1_16scan_by_key_implILNS1_25lookback_scan_determinismE0ELb0ES3_PKlN6hipcub16HIPCUB_304000_NS21ConstantInputIteratorIllEEPllNSB_3SumENSB_8EqualityElEE10hipError_tPvRmT2_T3_T4_T5_mT6_T7_P12ihipStream_tbENKUlT_T0_E_clISt17integral_constantIbLb1EESW_IbLb0EEEEDaSS_ST_EUlSS_E_NS1_11comp_targetILNS1_3genE10ELNS1_11target_archE1200ELNS1_3gpuE4ELNS1_3repE0EEENS1_30default_config_static_selectorELNS0_4arch9wavefront6targetE1EEEvT1_.has_dyn_sized_stack, 0
	.set _ZN7rocprim17ROCPRIM_400000_NS6detail17trampoline_kernelINS0_14default_configENS1_27scan_by_key_config_selectorIllEEZZNS1_16scan_by_key_implILNS1_25lookback_scan_determinismE0ELb0ES3_PKlN6hipcub16HIPCUB_304000_NS21ConstantInputIteratorIllEEPllNSB_3SumENSB_8EqualityElEE10hipError_tPvRmT2_T3_T4_T5_mT6_T7_P12ihipStream_tbENKUlT_T0_E_clISt17integral_constantIbLb1EESW_IbLb0EEEEDaSS_ST_EUlSS_E_NS1_11comp_targetILNS1_3genE10ELNS1_11target_archE1200ELNS1_3gpuE4ELNS1_3repE0EEENS1_30default_config_static_selectorELNS0_4arch9wavefront6targetE1EEEvT1_.has_recursion, 0
	.set _ZN7rocprim17ROCPRIM_400000_NS6detail17trampoline_kernelINS0_14default_configENS1_27scan_by_key_config_selectorIllEEZZNS1_16scan_by_key_implILNS1_25lookback_scan_determinismE0ELb0ES3_PKlN6hipcub16HIPCUB_304000_NS21ConstantInputIteratorIllEEPllNSB_3SumENSB_8EqualityElEE10hipError_tPvRmT2_T3_T4_T5_mT6_T7_P12ihipStream_tbENKUlT_T0_E_clISt17integral_constantIbLb1EESW_IbLb0EEEEDaSS_ST_EUlSS_E_NS1_11comp_targetILNS1_3genE10ELNS1_11target_archE1200ELNS1_3gpuE4ELNS1_3repE0EEENS1_30default_config_static_selectorELNS0_4arch9wavefront6targetE1EEEvT1_.has_indirect_call, 0
	.section	.AMDGPU.csdata,"",@progbits
; Kernel info:
; codeLenInByte = 0
; TotalNumSgprs: 6
; NumVgprs: 0
; NumAgprs: 0
; TotalNumVgprs: 0
; ScratchSize: 0
; MemoryBound: 0
; FloatMode: 240
; IeeeMode: 1
; LDSByteSize: 0 bytes/workgroup (compile time only)
; SGPRBlocks: 0
; VGPRBlocks: 0
; NumSGPRsForWavesPerEU: 6
; NumVGPRsForWavesPerEU: 1
; AccumOffset: 4
; Occupancy: 8
; WaveLimiterHint : 0
; COMPUTE_PGM_RSRC2:SCRATCH_EN: 0
; COMPUTE_PGM_RSRC2:USER_SGPR: 2
; COMPUTE_PGM_RSRC2:TRAP_HANDLER: 0
; COMPUTE_PGM_RSRC2:TGID_X_EN: 1
; COMPUTE_PGM_RSRC2:TGID_Y_EN: 0
; COMPUTE_PGM_RSRC2:TGID_Z_EN: 0
; COMPUTE_PGM_RSRC2:TIDIG_COMP_CNT: 0
; COMPUTE_PGM_RSRC3_GFX90A:ACCUM_OFFSET: 0
; COMPUTE_PGM_RSRC3_GFX90A:TG_SPLIT: 0
	.section	.text._ZN7rocprim17ROCPRIM_400000_NS6detail17trampoline_kernelINS0_14default_configENS1_27scan_by_key_config_selectorIllEEZZNS1_16scan_by_key_implILNS1_25lookback_scan_determinismE0ELb0ES3_PKlN6hipcub16HIPCUB_304000_NS21ConstantInputIteratorIllEEPllNSB_3SumENSB_8EqualityElEE10hipError_tPvRmT2_T3_T4_T5_mT6_T7_P12ihipStream_tbENKUlT_T0_E_clISt17integral_constantIbLb1EESW_IbLb0EEEEDaSS_ST_EUlSS_E_NS1_11comp_targetILNS1_3genE9ELNS1_11target_archE1100ELNS1_3gpuE3ELNS1_3repE0EEENS1_30default_config_static_selectorELNS0_4arch9wavefront6targetE1EEEvT1_,"axG",@progbits,_ZN7rocprim17ROCPRIM_400000_NS6detail17trampoline_kernelINS0_14default_configENS1_27scan_by_key_config_selectorIllEEZZNS1_16scan_by_key_implILNS1_25lookback_scan_determinismE0ELb0ES3_PKlN6hipcub16HIPCUB_304000_NS21ConstantInputIteratorIllEEPllNSB_3SumENSB_8EqualityElEE10hipError_tPvRmT2_T3_T4_T5_mT6_T7_P12ihipStream_tbENKUlT_T0_E_clISt17integral_constantIbLb1EESW_IbLb0EEEEDaSS_ST_EUlSS_E_NS1_11comp_targetILNS1_3genE9ELNS1_11target_archE1100ELNS1_3gpuE3ELNS1_3repE0EEENS1_30default_config_static_selectorELNS0_4arch9wavefront6targetE1EEEvT1_,comdat
	.protected	_ZN7rocprim17ROCPRIM_400000_NS6detail17trampoline_kernelINS0_14default_configENS1_27scan_by_key_config_selectorIllEEZZNS1_16scan_by_key_implILNS1_25lookback_scan_determinismE0ELb0ES3_PKlN6hipcub16HIPCUB_304000_NS21ConstantInputIteratorIllEEPllNSB_3SumENSB_8EqualityElEE10hipError_tPvRmT2_T3_T4_T5_mT6_T7_P12ihipStream_tbENKUlT_T0_E_clISt17integral_constantIbLb1EESW_IbLb0EEEEDaSS_ST_EUlSS_E_NS1_11comp_targetILNS1_3genE9ELNS1_11target_archE1100ELNS1_3gpuE3ELNS1_3repE0EEENS1_30default_config_static_selectorELNS0_4arch9wavefront6targetE1EEEvT1_ ; -- Begin function _ZN7rocprim17ROCPRIM_400000_NS6detail17trampoline_kernelINS0_14default_configENS1_27scan_by_key_config_selectorIllEEZZNS1_16scan_by_key_implILNS1_25lookback_scan_determinismE0ELb0ES3_PKlN6hipcub16HIPCUB_304000_NS21ConstantInputIteratorIllEEPllNSB_3SumENSB_8EqualityElEE10hipError_tPvRmT2_T3_T4_T5_mT6_T7_P12ihipStream_tbENKUlT_T0_E_clISt17integral_constantIbLb1EESW_IbLb0EEEEDaSS_ST_EUlSS_E_NS1_11comp_targetILNS1_3genE9ELNS1_11target_archE1100ELNS1_3gpuE3ELNS1_3repE0EEENS1_30default_config_static_selectorELNS0_4arch9wavefront6targetE1EEEvT1_
	.globl	_ZN7rocprim17ROCPRIM_400000_NS6detail17trampoline_kernelINS0_14default_configENS1_27scan_by_key_config_selectorIllEEZZNS1_16scan_by_key_implILNS1_25lookback_scan_determinismE0ELb0ES3_PKlN6hipcub16HIPCUB_304000_NS21ConstantInputIteratorIllEEPllNSB_3SumENSB_8EqualityElEE10hipError_tPvRmT2_T3_T4_T5_mT6_T7_P12ihipStream_tbENKUlT_T0_E_clISt17integral_constantIbLb1EESW_IbLb0EEEEDaSS_ST_EUlSS_E_NS1_11comp_targetILNS1_3genE9ELNS1_11target_archE1100ELNS1_3gpuE3ELNS1_3repE0EEENS1_30default_config_static_selectorELNS0_4arch9wavefront6targetE1EEEvT1_
	.p2align	8
	.type	_ZN7rocprim17ROCPRIM_400000_NS6detail17trampoline_kernelINS0_14default_configENS1_27scan_by_key_config_selectorIllEEZZNS1_16scan_by_key_implILNS1_25lookback_scan_determinismE0ELb0ES3_PKlN6hipcub16HIPCUB_304000_NS21ConstantInputIteratorIllEEPllNSB_3SumENSB_8EqualityElEE10hipError_tPvRmT2_T3_T4_T5_mT6_T7_P12ihipStream_tbENKUlT_T0_E_clISt17integral_constantIbLb1EESW_IbLb0EEEEDaSS_ST_EUlSS_E_NS1_11comp_targetILNS1_3genE9ELNS1_11target_archE1100ELNS1_3gpuE3ELNS1_3repE0EEENS1_30default_config_static_selectorELNS0_4arch9wavefront6targetE1EEEvT1_,@function
_ZN7rocprim17ROCPRIM_400000_NS6detail17trampoline_kernelINS0_14default_configENS1_27scan_by_key_config_selectorIllEEZZNS1_16scan_by_key_implILNS1_25lookback_scan_determinismE0ELb0ES3_PKlN6hipcub16HIPCUB_304000_NS21ConstantInputIteratorIllEEPllNSB_3SumENSB_8EqualityElEE10hipError_tPvRmT2_T3_T4_T5_mT6_T7_P12ihipStream_tbENKUlT_T0_E_clISt17integral_constantIbLb1EESW_IbLb0EEEEDaSS_ST_EUlSS_E_NS1_11comp_targetILNS1_3genE9ELNS1_11target_archE1100ELNS1_3gpuE3ELNS1_3repE0EEENS1_30default_config_static_selectorELNS0_4arch9wavefront6targetE1EEEvT1_: ; @_ZN7rocprim17ROCPRIM_400000_NS6detail17trampoline_kernelINS0_14default_configENS1_27scan_by_key_config_selectorIllEEZZNS1_16scan_by_key_implILNS1_25lookback_scan_determinismE0ELb0ES3_PKlN6hipcub16HIPCUB_304000_NS21ConstantInputIteratorIllEEPllNSB_3SumENSB_8EqualityElEE10hipError_tPvRmT2_T3_T4_T5_mT6_T7_P12ihipStream_tbENKUlT_T0_E_clISt17integral_constantIbLb1EESW_IbLb0EEEEDaSS_ST_EUlSS_E_NS1_11comp_targetILNS1_3genE9ELNS1_11target_archE1100ELNS1_3gpuE3ELNS1_3repE0EEENS1_30default_config_static_selectorELNS0_4arch9wavefront6targetE1EEEvT1_
; %bb.0:
	.section	.rodata,"a",@progbits
	.p2align	6, 0x0
	.amdhsa_kernel _ZN7rocprim17ROCPRIM_400000_NS6detail17trampoline_kernelINS0_14default_configENS1_27scan_by_key_config_selectorIllEEZZNS1_16scan_by_key_implILNS1_25lookback_scan_determinismE0ELb0ES3_PKlN6hipcub16HIPCUB_304000_NS21ConstantInputIteratorIllEEPllNSB_3SumENSB_8EqualityElEE10hipError_tPvRmT2_T3_T4_T5_mT6_T7_P12ihipStream_tbENKUlT_T0_E_clISt17integral_constantIbLb1EESW_IbLb0EEEEDaSS_ST_EUlSS_E_NS1_11comp_targetILNS1_3genE9ELNS1_11target_archE1100ELNS1_3gpuE3ELNS1_3repE0EEENS1_30default_config_static_selectorELNS0_4arch9wavefront6targetE1EEEvT1_
		.amdhsa_group_segment_fixed_size 0
		.amdhsa_private_segment_fixed_size 0
		.amdhsa_kernarg_size 144
		.amdhsa_user_sgpr_count 2
		.amdhsa_user_sgpr_dispatch_ptr 0
		.amdhsa_user_sgpr_queue_ptr 0
		.amdhsa_user_sgpr_kernarg_segment_ptr 1
		.amdhsa_user_sgpr_dispatch_id 0
		.amdhsa_user_sgpr_kernarg_preload_length 0
		.amdhsa_user_sgpr_kernarg_preload_offset 0
		.amdhsa_user_sgpr_private_segment_size 0
		.amdhsa_uses_dynamic_stack 0
		.amdhsa_enable_private_segment 0
		.amdhsa_system_sgpr_workgroup_id_x 1
		.amdhsa_system_sgpr_workgroup_id_y 0
		.amdhsa_system_sgpr_workgroup_id_z 0
		.amdhsa_system_sgpr_workgroup_info 0
		.amdhsa_system_vgpr_workitem_id 0
		.amdhsa_next_free_vgpr 1
		.amdhsa_next_free_sgpr 0
		.amdhsa_accum_offset 4
		.amdhsa_reserve_vcc 0
		.amdhsa_float_round_mode_32 0
		.amdhsa_float_round_mode_16_64 0
		.amdhsa_float_denorm_mode_32 3
		.amdhsa_float_denorm_mode_16_64 3
		.amdhsa_dx10_clamp 1
		.amdhsa_ieee_mode 1
		.amdhsa_fp16_overflow 0
		.amdhsa_tg_split 0
		.amdhsa_exception_fp_ieee_invalid_op 0
		.amdhsa_exception_fp_denorm_src 0
		.amdhsa_exception_fp_ieee_div_zero 0
		.amdhsa_exception_fp_ieee_overflow 0
		.amdhsa_exception_fp_ieee_underflow 0
		.amdhsa_exception_fp_ieee_inexact 0
		.amdhsa_exception_int_div_zero 0
	.end_amdhsa_kernel
	.section	.text._ZN7rocprim17ROCPRIM_400000_NS6detail17trampoline_kernelINS0_14default_configENS1_27scan_by_key_config_selectorIllEEZZNS1_16scan_by_key_implILNS1_25lookback_scan_determinismE0ELb0ES3_PKlN6hipcub16HIPCUB_304000_NS21ConstantInputIteratorIllEEPllNSB_3SumENSB_8EqualityElEE10hipError_tPvRmT2_T3_T4_T5_mT6_T7_P12ihipStream_tbENKUlT_T0_E_clISt17integral_constantIbLb1EESW_IbLb0EEEEDaSS_ST_EUlSS_E_NS1_11comp_targetILNS1_3genE9ELNS1_11target_archE1100ELNS1_3gpuE3ELNS1_3repE0EEENS1_30default_config_static_selectorELNS0_4arch9wavefront6targetE1EEEvT1_,"axG",@progbits,_ZN7rocprim17ROCPRIM_400000_NS6detail17trampoline_kernelINS0_14default_configENS1_27scan_by_key_config_selectorIllEEZZNS1_16scan_by_key_implILNS1_25lookback_scan_determinismE0ELb0ES3_PKlN6hipcub16HIPCUB_304000_NS21ConstantInputIteratorIllEEPllNSB_3SumENSB_8EqualityElEE10hipError_tPvRmT2_T3_T4_T5_mT6_T7_P12ihipStream_tbENKUlT_T0_E_clISt17integral_constantIbLb1EESW_IbLb0EEEEDaSS_ST_EUlSS_E_NS1_11comp_targetILNS1_3genE9ELNS1_11target_archE1100ELNS1_3gpuE3ELNS1_3repE0EEENS1_30default_config_static_selectorELNS0_4arch9wavefront6targetE1EEEvT1_,comdat
.Lfunc_end123:
	.size	_ZN7rocprim17ROCPRIM_400000_NS6detail17trampoline_kernelINS0_14default_configENS1_27scan_by_key_config_selectorIllEEZZNS1_16scan_by_key_implILNS1_25lookback_scan_determinismE0ELb0ES3_PKlN6hipcub16HIPCUB_304000_NS21ConstantInputIteratorIllEEPllNSB_3SumENSB_8EqualityElEE10hipError_tPvRmT2_T3_T4_T5_mT6_T7_P12ihipStream_tbENKUlT_T0_E_clISt17integral_constantIbLb1EESW_IbLb0EEEEDaSS_ST_EUlSS_E_NS1_11comp_targetILNS1_3genE9ELNS1_11target_archE1100ELNS1_3gpuE3ELNS1_3repE0EEENS1_30default_config_static_selectorELNS0_4arch9wavefront6targetE1EEEvT1_, .Lfunc_end123-_ZN7rocprim17ROCPRIM_400000_NS6detail17trampoline_kernelINS0_14default_configENS1_27scan_by_key_config_selectorIllEEZZNS1_16scan_by_key_implILNS1_25lookback_scan_determinismE0ELb0ES3_PKlN6hipcub16HIPCUB_304000_NS21ConstantInputIteratorIllEEPllNSB_3SumENSB_8EqualityElEE10hipError_tPvRmT2_T3_T4_T5_mT6_T7_P12ihipStream_tbENKUlT_T0_E_clISt17integral_constantIbLb1EESW_IbLb0EEEEDaSS_ST_EUlSS_E_NS1_11comp_targetILNS1_3genE9ELNS1_11target_archE1100ELNS1_3gpuE3ELNS1_3repE0EEENS1_30default_config_static_selectorELNS0_4arch9wavefront6targetE1EEEvT1_
                                        ; -- End function
	.set _ZN7rocprim17ROCPRIM_400000_NS6detail17trampoline_kernelINS0_14default_configENS1_27scan_by_key_config_selectorIllEEZZNS1_16scan_by_key_implILNS1_25lookback_scan_determinismE0ELb0ES3_PKlN6hipcub16HIPCUB_304000_NS21ConstantInputIteratorIllEEPllNSB_3SumENSB_8EqualityElEE10hipError_tPvRmT2_T3_T4_T5_mT6_T7_P12ihipStream_tbENKUlT_T0_E_clISt17integral_constantIbLb1EESW_IbLb0EEEEDaSS_ST_EUlSS_E_NS1_11comp_targetILNS1_3genE9ELNS1_11target_archE1100ELNS1_3gpuE3ELNS1_3repE0EEENS1_30default_config_static_selectorELNS0_4arch9wavefront6targetE1EEEvT1_.num_vgpr, 0
	.set _ZN7rocprim17ROCPRIM_400000_NS6detail17trampoline_kernelINS0_14default_configENS1_27scan_by_key_config_selectorIllEEZZNS1_16scan_by_key_implILNS1_25lookback_scan_determinismE0ELb0ES3_PKlN6hipcub16HIPCUB_304000_NS21ConstantInputIteratorIllEEPllNSB_3SumENSB_8EqualityElEE10hipError_tPvRmT2_T3_T4_T5_mT6_T7_P12ihipStream_tbENKUlT_T0_E_clISt17integral_constantIbLb1EESW_IbLb0EEEEDaSS_ST_EUlSS_E_NS1_11comp_targetILNS1_3genE9ELNS1_11target_archE1100ELNS1_3gpuE3ELNS1_3repE0EEENS1_30default_config_static_selectorELNS0_4arch9wavefront6targetE1EEEvT1_.num_agpr, 0
	.set _ZN7rocprim17ROCPRIM_400000_NS6detail17trampoline_kernelINS0_14default_configENS1_27scan_by_key_config_selectorIllEEZZNS1_16scan_by_key_implILNS1_25lookback_scan_determinismE0ELb0ES3_PKlN6hipcub16HIPCUB_304000_NS21ConstantInputIteratorIllEEPllNSB_3SumENSB_8EqualityElEE10hipError_tPvRmT2_T3_T4_T5_mT6_T7_P12ihipStream_tbENKUlT_T0_E_clISt17integral_constantIbLb1EESW_IbLb0EEEEDaSS_ST_EUlSS_E_NS1_11comp_targetILNS1_3genE9ELNS1_11target_archE1100ELNS1_3gpuE3ELNS1_3repE0EEENS1_30default_config_static_selectorELNS0_4arch9wavefront6targetE1EEEvT1_.numbered_sgpr, 0
	.set _ZN7rocprim17ROCPRIM_400000_NS6detail17trampoline_kernelINS0_14default_configENS1_27scan_by_key_config_selectorIllEEZZNS1_16scan_by_key_implILNS1_25lookback_scan_determinismE0ELb0ES3_PKlN6hipcub16HIPCUB_304000_NS21ConstantInputIteratorIllEEPllNSB_3SumENSB_8EqualityElEE10hipError_tPvRmT2_T3_T4_T5_mT6_T7_P12ihipStream_tbENKUlT_T0_E_clISt17integral_constantIbLb1EESW_IbLb0EEEEDaSS_ST_EUlSS_E_NS1_11comp_targetILNS1_3genE9ELNS1_11target_archE1100ELNS1_3gpuE3ELNS1_3repE0EEENS1_30default_config_static_selectorELNS0_4arch9wavefront6targetE1EEEvT1_.num_named_barrier, 0
	.set _ZN7rocprim17ROCPRIM_400000_NS6detail17trampoline_kernelINS0_14default_configENS1_27scan_by_key_config_selectorIllEEZZNS1_16scan_by_key_implILNS1_25lookback_scan_determinismE0ELb0ES3_PKlN6hipcub16HIPCUB_304000_NS21ConstantInputIteratorIllEEPllNSB_3SumENSB_8EqualityElEE10hipError_tPvRmT2_T3_T4_T5_mT6_T7_P12ihipStream_tbENKUlT_T0_E_clISt17integral_constantIbLb1EESW_IbLb0EEEEDaSS_ST_EUlSS_E_NS1_11comp_targetILNS1_3genE9ELNS1_11target_archE1100ELNS1_3gpuE3ELNS1_3repE0EEENS1_30default_config_static_selectorELNS0_4arch9wavefront6targetE1EEEvT1_.private_seg_size, 0
	.set _ZN7rocprim17ROCPRIM_400000_NS6detail17trampoline_kernelINS0_14default_configENS1_27scan_by_key_config_selectorIllEEZZNS1_16scan_by_key_implILNS1_25lookback_scan_determinismE0ELb0ES3_PKlN6hipcub16HIPCUB_304000_NS21ConstantInputIteratorIllEEPllNSB_3SumENSB_8EqualityElEE10hipError_tPvRmT2_T3_T4_T5_mT6_T7_P12ihipStream_tbENKUlT_T0_E_clISt17integral_constantIbLb1EESW_IbLb0EEEEDaSS_ST_EUlSS_E_NS1_11comp_targetILNS1_3genE9ELNS1_11target_archE1100ELNS1_3gpuE3ELNS1_3repE0EEENS1_30default_config_static_selectorELNS0_4arch9wavefront6targetE1EEEvT1_.uses_vcc, 0
	.set _ZN7rocprim17ROCPRIM_400000_NS6detail17trampoline_kernelINS0_14default_configENS1_27scan_by_key_config_selectorIllEEZZNS1_16scan_by_key_implILNS1_25lookback_scan_determinismE0ELb0ES3_PKlN6hipcub16HIPCUB_304000_NS21ConstantInputIteratorIllEEPllNSB_3SumENSB_8EqualityElEE10hipError_tPvRmT2_T3_T4_T5_mT6_T7_P12ihipStream_tbENKUlT_T0_E_clISt17integral_constantIbLb1EESW_IbLb0EEEEDaSS_ST_EUlSS_E_NS1_11comp_targetILNS1_3genE9ELNS1_11target_archE1100ELNS1_3gpuE3ELNS1_3repE0EEENS1_30default_config_static_selectorELNS0_4arch9wavefront6targetE1EEEvT1_.uses_flat_scratch, 0
	.set _ZN7rocprim17ROCPRIM_400000_NS6detail17trampoline_kernelINS0_14default_configENS1_27scan_by_key_config_selectorIllEEZZNS1_16scan_by_key_implILNS1_25lookback_scan_determinismE0ELb0ES3_PKlN6hipcub16HIPCUB_304000_NS21ConstantInputIteratorIllEEPllNSB_3SumENSB_8EqualityElEE10hipError_tPvRmT2_T3_T4_T5_mT6_T7_P12ihipStream_tbENKUlT_T0_E_clISt17integral_constantIbLb1EESW_IbLb0EEEEDaSS_ST_EUlSS_E_NS1_11comp_targetILNS1_3genE9ELNS1_11target_archE1100ELNS1_3gpuE3ELNS1_3repE0EEENS1_30default_config_static_selectorELNS0_4arch9wavefront6targetE1EEEvT1_.has_dyn_sized_stack, 0
	.set _ZN7rocprim17ROCPRIM_400000_NS6detail17trampoline_kernelINS0_14default_configENS1_27scan_by_key_config_selectorIllEEZZNS1_16scan_by_key_implILNS1_25lookback_scan_determinismE0ELb0ES3_PKlN6hipcub16HIPCUB_304000_NS21ConstantInputIteratorIllEEPllNSB_3SumENSB_8EqualityElEE10hipError_tPvRmT2_T3_T4_T5_mT6_T7_P12ihipStream_tbENKUlT_T0_E_clISt17integral_constantIbLb1EESW_IbLb0EEEEDaSS_ST_EUlSS_E_NS1_11comp_targetILNS1_3genE9ELNS1_11target_archE1100ELNS1_3gpuE3ELNS1_3repE0EEENS1_30default_config_static_selectorELNS0_4arch9wavefront6targetE1EEEvT1_.has_recursion, 0
	.set _ZN7rocprim17ROCPRIM_400000_NS6detail17trampoline_kernelINS0_14default_configENS1_27scan_by_key_config_selectorIllEEZZNS1_16scan_by_key_implILNS1_25lookback_scan_determinismE0ELb0ES3_PKlN6hipcub16HIPCUB_304000_NS21ConstantInputIteratorIllEEPllNSB_3SumENSB_8EqualityElEE10hipError_tPvRmT2_T3_T4_T5_mT6_T7_P12ihipStream_tbENKUlT_T0_E_clISt17integral_constantIbLb1EESW_IbLb0EEEEDaSS_ST_EUlSS_E_NS1_11comp_targetILNS1_3genE9ELNS1_11target_archE1100ELNS1_3gpuE3ELNS1_3repE0EEENS1_30default_config_static_selectorELNS0_4arch9wavefront6targetE1EEEvT1_.has_indirect_call, 0
	.section	.AMDGPU.csdata,"",@progbits
; Kernel info:
; codeLenInByte = 0
; TotalNumSgprs: 6
; NumVgprs: 0
; NumAgprs: 0
; TotalNumVgprs: 0
; ScratchSize: 0
; MemoryBound: 0
; FloatMode: 240
; IeeeMode: 1
; LDSByteSize: 0 bytes/workgroup (compile time only)
; SGPRBlocks: 0
; VGPRBlocks: 0
; NumSGPRsForWavesPerEU: 6
; NumVGPRsForWavesPerEU: 1
; AccumOffset: 4
; Occupancy: 8
; WaveLimiterHint : 0
; COMPUTE_PGM_RSRC2:SCRATCH_EN: 0
; COMPUTE_PGM_RSRC2:USER_SGPR: 2
; COMPUTE_PGM_RSRC2:TRAP_HANDLER: 0
; COMPUTE_PGM_RSRC2:TGID_X_EN: 1
; COMPUTE_PGM_RSRC2:TGID_Y_EN: 0
; COMPUTE_PGM_RSRC2:TGID_Z_EN: 0
; COMPUTE_PGM_RSRC2:TIDIG_COMP_CNT: 0
; COMPUTE_PGM_RSRC3_GFX90A:ACCUM_OFFSET: 0
; COMPUTE_PGM_RSRC3_GFX90A:TG_SPLIT: 0
	.section	.text._ZN7rocprim17ROCPRIM_400000_NS6detail17trampoline_kernelINS0_14default_configENS1_27scan_by_key_config_selectorIllEEZZNS1_16scan_by_key_implILNS1_25lookback_scan_determinismE0ELb0ES3_PKlN6hipcub16HIPCUB_304000_NS21ConstantInputIteratorIllEEPllNSB_3SumENSB_8EqualityElEE10hipError_tPvRmT2_T3_T4_T5_mT6_T7_P12ihipStream_tbENKUlT_T0_E_clISt17integral_constantIbLb1EESW_IbLb0EEEEDaSS_ST_EUlSS_E_NS1_11comp_targetILNS1_3genE8ELNS1_11target_archE1030ELNS1_3gpuE2ELNS1_3repE0EEENS1_30default_config_static_selectorELNS0_4arch9wavefront6targetE1EEEvT1_,"axG",@progbits,_ZN7rocprim17ROCPRIM_400000_NS6detail17trampoline_kernelINS0_14default_configENS1_27scan_by_key_config_selectorIllEEZZNS1_16scan_by_key_implILNS1_25lookback_scan_determinismE0ELb0ES3_PKlN6hipcub16HIPCUB_304000_NS21ConstantInputIteratorIllEEPllNSB_3SumENSB_8EqualityElEE10hipError_tPvRmT2_T3_T4_T5_mT6_T7_P12ihipStream_tbENKUlT_T0_E_clISt17integral_constantIbLb1EESW_IbLb0EEEEDaSS_ST_EUlSS_E_NS1_11comp_targetILNS1_3genE8ELNS1_11target_archE1030ELNS1_3gpuE2ELNS1_3repE0EEENS1_30default_config_static_selectorELNS0_4arch9wavefront6targetE1EEEvT1_,comdat
	.protected	_ZN7rocprim17ROCPRIM_400000_NS6detail17trampoline_kernelINS0_14default_configENS1_27scan_by_key_config_selectorIllEEZZNS1_16scan_by_key_implILNS1_25lookback_scan_determinismE0ELb0ES3_PKlN6hipcub16HIPCUB_304000_NS21ConstantInputIteratorIllEEPllNSB_3SumENSB_8EqualityElEE10hipError_tPvRmT2_T3_T4_T5_mT6_T7_P12ihipStream_tbENKUlT_T0_E_clISt17integral_constantIbLb1EESW_IbLb0EEEEDaSS_ST_EUlSS_E_NS1_11comp_targetILNS1_3genE8ELNS1_11target_archE1030ELNS1_3gpuE2ELNS1_3repE0EEENS1_30default_config_static_selectorELNS0_4arch9wavefront6targetE1EEEvT1_ ; -- Begin function _ZN7rocprim17ROCPRIM_400000_NS6detail17trampoline_kernelINS0_14default_configENS1_27scan_by_key_config_selectorIllEEZZNS1_16scan_by_key_implILNS1_25lookback_scan_determinismE0ELb0ES3_PKlN6hipcub16HIPCUB_304000_NS21ConstantInputIteratorIllEEPllNSB_3SumENSB_8EqualityElEE10hipError_tPvRmT2_T3_T4_T5_mT6_T7_P12ihipStream_tbENKUlT_T0_E_clISt17integral_constantIbLb1EESW_IbLb0EEEEDaSS_ST_EUlSS_E_NS1_11comp_targetILNS1_3genE8ELNS1_11target_archE1030ELNS1_3gpuE2ELNS1_3repE0EEENS1_30default_config_static_selectorELNS0_4arch9wavefront6targetE1EEEvT1_
	.globl	_ZN7rocprim17ROCPRIM_400000_NS6detail17trampoline_kernelINS0_14default_configENS1_27scan_by_key_config_selectorIllEEZZNS1_16scan_by_key_implILNS1_25lookback_scan_determinismE0ELb0ES3_PKlN6hipcub16HIPCUB_304000_NS21ConstantInputIteratorIllEEPllNSB_3SumENSB_8EqualityElEE10hipError_tPvRmT2_T3_T4_T5_mT6_T7_P12ihipStream_tbENKUlT_T0_E_clISt17integral_constantIbLb1EESW_IbLb0EEEEDaSS_ST_EUlSS_E_NS1_11comp_targetILNS1_3genE8ELNS1_11target_archE1030ELNS1_3gpuE2ELNS1_3repE0EEENS1_30default_config_static_selectorELNS0_4arch9wavefront6targetE1EEEvT1_
	.p2align	8
	.type	_ZN7rocprim17ROCPRIM_400000_NS6detail17trampoline_kernelINS0_14default_configENS1_27scan_by_key_config_selectorIllEEZZNS1_16scan_by_key_implILNS1_25lookback_scan_determinismE0ELb0ES3_PKlN6hipcub16HIPCUB_304000_NS21ConstantInputIteratorIllEEPllNSB_3SumENSB_8EqualityElEE10hipError_tPvRmT2_T3_T4_T5_mT6_T7_P12ihipStream_tbENKUlT_T0_E_clISt17integral_constantIbLb1EESW_IbLb0EEEEDaSS_ST_EUlSS_E_NS1_11comp_targetILNS1_3genE8ELNS1_11target_archE1030ELNS1_3gpuE2ELNS1_3repE0EEENS1_30default_config_static_selectorELNS0_4arch9wavefront6targetE1EEEvT1_,@function
_ZN7rocprim17ROCPRIM_400000_NS6detail17trampoline_kernelINS0_14default_configENS1_27scan_by_key_config_selectorIllEEZZNS1_16scan_by_key_implILNS1_25lookback_scan_determinismE0ELb0ES3_PKlN6hipcub16HIPCUB_304000_NS21ConstantInputIteratorIllEEPllNSB_3SumENSB_8EqualityElEE10hipError_tPvRmT2_T3_T4_T5_mT6_T7_P12ihipStream_tbENKUlT_T0_E_clISt17integral_constantIbLb1EESW_IbLb0EEEEDaSS_ST_EUlSS_E_NS1_11comp_targetILNS1_3genE8ELNS1_11target_archE1030ELNS1_3gpuE2ELNS1_3repE0EEENS1_30default_config_static_selectorELNS0_4arch9wavefront6targetE1EEEvT1_: ; @_ZN7rocprim17ROCPRIM_400000_NS6detail17trampoline_kernelINS0_14default_configENS1_27scan_by_key_config_selectorIllEEZZNS1_16scan_by_key_implILNS1_25lookback_scan_determinismE0ELb0ES3_PKlN6hipcub16HIPCUB_304000_NS21ConstantInputIteratorIllEEPllNSB_3SumENSB_8EqualityElEE10hipError_tPvRmT2_T3_T4_T5_mT6_T7_P12ihipStream_tbENKUlT_T0_E_clISt17integral_constantIbLb1EESW_IbLb0EEEEDaSS_ST_EUlSS_E_NS1_11comp_targetILNS1_3genE8ELNS1_11target_archE1030ELNS1_3gpuE2ELNS1_3repE0EEENS1_30default_config_static_selectorELNS0_4arch9wavefront6targetE1EEEvT1_
; %bb.0:
	.section	.rodata,"a",@progbits
	.p2align	6, 0x0
	.amdhsa_kernel _ZN7rocprim17ROCPRIM_400000_NS6detail17trampoline_kernelINS0_14default_configENS1_27scan_by_key_config_selectorIllEEZZNS1_16scan_by_key_implILNS1_25lookback_scan_determinismE0ELb0ES3_PKlN6hipcub16HIPCUB_304000_NS21ConstantInputIteratorIllEEPllNSB_3SumENSB_8EqualityElEE10hipError_tPvRmT2_T3_T4_T5_mT6_T7_P12ihipStream_tbENKUlT_T0_E_clISt17integral_constantIbLb1EESW_IbLb0EEEEDaSS_ST_EUlSS_E_NS1_11comp_targetILNS1_3genE8ELNS1_11target_archE1030ELNS1_3gpuE2ELNS1_3repE0EEENS1_30default_config_static_selectorELNS0_4arch9wavefront6targetE1EEEvT1_
		.amdhsa_group_segment_fixed_size 0
		.amdhsa_private_segment_fixed_size 0
		.amdhsa_kernarg_size 144
		.amdhsa_user_sgpr_count 2
		.amdhsa_user_sgpr_dispatch_ptr 0
		.amdhsa_user_sgpr_queue_ptr 0
		.amdhsa_user_sgpr_kernarg_segment_ptr 1
		.amdhsa_user_sgpr_dispatch_id 0
		.amdhsa_user_sgpr_kernarg_preload_length 0
		.amdhsa_user_sgpr_kernarg_preload_offset 0
		.amdhsa_user_sgpr_private_segment_size 0
		.amdhsa_uses_dynamic_stack 0
		.amdhsa_enable_private_segment 0
		.amdhsa_system_sgpr_workgroup_id_x 1
		.amdhsa_system_sgpr_workgroup_id_y 0
		.amdhsa_system_sgpr_workgroup_id_z 0
		.amdhsa_system_sgpr_workgroup_info 0
		.amdhsa_system_vgpr_workitem_id 0
		.amdhsa_next_free_vgpr 1
		.amdhsa_next_free_sgpr 0
		.amdhsa_accum_offset 4
		.amdhsa_reserve_vcc 0
		.amdhsa_float_round_mode_32 0
		.amdhsa_float_round_mode_16_64 0
		.amdhsa_float_denorm_mode_32 3
		.amdhsa_float_denorm_mode_16_64 3
		.amdhsa_dx10_clamp 1
		.amdhsa_ieee_mode 1
		.amdhsa_fp16_overflow 0
		.amdhsa_tg_split 0
		.amdhsa_exception_fp_ieee_invalid_op 0
		.amdhsa_exception_fp_denorm_src 0
		.amdhsa_exception_fp_ieee_div_zero 0
		.amdhsa_exception_fp_ieee_overflow 0
		.amdhsa_exception_fp_ieee_underflow 0
		.amdhsa_exception_fp_ieee_inexact 0
		.amdhsa_exception_int_div_zero 0
	.end_amdhsa_kernel
	.section	.text._ZN7rocprim17ROCPRIM_400000_NS6detail17trampoline_kernelINS0_14default_configENS1_27scan_by_key_config_selectorIllEEZZNS1_16scan_by_key_implILNS1_25lookback_scan_determinismE0ELb0ES3_PKlN6hipcub16HIPCUB_304000_NS21ConstantInputIteratorIllEEPllNSB_3SumENSB_8EqualityElEE10hipError_tPvRmT2_T3_T4_T5_mT6_T7_P12ihipStream_tbENKUlT_T0_E_clISt17integral_constantIbLb1EESW_IbLb0EEEEDaSS_ST_EUlSS_E_NS1_11comp_targetILNS1_3genE8ELNS1_11target_archE1030ELNS1_3gpuE2ELNS1_3repE0EEENS1_30default_config_static_selectorELNS0_4arch9wavefront6targetE1EEEvT1_,"axG",@progbits,_ZN7rocprim17ROCPRIM_400000_NS6detail17trampoline_kernelINS0_14default_configENS1_27scan_by_key_config_selectorIllEEZZNS1_16scan_by_key_implILNS1_25lookback_scan_determinismE0ELb0ES3_PKlN6hipcub16HIPCUB_304000_NS21ConstantInputIteratorIllEEPllNSB_3SumENSB_8EqualityElEE10hipError_tPvRmT2_T3_T4_T5_mT6_T7_P12ihipStream_tbENKUlT_T0_E_clISt17integral_constantIbLb1EESW_IbLb0EEEEDaSS_ST_EUlSS_E_NS1_11comp_targetILNS1_3genE8ELNS1_11target_archE1030ELNS1_3gpuE2ELNS1_3repE0EEENS1_30default_config_static_selectorELNS0_4arch9wavefront6targetE1EEEvT1_,comdat
.Lfunc_end124:
	.size	_ZN7rocprim17ROCPRIM_400000_NS6detail17trampoline_kernelINS0_14default_configENS1_27scan_by_key_config_selectorIllEEZZNS1_16scan_by_key_implILNS1_25lookback_scan_determinismE0ELb0ES3_PKlN6hipcub16HIPCUB_304000_NS21ConstantInputIteratorIllEEPllNSB_3SumENSB_8EqualityElEE10hipError_tPvRmT2_T3_T4_T5_mT6_T7_P12ihipStream_tbENKUlT_T0_E_clISt17integral_constantIbLb1EESW_IbLb0EEEEDaSS_ST_EUlSS_E_NS1_11comp_targetILNS1_3genE8ELNS1_11target_archE1030ELNS1_3gpuE2ELNS1_3repE0EEENS1_30default_config_static_selectorELNS0_4arch9wavefront6targetE1EEEvT1_, .Lfunc_end124-_ZN7rocprim17ROCPRIM_400000_NS6detail17trampoline_kernelINS0_14default_configENS1_27scan_by_key_config_selectorIllEEZZNS1_16scan_by_key_implILNS1_25lookback_scan_determinismE0ELb0ES3_PKlN6hipcub16HIPCUB_304000_NS21ConstantInputIteratorIllEEPllNSB_3SumENSB_8EqualityElEE10hipError_tPvRmT2_T3_T4_T5_mT6_T7_P12ihipStream_tbENKUlT_T0_E_clISt17integral_constantIbLb1EESW_IbLb0EEEEDaSS_ST_EUlSS_E_NS1_11comp_targetILNS1_3genE8ELNS1_11target_archE1030ELNS1_3gpuE2ELNS1_3repE0EEENS1_30default_config_static_selectorELNS0_4arch9wavefront6targetE1EEEvT1_
                                        ; -- End function
	.set _ZN7rocprim17ROCPRIM_400000_NS6detail17trampoline_kernelINS0_14default_configENS1_27scan_by_key_config_selectorIllEEZZNS1_16scan_by_key_implILNS1_25lookback_scan_determinismE0ELb0ES3_PKlN6hipcub16HIPCUB_304000_NS21ConstantInputIteratorIllEEPllNSB_3SumENSB_8EqualityElEE10hipError_tPvRmT2_T3_T4_T5_mT6_T7_P12ihipStream_tbENKUlT_T0_E_clISt17integral_constantIbLb1EESW_IbLb0EEEEDaSS_ST_EUlSS_E_NS1_11comp_targetILNS1_3genE8ELNS1_11target_archE1030ELNS1_3gpuE2ELNS1_3repE0EEENS1_30default_config_static_selectorELNS0_4arch9wavefront6targetE1EEEvT1_.num_vgpr, 0
	.set _ZN7rocprim17ROCPRIM_400000_NS6detail17trampoline_kernelINS0_14default_configENS1_27scan_by_key_config_selectorIllEEZZNS1_16scan_by_key_implILNS1_25lookback_scan_determinismE0ELb0ES3_PKlN6hipcub16HIPCUB_304000_NS21ConstantInputIteratorIllEEPllNSB_3SumENSB_8EqualityElEE10hipError_tPvRmT2_T3_T4_T5_mT6_T7_P12ihipStream_tbENKUlT_T0_E_clISt17integral_constantIbLb1EESW_IbLb0EEEEDaSS_ST_EUlSS_E_NS1_11comp_targetILNS1_3genE8ELNS1_11target_archE1030ELNS1_3gpuE2ELNS1_3repE0EEENS1_30default_config_static_selectorELNS0_4arch9wavefront6targetE1EEEvT1_.num_agpr, 0
	.set _ZN7rocprim17ROCPRIM_400000_NS6detail17trampoline_kernelINS0_14default_configENS1_27scan_by_key_config_selectorIllEEZZNS1_16scan_by_key_implILNS1_25lookback_scan_determinismE0ELb0ES3_PKlN6hipcub16HIPCUB_304000_NS21ConstantInputIteratorIllEEPllNSB_3SumENSB_8EqualityElEE10hipError_tPvRmT2_T3_T4_T5_mT6_T7_P12ihipStream_tbENKUlT_T0_E_clISt17integral_constantIbLb1EESW_IbLb0EEEEDaSS_ST_EUlSS_E_NS1_11comp_targetILNS1_3genE8ELNS1_11target_archE1030ELNS1_3gpuE2ELNS1_3repE0EEENS1_30default_config_static_selectorELNS0_4arch9wavefront6targetE1EEEvT1_.numbered_sgpr, 0
	.set _ZN7rocprim17ROCPRIM_400000_NS6detail17trampoline_kernelINS0_14default_configENS1_27scan_by_key_config_selectorIllEEZZNS1_16scan_by_key_implILNS1_25lookback_scan_determinismE0ELb0ES3_PKlN6hipcub16HIPCUB_304000_NS21ConstantInputIteratorIllEEPllNSB_3SumENSB_8EqualityElEE10hipError_tPvRmT2_T3_T4_T5_mT6_T7_P12ihipStream_tbENKUlT_T0_E_clISt17integral_constantIbLb1EESW_IbLb0EEEEDaSS_ST_EUlSS_E_NS1_11comp_targetILNS1_3genE8ELNS1_11target_archE1030ELNS1_3gpuE2ELNS1_3repE0EEENS1_30default_config_static_selectorELNS0_4arch9wavefront6targetE1EEEvT1_.num_named_barrier, 0
	.set _ZN7rocprim17ROCPRIM_400000_NS6detail17trampoline_kernelINS0_14default_configENS1_27scan_by_key_config_selectorIllEEZZNS1_16scan_by_key_implILNS1_25lookback_scan_determinismE0ELb0ES3_PKlN6hipcub16HIPCUB_304000_NS21ConstantInputIteratorIllEEPllNSB_3SumENSB_8EqualityElEE10hipError_tPvRmT2_T3_T4_T5_mT6_T7_P12ihipStream_tbENKUlT_T0_E_clISt17integral_constantIbLb1EESW_IbLb0EEEEDaSS_ST_EUlSS_E_NS1_11comp_targetILNS1_3genE8ELNS1_11target_archE1030ELNS1_3gpuE2ELNS1_3repE0EEENS1_30default_config_static_selectorELNS0_4arch9wavefront6targetE1EEEvT1_.private_seg_size, 0
	.set _ZN7rocprim17ROCPRIM_400000_NS6detail17trampoline_kernelINS0_14default_configENS1_27scan_by_key_config_selectorIllEEZZNS1_16scan_by_key_implILNS1_25lookback_scan_determinismE0ELb0ES3_PKlN6hipcub16HIPCUB_304000_NS21ConstantInputIteratorIllEEPllNSB_3SumENSB_8EqualityElEE10hipError_tPvRmT2_T3_T4_T5_mT6_T7_P12ihipStream_tbENKUlT_T0_E_clISt17integral_constantIbLb1EESW_IbLb0EEEEDaSS_ST_EUlSS_E_NS1_11comp_targetILNS1_3genE8ELNS1_11target_archE1030ELNS1_3gpuE2ELNS1_3repE0EEENS1_30default_config_static_selectorELNS0_4arch9wavefront6targetE1EEEvT1_.uses_vcc, 0
	.set _ZN7rocprim17ROCPRIM_400000_NS6detail17trampoline_kernelINS0_14default_configENS1_27scan_by_key_config_selectorIllEEZZNS1_16scan_by_key_implILNS1_25lookback_scan_determinismE0ELb0ES3_PKlN6hipcub16HIPCUB_304000_NS21ConstantInputIteratorIllEEPllNSB_3SumENSB_8EqualityElEE10hipError_tPvRmT2_T3_T4_T5_mT6_T7_P12ihipStream_tbENKUlT_T0_E_clISt17integral_constantIbLb1EESW_IbLb0EEEEDaSS_ST_EUlSS_E_NS1_11comp_targetILNS1_3genE8ELNS1_11target_archE1030ELNS1_3gpuE2ELNS1_3repE0EEENS1_30default_config_static_selectorELNS0_4arch9wavefront6targetE1EEEvT1_.uses_flat_scratch, 0
	.set _ZN7rocprim17ROCPRIM_400000_NS6detail17trampoline_kernelINS0_14default_configENS1_27scan_by_key_config_selectorIllEEZZNS1_16scan_by_key_implILNS1_25lookback_scan_determinismE0ELb0ES3_PKlN6hipcub16HIPCUB_304000_NS21ConstantInputIteratorIllEEPllNSB_3SumENSB_8EqualityElEE10hipError_tPvRmT2_T3_T4_T5_mT6_T7_P12ihipStream_tbENKUlT_T0_E_clISt17integral_constantIbLb1EESW_IbLb0EEEEDaSS_ST_EUlSS_E_NS1_11comp_targetILNS1_3genE8ELNS1_11target_archE1030ELNS1_3gpuE2ELNS1_3repE0EEENS1_30default_config_static_selectorELNS0_4arch9wavefront6targetE1EEEvT1_.has_dyn_sized_stack, 0
	.set _ZN7rocprim17ROCPRIM_400000_NS6detail17trampoline_kernelINS0_14default_configENS1_27scan_by_key_config_selectorIllEEZZNS1_16scan_by_key_implILNS1_25lookback_scan_determinismE0ELb0ES3_PKlN6hipcub16HIPCUB_304000_NS21ConstantInputIteratorIllEEPllNSB_3SumENSB_8EqualityElEE10hipError_tPvRmT2_T3_T4_T5_mT6_T7_P12ihipStream_tbENKUlT_T0_E_clISt17integral_constantIbLb1EESW_IbLb0EEEEDaSS_ST_EUlSS_E_NS1_11comp_targetILNS1_3genE8ELNS1_11target_archE1030ELNS1_3gpuE2ELNS1_3repE0EEENS1_30default_config_static_selectorELNS0_4arch9wavefront6targetE1EEEvT1_.has_recursion, 0
	.set _ZN7rocprim17ROCPRIM_400000_NS6detail17trampoline_kernelINS0_14default_configENS1_27scan_by_key_config_selectorIllEEZZNS1_16scan_by_key_implILNS1_25lookback_scan_determinismE0ELb0ES3_PKlN6hipcub16HIPCUB_304000_NS21ConstantInputIteratorIllEEPllNSB_3SumENSB_8EqualityElEE10hipError_tPvRmT2_T3_T4_T5_mT6_T7_P12ihipStream_tbENKUlT_T0_E_clISt17integral_constantIbLb1EESW_IbLb0EEEEDaSS_ST_EUlSS_E_NS1_11comp_targetILNS1_3genE8ELNS1_11target_archE1030ELNS1_3gpuE2ELNS1_3repE0EEENS1_30default_config_static_selectorELNS0_4arch9wavefront6targetE1EEEvT1_.has_indirect_call, 0
	.section	.AMDGPU.csdata,"",@progbits
; Kernel info:
; codeLenInByte = 0
; TotalNumSgprs: 6
; NumVgprs: 0
; NumAgprs: 0
; TotalNumVgprs: 0
; ScratchSize: 0
; MemoryBound: 0
; FloatMode: 240
; IeeeMode: 1
; LDSByteSize: 0 bytes/workgroup (compile time only)
; SGPRBlocks: 0
; VGPRBlocks: 0
; NumSGPRsForWavesPerEU: 6
; NumVGPRsForWavesPerEU: 1
; AccumOffset: 4
; Occupancy: 8
; WaveLimiterHint : 0
; COMPUTE_PGM_RSRC2:SCRATCH_EN: 0
; COMPUTE_PGM_RSRC2:USER_SGPR: 2
; COMPUTE_PGM_RSRC2:TRAP_HANDLER: 0
; COMPUTE_PGM_RSRC2:TGID_X_EN: 1
; COMPUTE_PGM_RSRC2:TGID_Y_EN: 0
; COMPUTE_PGM_RSRC2:TGID_Z_EN: 0
; COMPUTE_PGM_RSRC2:TIDIG_COMP_CNT: 0
; COMPUTE_PGM_RSRC3_GFX90A:ACCUM_OFFSET: 0
; COMPUTE_PGM_RSRC3_GFX90A:TG_SPLIT: 0
	.section	.text._ZN7rocprim17ROCPRIM_400000_NS6detail30init_device_scan_by_key_kernelINS1_19lookback_scan_stateINS0_5tupleIJlbEEELb0ELb0EEEPKljNS1_16block_id_wrapperIjLb1EEEEEvT_jjPNSB_10value_typeET0_PNSt15iterator_traitsISE_E10value_typeEmT1_T2_,"axG",@progbits,_ZN7rocprim17ROCPRIM_400000_NS6detail30init_device_scan_by_key_kernelINS1_19lookback_scan_stateINS0_5tupleIJlbEEELb0ELb0EEEPKljNS1_16block_id_wrapperIjLb1EEEEEvT_jjPNSB_10value_typeET0_PNSt15iterator_traitsISE_E10value_typeEmT1_T2_,comdat
	.protected	_ZN7rocprim17ROCPRIM_400000_NS6detail30init_device_scan_by_key_kernelINS1_19lookback_scan_stateINS0_5tupleIJlbEEELb0ELb0EEEPKljNS1_16block_id_wrapperIjLb1EEEEEvT_jjPNSB_10value_typeET0_PNSt15iterator_traitsISE_E10value_typeEmT1_T2_ ; -- Begin function _ZN7rocprim17ROCPRIM_400000_NS6detail30init_device_scan_by_key_kernelINS1_19lookback_scan_stateINS0_5tupleIJlbEEELb0ELb0EEEPKljNS1_16block_id_wrapperIjLb1EEEEEvT_jjPNSB_10value_typeET0_PNSt15iterator_traitsISE_E10value_typeEmT1_T2_
	.globl	_ZN7rocprim17ROCPRIM_400000_NS6detail30init_device_scan_by_key_kernelINS1_19lookback_scan_stateINS0_5tupleIJlbEEELb0ELb0EEEPKljNS1_16block_id_wrapperIjLb1EEEEEvT_jjPNSB_10value_typeET0_PNSt15iterator_traitsISE_E10value_typeEmT1_T2_
	.p2align	8
	.type	_ZN7rocprim17ROCPRIM_400000_NS6detail30init_device_scan_by_key_kernelINS1_19lookback_scan_stateINS0_5tupleIJlbEEELb0ELb0EEEPKljNS1_16block_id_wrapperIjLb1EEEEEvT_jjPNSB_10value_typeET0_PNSt15iterator_traitsISE_E10value_typeEmT1_T2_,@function
_ZN7rocprim17ROCPRIM_400000_NS6detail30init_device_scan_by_key_kernelINS1_19lookback_scan_stateINS0_5tupleIJlbEEELb0ELb0EEEPKljNS1_16block_id_wrapperIjLb1EEEEEvT_jjPNSB_10value_typeET0_PNSt15iterator_traitsISE_E10value_typeEmT1_T2_: ; @_ZN7rocprim17ROCPRIM_400000_NS6detail30init_device_scan_by_key_kernelINS1_19lookback_scan_stateINS0_5tupleIJlbEEELb0ELb0EEEPKljNS1_16block_id_wrapperIjLb1EEEEEvT_jjPNSB_10value_typeET0_PNSt15iterator_traitsISE_E10value_typeEmT1_T2_
; %bb.0:
	s_load_dword s3, s[0:1], 0x5c
	s_load_dwordx8 s[4:11], s[0:1], 0x10
	s_load_dword s20, s[0:1], 0x50
	s_waitcnt lgkmcnt(0)
	s_and_b32 s21, s3, 0xffff
	s_mul_i32 s2, s2, s21
	s_cmp_eq_u64 s[8:9], 0
	v_add_u32_e32 v0, s2, v0
	s_cbranch_scc1 .LBB125_6
; %bb.1:
	s_cmp_lt_u32 s7, s6
	s_cselect_b32 s2, s7, 0
	s_mov_b32 s17, 0
	v_cmp_eq_u32_e32 vcc, s2, v0
	s_and_saveexec_b64 s[2:3], vcc
	s_cbranch_execz .LBB125_5
; %bb.2:
	s_add_i32 s16, s7, 64
	v_mov_b32_e32 v1, s16
	global_load_ubyte v2, v1, s[4:5] sc1
	s_load_dwordx4 s[12:15], s[0:1], 0x0
	v_mov_b32_e32 v1, 0
	s_add_u32 s18, s4, s16
	s_addc_u32 s19, s5, 0
	s_waitcnt vmcnt(0)
	v_cmp_ne_u32_sdwa s[22:23], v2, v1 src0_sel:WORD_0 src1_sel:DWORD
	s_and_b64 vcc, exec, s[22:23]
	v_readfirstlane_b32 s7, v2
	s_cbranch_vccnz .LBB125_4
.LBB125_3:                              ; =>This Inner Loop Header: Depth=1
	global_load_ubyte v2, v1, s[18:19] sc1
	s_waitcnt vmcnt(0)
	v_cmp_eq_u32_sdwa s[22:23], v2, v1 src0_sel:WORD_0 src1_sel:DWORD
	s_and_b64 vcc, exec, s[22:23]
	v_readfirstlane_b32 s7, v2
	s_cbranch_vccnz .LBB125_3
.LBB125_4:
	s_and_b32 s7, 0xffff, s7
	s_cmp_eq_u32 s7, 1
	s_waitcnt lgkmcnt(0)
	s_cselect_b32 s7, s13, s15
	s_cselect_b32 s14, s12, s14
	s_lshl_b64 s[12:13], s[16:17], 4
	s_add_u32 s12, s14, s12
	s_addc_u32 s13, s7, s13
	v_mov_b32_e32 v1, 0
	s_waitcnt vmcnt(0)
	global_load_dword v4, v1, s[12:13] sc1
	global_load_dword v5, v1, s[12:13] offset:4 sc1
	global_load_dword v2, v1, s[12:13] offset:8 sc1
	;; [unrolled: 1-line block ×3, first 2 shown]
	s_waitcnt vmcnt(2)
	global_store_dwordx2 v1, v[4:5], s[8:9]
	s_waitcnt vmcnt(2)
	global_store_byte v1, v2, s[8:9] offset:8
.LBB125_5:
	s_or_b64 exec, exec, s[2:3]
.LBB125_6:
	v_cmp_eq_u32_e32 vcc, 0, v0
	s_and_saveexec_b64 s[2:3], vcc
	s_cbranch_execz .LBB125_8
; %bb.7:
	s_load_dwordx2 s[8:9], s[0:1], 0x48
	v_mov_b32_e32 v1, 0
	s_waitcnt lgkmcnt(0)
	global_store_dword v1, v1, s[8:9]
.LBB125_8:
	s_or_b64 exec, exec, s[2:3]
	v_cmp_gt_u32_e32 vcc, s6, v0
	s_and_saveexec_b64 s[2:3], vcc
	s_cbranch_execz .LBB125_10
; %bb.9:
	v_add_u32_e32 v1, 64, v0
	v_mov_b32_e32 v2, 0
	global_store_byte v1, v2, s[4:5]
.LBB125_10:
	s_or_b64 exec, exec, s[2:3]
	v_cmp_gt_u32_e32 vcc, 64, v0
	v_mov_b32_e32 v1, 0
	s_and_saveexec_b64 s[2:3], vcc
	s_cbranch_execz .LBB125_12
; %bb.11:
	s_waitcnt vmcnt(2)
	v_lshl_add_u64 v[2:3], s[4:5], 0, v[0:1]
	v_mov_b32_e32 v4, 0xff
	global_store_byte v[2:3], v4, off
.LBB125_12:
	s_or_b64 exec, exec, s[2:3]
	s_load_dwordx2 s[2:3], s[0:1], 0x38
	s_waitcnt lgkmcnt(0)
	v_cmp_gt_u64_e32 vcc, s[2:3], v[0:1]
	s_and_saveexec_b64 s[4:5], vcc
	s_cbranch_execz .LBB125_15
; %bb.13:
	s_load_dword s12, s[0:1], 0x40
	s_load_dwordx2 s[6:7], s[0:1], 0x30
	s_mov_b32 s5, 0
	s_mov_b32 s1, s5
	s_mul_i32 s0, s20, s21
	s_waitcnt lgkmcnt(0)
	s_add_i32 s4, s12, -1
	s_lshl_b64 s[4:5], s[4:5], 3
	s_add_u32 s4, s10, s4
	s_waitcnt vmcnt(2)
	v_mad_u64_u32 v[2:3], s[8:9], s12, v0, 0
	s_addc_u32 s5, s11, s5
	v_lshl_add_u64 v[2:3], v[2:3], 3, s[4:5]
	s_mul_hi_u32 s5, s12, s0
	s_mul_i32 s4, s12, s0
	s_lshl_b64 s[4:5], s[4:5], 3
	v_lshl_add_u64 v[4:5], v[0:1], 3, s[6:7]
	s_lshl_b64 s[6:7], s[0:1], 3
	s_mov_b64 s[8:9], 0
.LBB125_14:                             ; =>This Inner Loop Header: Depth=1
	global_load_dwordx2 v[6:7], v[2:3], off
	v_lshl_add_u64 v[0:1], v[0:1], 0, s[0:1]
	v_cmp_le_u64_e32 vcc, s[2:3], v[0:1]
	v_lshl_add_u64 v[2:3], v[2:3], 0, s[4:5]
	s_or_b64 s[8:9], vcc, s[8:9]
	s_waitcnt vmcnt(0)
	global_store_dwordx2 v[4:5], v[6:7], off
	v_lshl_add_u64 v[4:5], v[4:5], 0, s[6:7]
	s_andn2_b64 exec, exec, s[8:9]
	s_cbranch_execnz .LBB125_14
.LBB125_15:
	s_endpgm
	.section	.rodata,"a",@progbits
	.p2align	6, 0x0
	.amdhsa_kernel _ZN7rocprim17ROCPRIM_400000_NS6detail30init_device_scan_by_key_kernelINS1_19lookback_scan_stateINS0_5tupleIJlbEEELb0ELb0EEEPKljNS1_16block_id_wrapperIjLb1EEEEEvT_jjPNSB_10value_typeET0_PNSt15iterator_traitsISE_E10value_typeEmT1_T2_
		.amdhsa_group_segment_fixed_size 0
		.amdhsa_private_segment_fixed_size 0
		.amdhsa_kernarg_size 336
		.amdhsa_user_sgpr_count 2
		.amdhsa_user_sgpr_dispatch_ptr 0
		.amdhsa_user_sgpr_queue_ptr 0
		.amdhsa_user_sgpr_kernarg_segment_ptr 1
		.amdhsa_user_sgpr_dispatch_id 0
		.amdhsa_user_sgpr_kernarg_preload_length 0
		.amdhsa_user_sgpr_kernarg_preload_offset 0
		.amdhsa_user_sgpr_private_segment_size 0
		.amdhsa_uses_dynamic_stack 0
		.amdhsa_enable_private_segment 0
		.amdhsa_system_sgpr_workgroup_id_x 1
		.amdhsa_system_sgpr_workgroup_id_y 0
		.amdhsa_system_sgpr_workgroup_id_z 0
		.amdhsa_system_sgpr_workgroup_info 0
		.amdhsa_system_vgpr_workitem_id 0
		.amdhsa_next_free_vgpr 8
		.amdhsa_next_free_sgpr 24
		.amdhsa_accum_offset 8
		.amdhsa_reserve_vcc 1
		.amdhsa_float_round_mode_32 0
		.amdhsa_float_round_mode_16_64 0
		.amdhsa_float_denorm_mode_32 3
		.amdhsa_float_denorm_mode_16_64 3
		.amdhsa_dx10_clamp 1
		.amdhsa_ieee_mode 1
		.amdhsa_fp16_overflow 0
		.amdhsa_tg_split 0
		.amdhsa_exception_fp_ieee_invalid_op 0
		.amdhsa_exception_fp_denorm_src 0
		.amdhsa_exception_fp_ieee_div_zero 0
		.amdhsa_exception_fp_ieee_overflow 0
		.amdhsa_exception_fp_ieee_underflow 0
		.amdhsa_exception_fp_ieee_inexact 0
		.amdhsa_exception_int_div_zero 0
	.end_amdhsa_kernel
	.section	.text._ZN7rocprim17ROCPRIM_400000_NS6detail30init_device_scan_by_key_kernelINS1_19lookback_scan_stateINS0_5tupleIJlbEEELb0ELb0EEEPKljNS1_16block_id_wrapperIjLb1EEEEEvT_jjPNSB_10value_typeET0_PNSt15iterator_traitsISE_E10value_typeEmT1_T2_,"axG",@progbits,_ZN7rocprim17ROCPRIM_400000_NS6detail30init_device_scan_by_key_kernelINS1_19lookback_scan_stateINS0_5tupleIJlbEEELb0ELb0EEEPKljNS1_16block_id_wrapperIjLb1EEEEEvT_jjPNSB_10value_typeET0_PNSt15iterator_traitsISE_E10value_typeEmT1_T2_,comdat
.Lfunc_end125:
	.size	_ZN7rocprim17ROCPRIM_400000_NS6detail30init_device_scan_by_key_kernelINS1_19lookback_scan_stateINS0_5tupleIJlbEEELb0ELb0EEEPKljNS1_16block_id_wrapperIjLb1EEEEEvT_jjPNSB_10value_typeET0_PNSt15iterator_traitsISE_E10value_typeEmT1_T2_, .Lfunc_end125-_ZN7rocprim17ROCPRIM_400000_NS6detail30init_device_scan_by_key_kernelINS1_19lookback_scan_stateINS0_5tupleIJlbEEELb0ELb0EEEPKljNS1_16block_id_wrapperIjLb1EEEEEvT_jjPNSB_10value_typeET0_PNSt15iterator_traitsISE_E10value_typeEmT1_T2_
                                        ; -- End function
	.set _ZN7rocprim17ROCPRIM_400000_NS6detail30init_device_scan_by_key_kernelINS1_19lookback_scan_stateINS0_5tupleIJlbEEELb0ELb0EEEPKljNS1_16block_id_wrapperIjLb1EEEEEvT_jjPNSB_10value_typeET0_PNSt15iterator_traitsISE_E10value_typeEmT1_T2_.num_vgpr, 8
	.set _ZN7rocprim17ROCPRIM_400000_NS6detail30init_device_scan_by_key_kernelINS1_19lookback_scan_stateINS0_5tupleIJlbEEELb0ELb0EEEPKljNS1_16block_id_wrapperIjLb1EEEEEvT_jjPNSB_10value_typeET0_PNSt15iterator_traitsISE_E10value_typeEmT1_T2_.num_agpr, 0
	.set _ZN7rocprim17ROCPRIM_400000_NS6detail30init_device_scan_by_key_kernelINS1_19lookback_scan_stateINS0_5tupleIJlbEEELb0ELb0EEEPKljNS1_16block_id_wrapperIjLb1EEEEEvT_jjPNSB_10value_typeET0_PNSt15iterator_traitsISE_E10value_typeEmT1_T2_.numbered_sgpr, 24
	.set _ZN7rocprim17ROCPRIM_400000_NS6detail30init_device_scan_by_key_kernelINS1_19lookback_scan_stateINS0_5tupleIJlbEEELb0ELb0EEEPKljNS1_16block_id_wrapperIjLb1EEEEEvT_jjPNSB_10value_typeET0_PNSt15iterator_traitsISE_E10value_typeEmT1_T2_.num_named_barrier, 0
	.set _ZN7rocprim17ROCPRIM_400000_NS6detail30init_device_scan_by_key_kernelINS1_19lookback_scan_stateINS0_5tupleIJlbEEELb0ELb0EEEPKljNS1_16block_id_wrapperIjLb1EEEEEvT_jjPNSB_10value_typeET0_PNSt15iterator_traitsISE_E10value_typeEmT1_T2_.private_seg_size, 0
	.set _ZN7rocprim17ROCPRIM_400000_NS6detail30init_device_scan_by_key_kernelINS1_19lookback_scan_stateINS0_5tupleIJlbEEELb0ELb0EEEPKljNS1_16block_id_wrapperIjLb1EEEEEvT_jjPNSB_10value_typeET0_PNSt15iterator_traitsISE_E10value_typeEmT1_T2_.uses_vcc, 1
	.set _ZN7rocprim17ROCPRIM_400000_NS6detail30init_device_scan_by_key_kernelINS1_19lookback_scan_stateINS0_5tupleIJlbEEELb0ELb0EEEPKljNS1_16block_id_wrapperIjLb1EEEEEvT_jjPNSB_10value_typeET0_PNSt15iterator_traitsISE_E10value_typeEmT1_T2_.uses_flat_scratch, 0
	.set _ZN7rocprim17ROCPRIM_400000_NS6detail30init_device_scan_by_key_kernelINS1_19lookback_scan_stateINS0_5tupleIJlbEEELb0ELb0EEEPKljNS1_16block_id_wrapperIjLb1EEEEEvT_jjPNSB_10value_typeET0_PNSt15iterator_traitsISE_E10value_typeEmT1_T2_.has_dyn_sized_stack, 0
	.set _ZN7rocprim17ROCPRIM_400000_NS6detail30init_device_scan_by_key_kernelINS1_19lookback_scan_stateINS0_5tupleIJlbEEELb0ELb0EEEPKljNS1_16block_id_wrapperIjLb1EEEEEvT_jjPNSB_10value_typeET0_PNSt15iterator_traitsISE_E10value_typeEmT1_T2_.has_recursion, 0
	.set _ZN7rocprim17ROCPRIM_400000_NS6detail30init_device_scan_by_key_kernelINS1_19lookback_scan_stateINS0_5tupleIJlbEEELb0ELb0EEEPKljNS1_16block_id_wrapperIjLb1EEEEEvT_jjPNSB_10value_typeET0_PNSt15iterator_traitsISE_E10value_typeEmT1_T2_.has_indirect_call, 0
	.section	.AMDGPU.csdata,"",@progbits
; Kernel info:
; codeLenInByte = 576
; TotalNumSgprs: 30
; NumVgprs: 8
; NumAgprs: 0
; TotalNumVgprs: 8
; ScratchSize: 0
; MemoryBound: 0
; FloatMode: 240
; IeeeMode: 1
; LDSByteSize: 0 bytes/workgroup (compile time only)
; SGPRBlocks: 3
; VGPRBlocks: 0
; NumSGPRsForWavesPerEU: 30
; NumVGPRsForWavesPerEU: 8
; AccumOffset: 8
; Occupancy: 8
; WaveLimiterHint : 0
; COMPUTE_PGM_RSRC2:SCRATCH_EN: 0
; COMPUTE_PGM_RSRC2:USER_SGPR: 2
; COMPUTE_PGM_RSRC2:TRAP_HANDLER: 0
; COMPUTE_PGM_RSRC2:TGID_X_EN: 1
; COMPUTE_PGM_RSRC2:TGID_Y_EN: 0
; COMPUTE_PGM_RSRC2:TGID_Z_EN: 0
; COMPUTE_PGM_RSRC2:TIDIG_COMP_CNT: 0
; COMPUTE_PGM_RSRC3_GFX90A:ACCUM_OFFSET: 1
; COMPUTE_PGM_RSRC3_GFX90A:TG_SPLIT: 0
	.section	.text._ZN7rocprim17ROCPRIM_400000_NS6detail30init_device_scan_by_key_kernelINS1_19lookback_scan_stateINS0_5tupleIJlbEEELb0ELb0EEENS1_16block_id_wrapperIjLb1EEEEEvT_jjPNS9_10value_typeET0_,"axG",@progbits,_ZN7rocprim17ROCPRIM_400000_NS6detail30init_device_scan_by_key_kernelINS1_19lookback_scan_stateINS0_5tupleIJlbEEELb0ELb0EEENS1_16block_id_wrapperIjLb1EEEEEvT_jjPNS9_10value_typeET0_,comdat
	.protected	_ZN7rocprim17ROCPRIM_400000_NS6detail30init_device_scan_by_key_kernelINS1_19lookback_scan_stateINS0_5tupleIJlbEEELb0ELb0EEENS1_16block_id_wrapperIjLb1EEEEEvT_jjPNS9_10value_typeET0_ ; -- Begin function _ZN7rocprim17ROCPRIM_400000_NS6detail30init_device_scan_by_key_kernelINS1_19lookback_scan_stateINS0_5tupleIJlbEEELb0ELb0EEENS1_16block_id_wrapperIjLb1EEEEEvT_jjPNS9_10value_typeET0_
	.globl	_ZN7rocprim17ROCPRIM_400000_NS6detail30init_device_scan_by_key_kernelINS1_19lookback_scan_stateINS0_5tupleIJlbEEELb0ELb0EEENS1_16block_id_wrapperIjLb1EEEEEvT_jjPNS9_10value_typeET0_
	.p2align	8
	.type	_ZN7rocprim17ROCPRIM_400000_NS6detail30init_device_scan_by_key_kernelINS1_19lookback_scan_stateINS0_5tupleIJlbEEELb0ELb0EEENS1_16block_id_wrapperIjLb1EEEEEvT_jjPNS9_10value_typeET0_,@function
_ZN7rocprim17ROCPRIM_400000_NS6detail30init_device_scan_by_key_kernelINS1_19lookback_scan_stateINS0_5tupleIJlbEEELb0ELb0EEENS1_16block_id_wrapperIjLb1EEEEEvT_jjPNS9_10value_typeET0_: ; @_ZN7rocprim17ROCPRIM_400000_NS6detail30init_device_scan_by_key_kernelINS1_19lookback_scan_stateINS0_5tupleIJlbEEELb0ELb0EEENS1_16block_id_wrapperIjLb1EEEEEvT_jjPNS9_10value_typeET0_
; %bb.0:
	s_load_dword s3, s[0:1], 0x3c
	s_load_dwordx8 s[4:11], s[0:1], 0x10
	s_waitcnt lgkmcnt(0)
	s_and_b32 s3, s3, 0xffff
	s_mul_i32 s2, s2, s3
	s_cmp_eq_u64 s[8:9], 0
	v_add_u32_e32 v0, s2, v0
	s_cbranch_scc1 .LBB126_6
; %bb.1:
	s_cmp_lt_u32 s7, s6
	s_cselect_b32 s2, s7, 0
	s_mov_b32 s17, 0
	v_cmp_eq_u32_e32 vcc, s2, v0
	s_and_saveexec_b64 s[2:3], vcc
	s_cbranch_execz .LBB126_5
; %bb.2:
	s_add_i32 s16, s7, 64
	v_mov_b32_e32 v1, s16
	global_load_ubyte v2, v1, s[4:5] sc1
	s_load_dwordx4 s[12:15], s[0:1], 0x0
	v_mov_b32_e32 v1, 0
	s_add_u32 s0, s4, s16
	s_addc_u32 s1, s5, 0
	s_waitcnt vmcnt(0)
	v_cmp_ne_u32_sdwa s[18:19], v2, v1 src0_sel:WORD_0 src1_sel:DWORD
	s_and_b64 vcc, exec, s[18:19]
	v_readfirstlane_b32 s7, v2
	s_cbranch_vccnz .LBB126_4
.LBB126_3:                              ; =>This Inner Loop Header: Depth=1
	global_load_ubyte v2, v1, s[0:1] sc1
	s_waitcnt vmcnt(0)
	v_cmp_eq_u32_sdwa s[18:19], v2, v1 src0_sel:WORD_0 src1_sel:DWORD
	s_and_b64 vcc, exec, s[18:19]
	v_readfirstlane_b32 s7, v2
	s_cbranch_vccnz .LBB126_3
.LBB126_4:
	s_and_b32 s0, 0xffff, s7
	s_cmp_eq_u32 s0, 1
	s_waitcnt lgkmcnt(0)
	s_cselect_b32 s7, s13, s15
	s_cselect_b32 s12, s12, s14
	s_lshl_b64 s[0:1], s[16:17], 4
	s_add_u32 s0, s12, s0
	s_addc_u32 s1, s7, s1
	v_mov_b32_e32 v1, 0
	s_waitcnt vmcnt(0)
	global_load_dword v4, v1, s[0:1] sc1
	global_load_dword v5, v1, s[0:1] offset:4 sc1
	global_load_dword v2, v1, s[0:1] offset:8 sc1
	global_load_dword v3, v1, s[0:1] offset:12 sc1
	s_waitcnt vmcnt(2)
	global_store_dwordx2 v1, v[4:5], s[8:9]
	s_waitcnt vmcnt(2)
	global_store_byte v1, v2, s[8:9] offset:8
.LBB126_5:
	s_or_b64 exec, exec, s[2:3]
.LBB126_6:
	v_cmp_eq_u32_e32 vcc, 0, v0
	s_and_saveexec_b64 s[0:1], vcc
	s_cbranch_execnz .LBB126_10
; %bb.7:
	s_or_b64 exec, exec, s[0:1]
	v_cmp_gt_u32_e32 vcc, s6, v0
	s_and_saveexec_b64 s[0:1], vcc
	s_cbranch_execnz .LBB126_11
.LBB126_8:
	s_or_b64 exec, exec, s[0:1]
	v_cmp_gt_u32_e32 vcc, 64, v0
	s_and_saveexec_b64 s[0:1], vcc
	s_cbranch_execnz .LBB126_12
.LBB126_9:
	s_endpgm
.LBB126_10:
	v_mov_b32_e32 v1, 0
	global_store_dword v1, v1, s[10:11]
	s_or_b64 exec, exec, s[0:1]
	v_cmp_gt_u32_e32 vcc, s6, v0
	s_and_saveexec_b64 s[0:1], vcc
	s_cbranch_execz .LBB126_8
.LBB126_11:
	v_add_u32_e32 v1, 64, v0
	v_mov_b32_e32 v2, 0
	global_store_byte v1, v2, s[4:5]
	s_or_b64 exec, exec, s[0:1]
	v_cmp_gt_u32_e32 vcc, 64, v0
	s_and_saveexec_b64 s[0:1], vcc
	s_cbranch_execz .LBB126_9
.LBB126_12:
	v_mov_b32_e32 v1, 0xff
	global_store_byte v0, v1, s[4:5]
	s_endpgm
	.section	.rodata,"a",@progbits
	.p2align	6, 0x0
	.amdhsa_kernel _ZN7rocprim17ROCPRIM_400000_NS6detail30init_device_scan_by_key_kernelINS1_19lookback_scan_stateINS0_5tupleIJlbEEELb0ELb0EEENS1_16block_id_wrapperIjLb1EEEEEvT_jjPNS9_10value_typeET0_
		.amdhsa_group_segment_fixed_size 0
		.amdhsa_private_segment_fixed_size 0
		.amdhsa_kernarg_size 304
		.amdhsa_user_sgpr_count 2
		.amdhsa_user_sgpr_dispatch_ptr 0
		.amdhsa_user_sgpr_queue_ptr 0
		.amdhsa_user_sgpr_kernarg_segment_ptr 1
		.amdhsa_user_sgpr_dispatch_id 0
		.amdhsa_user_sgpr_kernarg_preload_length 0
		.amdhsa_user_sgpr_kernarg_preload_offset 0
		.amdhsa_user_sgpr_private_segment_size 0
		.amdhsa_uses_dynamic_stack 0
		.amdhsa_enable_private_segment 0
		.amdhsa_system_sgpr_workgroup_id_x 1
		.amdhsa_system_sgpr_workgroup_id_y 0
		.amdhsa_system_sgpr_workgroup_id_z 0
		.amdhsa_system_sgpr_workgroup_info 0
		.amdhsa_system_vgpr_workitem_id 0
		.amdhsa_next_free_vgpr 6
		.amdhsa_next_free_sgpr 20
		.amdhsa_accum_offset 8
		.amdhsa_reserve_vcc 1
		.amdhsa_float_round_mode_32 0
		.amdhsa_float_round_mode_16_64 0
		.amdhsa_float_denorm_mode_32 3
		.amdhsa_float_denorm_mode_16_64 3
		.amdhsa_dx10_clamp 1
		.amdhsa_ieee_mode 1
		.amdhsa_fp16_overflow 0
		.amdhsa_tg_split 0
		.amdhsa_exception_fp_ieee_invalid_op 0
		.amdhsa_exception_fp_denorm_src 0
		.amdhsa_exception_fp_ieee_div_zero 0
		.amdhsa_exception_fp_ieee_overflow 0
		.amdhsa_exception_fp_ieee_underflow 0
		.amdhsa_exception_fp_ieee_inexact 0
		.amdhsa_exception_int_div_zero 0
	.end_amdhsa_kernel
	.section	.text._ZN7rocprim17ROCPRIM_400000_NS6detail30init_device_scan_by_key_kernelINS1_19lookback_scan_stateINS0_5tupleIJlbEEELb0ELb0EEENS1_16block_id_wrapperIjLb1EEEEEvT_jjPNS9_10value_typeET0_,"axG",@progbits,_ZN7rocprim17ROCPRIM_400000_NS6detail30init_device_scan_by_key_kernelINS1_19lookback_scan_stateINS0_5tupleIJlbEEELb0ELb0EEENS1_16block_id_wrapperIjLb1EEEEEvT_jjPNS9_10value_typeET0_,comdat
.Lfunc_end126:
	.size	_ZN7rocprim17ROCPRIM_400000_NS6detail30init_device_scan_by_key_kernelINS1_19lookback_scan_stateINS0_5tupleIJlbEEELb0ELb0EEENS1_16block_id_wrapperIjLb1EEEEEvT_jjPNS9_10value_typeET0_, .Lfunc_end126-_ZN7rocprim17ROCPRIM_400000_NS6detail30init_device_scan_by_key_kernelINS1_19lookback_scan_stateINS0_5tupleIJlbEEELb0ELb0EEENS1_16block_id_wrapperIjLb1EEEEEvT_jjPNS9_10value_typeET0_
                                        ; -- End function
	.set _ZN7rocprim17ROCPRIM_400000_NS6detail30init_device_scan_by_key_kernelINS1_19lookback_scan_stateINS0_5tupleIJlbEEELb0ELb0EEENS1_16block_id_wrapperIjLb1EEEEEvT_jjPNS9_10value_typeET0_.num_vgpr, 6
	.set _ZN7rocprim17ROCPRIM_400000_NS6detail30init_device_scan_by_key_kernelINS1_19lookback_scan_stateINS0_5tupleIJlbEEELb0ELb0EEENS1_16block_id_wrapperIjLb1EEEEEvT_jjPNS9_10value_typeET0_.num_agpr, 0
	.set _ZN7rocprim17ROCPRIM_400000_NS6detail30init_device_scan_by_key_kernelINS1_19lookback_scan_stateINS0_5tupleIJlbEEELb0ELb0EEENS1_16block_id_wrapperIjLb1EEEEEvT_jjPNS9_10value_typeET0_.numbered_sgpr, 20
	.set _ZN7rocprim17ROCPRIM_400000_NS6detail30init_device_scan_by_key_kernelINS1_19lookback_scan_stateINS0_5tupleIJlbEEELb0ELb0EEENS1_16block_id_wrapperIjLb1EEEEEvT_jjPNS9_10value_typeET0_.num_named_barrier, 0
	.set _ZN7rocprim17ROCPRIM_400000_NS6detail30init_device_scan_by_key_kernelINS1_19lookback_scan_stateINS0_5tupleIJlbEEELb0ELb0EEENS1_16block_id_wrapperIjLb1EEEEEvT_jjPNS9_10value_typeET0_.private_seg_size, 0
	.set _ZN7rocprim17ROCPRIM_400000_NS6detail30init_device_scan_by_key_kernelINS1_19lookback_scan_stateINS0_5tupleIJlbEEELb0ELb0EEENS1_16block_id_wrapperIjLb1EEEEEvT_jjPNS9_10value_typeET0_.uses_vcc, 1
	.set _ZN7rocprim17ROCPRIM_400000_NS6detail30init_device_scan_by_key_kernelINS1_19lookback_scan_stateINS0_5tupleIJlbEEELb0ELb0EEENS1_16block_id_wrapperIjLb1EEEEEvT_jjPNS9_10value_typeET0_.uses_flat_scratch, 0
	.set _ZN7rocprim17ROCPRIM_400000_NS6detail30init_device_scan_by_key_kernelINS1_19lookback_scan_stateINS0_5tupleIJlbEEELb0ELb0EEENS1_16block_id_wrapperIjLb1EEEEEvT_jjPNS9_10value_typeET0_.has_dyn_sized_stack, 0
	.set _ZN7rocprim17ROCPRIM_400000_NS6detail30init_device_scan_by_key_kernelINS1_19lookback_scan_stateINS0_5tupleIJlbEEELb0ELb0EEENS1_16block_id_wrapperIjLb1EEEEEvT_jjPNS9_10value_typeET0_.has_recursion, 0
	.set _ZN7rocprim17ROCPRIM_400000_NS6detail30init_device_scan_by_key_kernelINS1_19lookback_scan_stateINS0_5tupleIJlbEEELb0ELb0EEENS1_16block_id_wrapperIjLb1EEEEEvT_jjPNS9_10value_typeET0_.has_indirect_call, 0
	.section	.AMDGPU.csdata,"",@progbits
; Kernel info:
; codeLenInByte = 392
; TotalNumSgprs: 26
; NumVgprs: 6
; NumAgprs: 0
; TotalNumVgprs: 6
; ScratchSize: 0
; MemoryBound: 0
; FloatMode: 240
; IeeeMode: 1
; LDSByteSize: 0 bytes/workgroup (compile time only)
; SGPRBlocks: 3
; VGPRBlocks: 0
; NumSGPRsForWavesPerEU: 26
; NumVGPRsForWavesPerEU: 6
; AccumOffset: 8
; Occupancy: 8
; WaveLimiterHint : 0
; COMPUTE_PGM_RSRC2:SCRATCH_EN: 0
; COMPUTE_PGM_RSRC2:USER_SGPR: 2
; COMPUTE_PGM_RSRC2:TRAP_HANDLER: 0
; COMPUTE_PGM_RSRC2:TGID_X_EN: 1
; COMPUTE_PGM_RSRC2:TGID_Y_EN: 0
; COMPUTE_PGM_RSRC2:TGID_Z_EN: 0
; COMPUTE_PGM_RSRC2:TIDIG_COMP_CNT: 0
; COMPUTE_PGM_RSRC3_GFX90A:ACCUM_OFFSET: 1
; COMPUTE_PGM_RSRC3_GFX90A:TG_SPLIT: 0
	.section	.text._ZN7rocprim17ROCPRIM_400000_NS6detail17trampoline_kernelINS0_14default_configENS1_27scan_by_key_config_selectorIllEEZZNS1_16scan_by_key_implILNS1_25lookback_scan_determinismE0ELb0ES3_PKlN6hipcub16HIPCUB_304000_NS21ConstantInputIteratorIllEEPllNSB_3SumENSB_8EqualityElEE10hipError_tPvRmT2_T3_T4_T5_mT6_T7_P12ihipStream_tbENKUlT_T0_E_clISt17integral_constantIbLb0EESW_IbLb1EEEEDaSS_ST_EUlSS_E_NS1_11comp_targetILNS1_3genE0ELNS1_11target_archE4294967295ELNS1_3gpuE0ELNS1_3repE0EEENS1_30default_config_static_selectorELNS0_4arch9wavefront6targetE1EEEvT1_,"axG",@progbits,_ZN7rocprim17ROCPRIM_400000_NS6detail17trampoline_kernelINS0_14default_configENS1_27scan_by_key_config_selectorIllEEZZNS1_16scan_by_key_implILNS1_25lookback_scan_determinismE0ELb0ES3_PKlN6hipcub16HIPCUB_304000_NS21ConstantInputIteratorIllEEPllNSB_3SumENSB_8EqualityElEE10hipError_tPvRmT2_T3_T4_T5_mT6_T7_P12ihipStream_tbENKUlT_T0_E_clISt17integral_constantIbLb0EESW_IbLb1EEEEDaSS_ST_EUlSS_E_NS1_11comp_targetILNS1_3genE0ELNS1_11target_archE4294967295ELNS1_3gpuE0ELNS1_3repE0EEENS1_30default_config_static_selectorELNS0_4arch9wavefront6targetE1EEEvT1_,comdat
	.protected	_ZN7rocprim17ROCPRIM_400000_NS6detail17trampoline_kernelINS0_14default_configENS1_27scan_by_key_config_selectorIllEEZZNS1_16scan_by_key_implILNS1_25lookback_scan_determinismE0ELb0ES3_PKlN6hipcub16HIPCUB_304000_NS21ConstantInputIteratorIllEEPllNSB_3SumENSB_8EqualityElEE10hipError_tPvRmT2_T3_T4_T5_mT6_T7_P12ihipStream_tbENKUlT_T0_E_clISt17integral_constantIbLb0EESW_IbLb1EEEEDaSS_ST_EUlSS_E_NS1_11comp_targetILNS1_3genE0ELNS1_11target_archE4294967295ELNS1_3gpuE0ELNS1_3repE0EEENS1_30default_config_static_selectorELNS0_4arch9wavefront6targetE1EEEvT1_ ; -- Begin function _ZN7rocprim17ROCPRIM_400000_NS6detail17trampoline_kernelINS0_14default_configENS1_27scan_by_key_config_selectorIllEEZZNS1_16scan_by_key_implILNS1_25lookback_scan_determinismE0ELb0ES3_PKlN6hipcub16HIPCUB_304000_NS21ConstantInputIteratorIllEEPllNSB_3SumENSB_8EqualityElEE10hipError_tPvRmT2_T3_T4_T5_mT6_T7_P12ihipStream_tbENKUlT_T0_E_clISt17integral_constantIbLb0EESW_IbLb1EEEEDaSS_ST_EUlSS_E_NS1_11comp_targetILNS1_3genE0ELNS1_11target_archE4294967295ELNS1_3gpuE0ELNS1_3repE0EEENS1_30default_config_static_selectorELNS0_4arch9wavefront6targetE1EEEvT1_
	.globl	_ZN7rocprim17ROCPRIM_400000_NS6detail17trampoline_kernelINS0_14default_configENS1_27scan_by_key_config_selectorIllEEZZNS1_16scan_by_key_implILNS1_25lookback_scan_determinismE0ELb0ES3_PKlN6hipcub16HIPCUB_304000_NS21ConstantInputIteratorIllEEPllNSB_3SumENSB_8EqualityElEE10hipError_tPvRmT2_T3_T4_T5_mT6_T7_P12ihipStream_tbENKUlT_T0_E_clISt17integral_constantIbLb0EESW_IbLb1EEEEDaSS_ST_EUlSS_E_NS1_11comp_targetILNS1_3genE0ELNS1_11target_archE4294967295ELNS1_3gpuE0ELNS1_3repE0EEENS1_30default_config_static_selectorELNS0_4arch9wavefront6targetE1EEEvT1_
	.p2align	8
	.type	_ZN7rocprim17ROCPRIM_400000_NS6detail17trampoline_kernelINS0_14default_configENS1_27scan_by_key_config_selectorIllEEZZNS1_16scan_by_key_implILNS1_25lookback_scan_determinismE0ELb0ES3_PKlN6hipcub16HIPCUB_304000_NS21ConstantInputIteratorIllEEPllNSB_3SumENSB_8EqualityElEE10hipError_tPvRmT2_T3_T4_T5_mT6_T7_P12ihipStream_tbENKUlT_T0_E_clISt17integral_constantIbLb0EESW_IbLb1EEEEDaSS_ST_EUlSS_E_NS1_11comp_targetILNS1_3genE0ELNS1_11target_archE4294967295ELNS1_3gpuE0ELNS1_3repE0EEENS1_30default_config_static_selectorELNS0_4arch9wavefront6targetE1EEEvT1_,@function
_ZN7rocprim17ROCPRIM_400000_NS6detail17trampoline_kernelINS0_14default_configENS1_27scan_by_key_config_selectorIllEEZZNS1_16scan_by_key_implILNS1_25lookback_scan_determinismE0ELb0ES3_PKlN6hipcub16HIPCUB_304000_NS21ConstantInputIteratorIllEEPllNSB_3SumENSB_8EqualityElEE10hipError_tPvRmT2_T3_T4_T5_mT6_T7_P12ihipStream_tbENKUlT_T0_E_clISt17integral_constantIbLb0EESW_IbLb1EEEEDaSS_ST_EUlSS_E_NS1_11comp_targetILNS1_3genE0ELNS1_11target_archE4294967295ELNS1_3gpuE0ELNS1_3repE0EEENS1_30default_config_static_selectorELNS0_4arch9wavefront6targetE1EEEvT1_: ; @_ZN7rocprim17ROCPRIM_400000_NS6detail17trampoline_kernelINS0_14default_configENS1_27scan_by_key_config_selectorIllEEZZNS1_16scan_by_key_implILNS1_25lookback_scan_determinismE0ELb0ES3_PKlN6hipcub16HIPCUB_304000_NS21ConstantInputIteratorIllEEPllNSB_3SumENSB_8EqualityElEE10hipError_tPvRmT2_T3_T4_T5_mT6_T7_P12ihipStream_tbENKUlT_T0_E_clISt17integral_constantIbLb0EESW_IbLb1EEEEDaSS_ST_EUlSS_E_NS1_11comp_targetILNS1_3genE0ELNS1_11target_archE4294967295ELNS1_3gpuE0ELNS1_3repE0EEENS1_30default_config_static_selectorELNS0_4arch9wavefront6targetE1EEEvT1_
; %bb.0:
	s_load_dwordx4 s[8:11], s[0:1], 0x0
	s_load_dwordx2 s[12:13], s[0:1], 0x10
	s_load_dwordx2 s[38:39], s[0:1], 0x20
	s_load_dwordx8 s[40:47], s[0:1], 0x38
	s_load_dwordx2 s[58:59], s[0:1], 0x58
	v_cmp_ne_u32_e64 s[4:5], 0, v0
	v_cmp_eq_u32_e64 s[36:37], 0, v0
	s_and_saveexec_b64 s[2:3], s[36:37]
	s_cbranch_execz .LBB127_4
; %bb.1:
	s_mov_b64 s[14:15], exec
	v_mbcnt_lo_u32_b32 v1, s14, 0
	v_mbcnt_hi_u32_b32 v1, s15, v1
	v_cmp_eq_u32_e32 vcc, 0, v1
                                        ; implicit-def: $vgpr2
	s_and_saveexec_b64 s[6:7], vcc
	s_cbranch_execz .LBB127_3
; %bb.2:
	s_load_dwordx2 s[16:17], s[0:1], 0x88
	s_bcnt1_i32_b64 s14, s[14:15]
	v_mov_b32_e32 v2, 0
	v_mov_b32_e32 v3, s14
	s_waitcnt lgkmcnt(0)
	global_atomic_add v2, v2, v3, s[16:17] sc0
.LBB127_3:
	s_or_b64 exec, exec, s[6:7]
	s_waitcnt vmcnt(0)
	v_readfirstlane_b32 s6, v2
	v_mov_b32_e32 v2, 0
	s_nop 0
	v_add_u32_e32 v1, s6, v1
	ds_write_b32 v2, v1
.LBB127_4:
	s_or_b64 exec, exec, s[2:3]
	s_load_dword s2, s[0:1], 0x60
	s_load_dwordx8 s[48:55], s[0:1], 0x68
	v_mov_b32_e32 v1, 0
	s_waitcnt lgkmcnt(0)
	s_barrier
	ds_read_b32 v2, v1
	s_mul_i32 s0, s59, s2
	s_mul_hi_u32 s1, s58, s2
	s_add_i32 s6, s1, s0
	s_lshl_b64 s[56:57], s[10:11], 3
	s_add_u32 s8, s8, s56
	s_addc_u32 s9, s9, s57
	s_waitcnt lgkmcnt(0)
	v_readfirstlane_b32 s47, v2
	s_mul_i32 s7, s58, s2
	s_cmp_lg_u64 s[52:53], 0
	s_mov_b32 s3, 0
	s_mul_i32 s2, s47, 0xe00
	s_cselect_b64 s[14:15], -1, 0
	s_lshl_b64 s[52:53], s[2:3], 3
	s_add_u32 s10, s8, s52
	s_addc_u32 s11, s9, s53
	s_add_u32 s16, s7, s47
	s_addc_u32 s17, s6, 0
	s_add_u32 s6, s48, -1
	s_addc_u32 s7, s49, -1
	v_mov_b64_e32 v[2:3], s[6:7]
	v_cmp_ge_u64_e64 s[2:3], s[16:17], v[2:3]
	s_mov_b64 s[0:1], 0
	s_mov_b64 s[20:21], -1
	s_and_b64 vcc, exec, s[2:3]
	s_mul_i32 s33, s6, 0xfffff200
	s_barrier
	s_barrier
	s_cbranch_vccz .LBB127_36
; %bb.5:
	global_load_dwordx2 v[2:3], v1, s[10:11]
	s_add_i32 s70, s33, s46
	v_cmp_gt_u32_e32 vcc, s70, v0
	s_waitcnt vmcnt(0)
	v_mov_b64_e32 v[4:5], v[2:3]
	s_and_saveexec_b64 s[0:1], vcc
	s_cbranch_execz .LBB127_7
; %bb.6:
	v_lshlrev_b32_e32 v1, 3, v0
	global_load_dwordx2 v[4:5], v1, s[10:11]
.LBB127_7:
	s_or_b64 exec, exec, s[0:1]
	v_or_b32_e32 v1, 0x100, v0
	v_cmp_gt_u32_e32 vcc, s70, v1
	v_mov_b64_e32 v[6:7], v[2:3]
	s_and_saveexec_b64 s[0:1], vcc
	s_cbranch_execz .LBB127_9
; %bb.8:
	v_lshlrev_b32_e32 v1, 3, v0
	global_load_dwordx2 v[6:7], v1, s[10:11] offset:2048
.LBB127_9:
	s_or_b64 exec, exec, s[0:1]
	v_or_b32_e32 v1, 0x200, v0
	v_cmp_gt_u32_e32 vcc, s70, v1
	v_mov_b64_e32 v[8:9], v[2:3]
	s_and_saveexec_b64 s[0:1], vcc
	s_cbranch_execz .LBB127_11
; %bb.10:
	v_lshlrev_b32_e32 v1, 3, v1
	global_load_dwordx2 v[8:9], v1, s[10:11]
.LBB127_11:
	s_or_b64 exec, exec, s[0:1]
	v_or_b32_e32 v1, 0x300, v0
	v_cmp_gt_u32_e32 vcc, s70, v1
	v_mov_b64_e32 v[10:11], v[2:3]
	s_and_saveexec_b64 s[0:1], vcc
	s_cbranch_execz .LBB127_13
; %bb.12:
	v_lshlrev_b32_e32 v1, 3, v1
	global_load_dwordx2 v[10:11], v1, s[10:11]
.LBB127_13:
	;; [unrolled: 10-line block ×11, first 2 shown]
	s_or_b64 exec, exec, s[0:1]
	v_or_b32_e32 v1, 0xd00, v0
	v_cmp_gt_u32_e32 vcc, s70, v1
	s_and_saveexec_b64 s[0:1], vcc
	s_cbranch_execz .LBB127_33
; %bb.32:
	v_lshlrev_b32_e32 v1, 3, v1
	global_load_dwordx2 v[2:3], v1, s[10:11]
.LBB127_33:
	s_or_b64 exec, exec, s[0:1]
	v_lshlrev_b32_e32 v1, 3, v0
	s_movk_i32 s0, 0x68
	s_waitcnt vmcnt(0)
	ds_write2st64_b64 v1, v[4:5], v[6:7] offset1:4
	ds_write2st64_b64 v1, v[8:9], v[10:11] offset0:8 offset1:12
	ds_write2st64_b64 v1, v[12:13], v[14:15] offset0:16 offset1:20
	ds_write2st64_b64 v1, v[16:17], v[18:19] offset0:24 offset1:28
	ds_write2st64_b64 v1, v[20:21], v[22:23] offset0:32 offset1:36
	ds_write2st64_b64 v1, v[24:25], v[26:27] offset0:40 offset1:44
	ds_write2st64_b64 v1, v[28:29], v[2:3] offset0:48 offset1:52
	v_mad_u32_u24 v20, v0, s0, v1
	s_waitcnt lgkmcnt(0)
	s_barrier
	ds_read_b128 v[60:63], v20 offset:16
	ds_read2_b64 v[44:47], v20 offset0:3 offset1:4
	ds_read_b128 v[52:55], v20
	ds_read2_b64 v[56:59], v20 offset0:1 offset1:2
	ds_read2_b64 v[36:39], v20 offset0:7 offset1:8
	;; [unrolled: 1-line block ×5, first 2 shown]
	ds_read_b64 v[66:67], v20 offset:104
	s_cmp_eq_u64 s[16:17], 0
	s_mov_b64 s[0:1], s[10:11]
	s_cbranch_scc1 .LBB127_39
; %bb.34:
	s_add_u32 s0, s10, -8
	s_addc_u32 s1, s11, -1
	s_andn2_b64 vcc, exec, s[14:15]
	s_cbranch_vccnz .LBB127_37
; %bb.35:
	s_lshl_b64 s[0:1], s[16:17], 3
	s_add_u32 s0, s54, s0
	s_addc_u32 s1, s55, s1
	s_add_u32 s0, s0, -8
	s_addc_u32 s1, s1, -1
	s_mov_b64 s[6:7], 0
	s_branch .LBB127_38
.LBB127_36:
                                        ; implicit-def: $sgpr18_sgpr19
                                        ; implicit-def: $vgpr84
                                        ; implicit-def: $vgpr81
                                        ; implicit-def: $vgpr83
                                        ; implicit-def: $vgpr82
                                        ; implicit-def: $vgpr87
                                        ; implicit-def: $vgpr80
                                        ; implicit-def: $vgpr86
                                        ; implicit-def: $vgpr85
                                        ; implicit-def: $vgpr20_vgpr21
                                        ; implicit-def: $vgpr92_vgpr93
                                        ; implicit-def: $vgpr96_vgpr97
                                        ; implicit-def: $vgpr100_vgpr101
                                        ; implicit-def: $vgpr104_vgpr105
                                        ; implicit-def: $vgpr108_vgpr109
                                        ; implicit-def: $vgpr4_vgpr5
                                        ; implicit-def: $vgpr71
                                        ; implicit-def: $vgpr70
                                        ; implicit-def: $vgpr1
                                        ; implicit-def: $vgpr69
                                        ; implicit-def: $vgpr68
                                        ; implicit-def: $vgpr75
                                        ; implicit-def: $vgpr73
                                        ; implicit-def: $vgpr74
                                        ; implicit-def: $vgpr72
                                        ; implicit-def: $vgpr79
                                        ; implicit-def: $vgpr78
                                        ; implicit-def: $vgpr77
                                        ; implicit-def: $vgpr76
                                        ; implicit-def: $vgpr30_vgpr31
                                        ; implicit-def: $vgpr64_vgpr65
                                        ; implicit-def: $vgpr26_vgpr27
                                        ; implicit-def: $vgpr28_vgpr29
                                        ; implicit-def: $vgpr22_vgpr23
                                        ; implicit-def: $vgpr24_vgpr25
                                        ; implicit-def: $vgpr14_vgpr15
                                        ; implicit-def: $vgpr16_vgpr17
                                        ; implicit-def: $vgpr10_vgpr11
                                        ; implicit-def: $vgpr12_vgpr13
                                        ; implicit-def: $vgpr6_vgpr7
	s_and_b64 vcc, exec, s[20:21]
	v_lshlrev_b32_e32 v60, 3, v0
	s_cbranch_vccnz .LBB127_68
	s_branch .LBB127_76
.LBB127_37:
	s_mov_b64 s[6:7], -1
.LBB127_38:
	s_andn2_b64 vcc, exec, s[6:7]
.LBB127_39:
	v_mov_b32_e32 v71, 0
	global_load_dwordx2 v[8:9], v71, s[0:1]
	s_movk_i32 s0, 0xff98
	v_mad_i32_i24 v2, v0, s0, v20
	s_waitcnt lgkmcnt(0)
	ds_write_b64 v2, v[66:67] offset:28672
	s_waitcnt lgkmcnt(0)
	s_barrier
	s_and_saveexec_b64 s[0:1], s[4:5]
	s_cbranch_execz .LBB127_41
; %bb.40:
	v_mul_i32_i24_e32 v2, 0xffffff98, v0
	v_add_u32_e32 v2, v20, v2
	s_waitcnt vmcnt(0)
	ds_read_b64 v[8:9], v2 offset:28664
.LBB127_41:
	s_or_b64 exec, exec, s[0:1]
	v_mul_u32_u24_e32 v88, 14, v0
	v_mov_b64_e32 v[2:3], s[12:13]
	s_waitcnt lgkmcnt(0)
	s_barrier
	ds_write2st64_b64 v1, v[2:3], v[2:3] offset1:4
	ds_write2st64_b64 v1, v[2:3], v[2:3] offset0:8 offset1:12
	ds_write2st64_b64 v1, v[2:3], v[2:3] offset0:16 offset1:20
	;; [unrolled: 1-line block ×6, first 2 shown]
	v_cmp_gt_u32_e32 vcc, s70, v88
	v_mov_b32_e32 v84, 0
	s_mov_b64 s[20:21], 0
	v_mov_b64_e32 v[92:93], 0
	s_mov_b64 s[0:1], 0
	v_mov_b32_e32 v81, 0
	v_mov_b32_e32 v83, 0
	;; [unrolled: 1-line block ×7, first 2 shown]
	v_mov_b64_e32 v[90:91], 0
	v_mov_b64_e32 v[96:97], 0
	;; [unrolled: 1-line block ×11, first 2 shown]
	v_mov_b32_e32 v70, 0
	v_mov_b32_e32 v1, 0
	;; [unrolled: 1-line block ×12, first 2 shown]
	v_mov_b64_e32 v[18:19], 0
	v_mov_b64_e32 v[30:31], 0
	;; [unrolled: 1-line block ×12, first 2 shown]
	s_waitcnt lgkmcnt(0)
	s_barrier
                                        ; implicit-def: $sgpr18_sgpr19
	s_and_saveexec_b64 s[22:23], vcc
	s_cbranch_execz .LBB127_67
; %bb.42:
	ds_read_b64 v[2:3], v20
	v_or_b32_e32 v1, 1, v88
	s_waitcnt vmcnt(0)
	v_cmp_ne_u64_e32 vcc, v[8:9], v[52:53]
	v_cmp_gt_u32_e64 s[0:1], s70, v1
	v_mov_b32_e32 v84, 0
	s_mov_b64 s[6:7], 0
	v_mov_b64_e32 v[92:93], 0
	v_mov_b32_e32 v81, 0
	v_mov_b32_e32 v83, 0
	;; [unrolled: 1-line block ×7, first 2 shown]
	v_mov_b64_e32 v[90:91], 0
	v_mov_b64_e32 v[96:97], 0
	;; [unrolled: 1-line block ×10, first 2 shown]
	v_mov_b32_e32 v70, 0
	v_mov_b32_e32 v1, 0
	;; [unrolled: 1-line block ×12, first 2 shown]
	v_mov_b64_e32 v[18:19], 0
	v_mov_b64_e32 v[30:31], 0
	;; [unrolled: 1-line block ×12, first 2 shown]
                                        ; implicit-def: $sgpr18_sgpr19
	s_and_saveexec_b64 s[24:25], s[0:1]
	s_cbranch_execz .LBB127_66
; %bb.43:
	ds_read2_b64 v[6:9], v20 offset0:1 offset1:2
	v_cmp_ne_u64_e64 s[0:1], v[54:55], v[58:59]
	v_cmp_ne_u64_e64 s[6:7], v[60:61], v[44:45]
	;; [unrolled: 1-line block ×3, first 2 shown]
	v_cndmask_b32_e64 v1, 0, 1, s[0:1]
	v_lshlrev_b16_e32 v4, 8, v1
	v_cmp_ne_u64_e64 s[0:1], v[52:53], v[56:57]
	v_add_u32_e32 v1, 2, v88
	v_mov_b32_e32 v84, 0
	v_cndmask_b32_e64 v5, 0, 1, s[0:1]
	v_cmp_gt_u32_e64 s[0:1], s70, v1
	s_mov_b64 s[28:29], 0
	v_mov_b64_e32 v[92:93], 0
	v_mov_b32_e32 v81, 0
	v_mov_b32_e32 v83, 0
	v_mov_b32_e32 v82, 0
	v_mov_b32_e32 v80, 0
	v_mov_b32_e32 v86, 0
	v_mov_b32_e32 v85, 0
	v_mov_b64_e32 v[90:91], 0
	v_mov_b64_e32 v[96:97], 0
	;; [unrolled: 1-line block ×9, first 2 shown]
	v_mov_b32_e32 v70, 0
	v_mov_b32_e32 v1, 0
	;; [unrolled: 1-line block ×11, first 2 shown]
	v_mov_b64_e32 v[18:19], 0
	v_mov_b64_e32 v[30:31], 0
	;; [unrolled: 1-line block ×11, first 2 shown]
                                        ; implicit-def: $sgpr18_sgpr19
	s_and_saveexec_b64 s[26:27], s[0:1]
	s_cbranch_execz .LBB127_65
; %bb.44:
	v_cndmask_b32_e64 v1, 0, 1, s[8:9]
	v_lshlrev_b16_e32 v1, 8, v1
	v_cndmask_b32_e64 v10, 0, 1, s[6:7]
	v_or_b32_e32 v44, v10, v1
	v_lshlrev_b32_e32 v45, 16, v44
	v_or_b32_e32 v1, v4, v45
	v_lshrrev_b32_e32 v80, 8, v1
	v_add_u32_e32 v1, 3, v88
	v_cmp_gt_u32_e64 s[0:1], s70, v1
	v_mov_b32_e32 v84, 0
	s_mov_b64 s[6:7], 0
	v_mov_b64_e32 v[92:93], 0
	v_mov_b32_e32 v81, 0
	v_mov_b32_e32 v83, 0
	v_mov_b32_e32 v82, 0
	v_mov_b32_e32 v86, 0
	v_mov_b32_e32 v85, 0
	v_mov_b64_e32 v[90:91], 0
	v_mov_b64_e32 v[96:97], 0
	;; [unrolled: 1-line block ×8, first 2 shown]
	v_mov_b32_e32 v70, 0
	v_mov_b32_e32 v1, 0
	;; [unrolled: 1-line block ×10, first 2 shown]
	v_mov_b64_e32 v[18:19], 0
	v_mov_b64_e32 v[30:31], 0
	;; [unrolled: 1-line block ×10, first 2 shown]
                                        ; implicit-def: $sgpr18_sgpr19
	s_and_saveexec_b64 s[28:29], s[0:1]
	s_cbranch_execz .LBB127_64
; %bb.45:
	ds_read2_b64 v[10:13], v20 offset0:3 offset1:4
	v_add_u32_e32 v1, 4, v88
	v_cmp_gt_u32_e64 s[0:1], s70, v1
	v_mov_b32_e32 v84, 0
	v_mov_b64_e32 v[92:93], 0
	v_mov_b32_e32 v81, 0
	v_mov_b32_e32 v83, 0
	;; [unrolled: 1-line block ×4, first 2 shown]
	v_mov_b64_e32 v[90:91], 0
	v_mov_b64_e32 v[96:97], 0
	;; [unrolled: 1-line block ×7, first 2 shown]
	v_mov_b32_e32 v70, 0
	v_mov_b32_e32 v1, 0
	;; [unrolled: 1-line block ×9, first 2 shown]
	v_mov_b64_e32 v[18:19], 0
	v_mov_b64_e32 v[30:31], 0
	;; [unrolled: 1-line block ×9, first 2 shown]
                                        ; implicit-def: $sgpr18_sgpr19
	s_and_saveexec_b64 s[30:31], s[0:1]
	s_cbranch_execz .LBB127_63
; %bb.46:
	v_add_u32_e32 v1, 5, v88
	v_cmp_gt_u32_e64 s[0:1], s70, v1
	v_mov_b32_e32 v84, 0
	v_mov_b64_e32 v[92:93], 0
	v_mov_b32_e32 v81, 0
	v_mov_b32_e32 v83, 0
	;; [unrolled: 1-line block ×3, first 2 shown]
	v_mov_b64_e32 v[90:91], 0
	v_mov_b64_e32 v[96:97], 0
	;; [unrolled: 1-line block ×6, first 2 shown]
	v_mov_b32_e32 v70, 0
	v_mov_b32_e32 v1, 0
	;; [unrolled: 1-line block ×7, first 2 shown]
	v_mov_b64_e32 v[18:19], 0
	v_mov_b64_e32 v[30:31], 0
	;; [unrolled: 1-line block ×8, first 2 shown]
                                        ; implicit-def: $sgpr18_sgpr19
	s_and_saveexec_b64 s[34:35], s[0:1]
	s_cbranch_execz .LBB127_62
; %bb.47:
	ds_read2_b64 v[14:17], v20 offset0:5 offset1:6
	v_cmp_ne_u64_e64 s[0:1], v[48:49], v[50:51]
	v_cmp_ne_u64_e64 s[6:7], v[50:51], v[36:37]
	;; [unrolled: 1-line block ×3, first 2 shown]
	v_cndmask_b32_e64 v1, 0, 1, s[0:1]
	v_lshlrev_b16_e32 v36, 8, v1
	v_cmp_ne_u64_e64 s[0:1], v[46:47], v[48:49]
	v_add_u32_e32 v1, 6, v88
	v_mov_b32_e32 v81, 0
	v_cndmask_b32_e64 v37, 0, 1, s[0:1]
	v_cmp_gt_u32_e64 s[0:1], s70, v1
	s_mov_b64 s[60:61], 0
	v_mov_b64_e32 v[92:93], 0
	v_mov_b32_e32 v83, 0
	v_mov_b32_e32 v82, 0
	v_mov_b64_e32 v[90:91], 0
	v_mov_b64_e32 v[96:97], 0
	;; [unrolled: 1-line block ×5, first 2 shown]
	v_mov_b32_e32 v70, 0
	v_mov_b32_e32 v1, 0
	;; [unrolled: 1-line block ×7, first 2 shown]
	v_mov_b64_e32 v[18:19], 0
	v_mov_b64_e32 v[30:31], 0
	;; [unrolled: 1-line block ×7, first 2 shown]
                                        ; implicit-def: $sgpr18_sgpr19
	s_and_saveexec_b64 s[48:49], s[0:1]
	s_cbranch_execz .LBB127_61
; %bb.48:
	v_cndmask_b32_e64 v1, 0, 1, s[8:9]
	v_lshlrev_b16_e32 v1, 8, v1
	v_cndmask_b32_e64 v18, 0, 1, s[6:7]
	v_or_b32_e32 v46, v18, v1
	v_lshlrev_b32_e32 v47, 16, v46
	v_or_b32_e32 v1, v36, v47
	v_lshrrev_b32_e32 v81, 8, v1
	v_add_u32_e32 v1, 7, v88
	v_cmp_gt_u32_e64 s[0:1], s70, v1
	v_mov_b32_e32 v83, 0
	s_mov_b64 s[6:7], 0
	v_mov_b64_e32 v[92:93], 0
	v_mov_b32_e32 v82, 0
	v_mov_b64_e32 v[90:91], 0
	v_mov_b64_e32 v[96:97], 0
	;; [unrolled: 1-line block ×4, first 2 shown]
	v_mov_b32_e32 v70, 0
	v_mov_b32_e32 v1, 0
	;; [unrolled: 1-line block ×5, first 2 shown]
	v_mov_b64_e32 v[18:19], 0
	v_mov_b64_e32 v[30:31], 0
	v_mov_b64_e32 v[64:65], 0
	v_mov_b64_e32 v[26:27], 0
	v_mov_b64_e32 v[28:29], 0
	v_mov_b64_e32 v[22:23], 0
                                        ; implicit-def: $sgpr18_sgpr19
	s_and_saveexec_b64 s[60:61], s[0:1]
	s_cbranch_execz .LBB127_60
; %bb.49:
	ds_read2_b64 v[22:25], v20 offset0:7 offset1:8
	v_add_u32_e32 v1, 8, v88
	v_cmp_gt_u32_e64 s[0:1], s70, v1
	v_mov_b32_e32 v82, 0
	v_mov_b64_e32 v[92:93], 0
	v_mov_b64_e32 v[90:91], 0
	;; [unrolled: 1-line block ×4, first 2 shown]
	v_mov_b32_e32 v70, 0
	v_mov_b32_e32 v1, 0
	;; [unrolled: 1-line block ×4, first 2 shown]
	v_mov_b64_e32 v[18:19], 0
	v_mov_b64_e32 v[30:31], 0
	;; [unrolled: 1-line block ×5, first 2 shown]
                                        ; implicit-def: $sgpr18_sgpr19
	s_and_saveexec_b64 s[62:63], s[0:1]
	s_cbranch_execz .LBB127_59
; %bb.50:
	v_add_u32_e32 v1, 9, v88
	v_cmp_gt_u32_e64 s[0:1], s70, v1
	v_mov_b32_e32 v70, 0
	v_mov_b64_e32 v[92:93], 0
	v_mov_b64_e32 v[90:91], 0
	;; [unrolled: 1-line block ×3, first 2 shown]
	v_mov_b32_e32 v1, 0
	v_mov_b32_e32 v69, 0
	;; [unrolled: 1-line block ×3, first 2 shown]
	v_mov_b64_e32 v[18:19], 0
	v_mov_b64_e32 v[30:31], 0
	;; [unrolled: 1-line block ×4, first 2 shown]
                                        ; implicit-def: $sgpr18_sgpr19
	s_and_saveexec_b64 s[64:65], s[0:1]
	s_cbranch_execz .LBB127_58
; %bb.51:
	ds_read2_b64 v[26:29], v20 offset0:9 offset1:10
	v_cmp_ne_u64_e64 s[8:9], v[40:41], v[42:43]
	v_cmp_ne_u64_e64 s[0:1], v[42:43], v[32:33]
	;; [unrolled: 1-line block ×3, first 2 shown]
	v_cndmask_b32_e64 v1, 0, 1, s[8:9]
	v_lshlrev_b16_e32 v42, 8, v1
	v_cmp_ne_u64_e64 s[8:9], v[38:39], v[40:41]
	v_add_u32_e32 v1, 10, v88
	s_mov_b64 s[68:69], 0
	v_cndmask_b32_e64 v38, 0, 1, s[8:9]
	v_cmp_gt_u32_e64 s[8:9], s70, v1
	v_mov_b32_e32 v1, 0
	v_mov_b64_e32 v[92:93], 0
	v_mov_b64_e32 v[90:91], 0
	v_mov_b32_e32 v69, 0
	v_mov_b32_e32 v68, 0
	v_mov_b64_e32 v[18:19], 0
	v_mov_b64_e32 v[30:31], 0
	;; [unrolled: 1-line block ×3, first 2 shown]
                                        ; implicit-def: $sgpr18_sgpr19
	s_and_saveexec_b64 s[66:67], s[8:9]
	s_cbranch_execz .LBB127_57
; %bb.52:
	v_cndmask_b32_e64 v1, 0, 1, s[6:7]
	v_lshlrev_b16_e32 v1, 8, v1
	v_cndmask_b32_e64 v18, 0, 1, s[0:1]
	v_or_b32_e32 v39, v18, v1
	v_lshlrev_b32_e32 v21, 16, v39
	v_or_b32_e32 v1, v42, v21
	v_add_u32_e32 v18, 11, v88
	v_lshrrev_b32_e32 v1, 8, v1
	v_cmp_gt_u32_e64 s[0:1], s70, v18
	v_mov_b32_e32 v69, 0
	s_mov_b64 s[8:9], 0
	v_mov_b64_e32 v[30:31], 0
	v_mov_b32_e32 v68, 0
	v_mov_b64_e32 v[18:19], 0
                                        ; implicit-def: $sgpr18_sgpr19
	s_and_saveexec_b64 s[6:7], s[0:1]
	s_cbranch_execz .LBB127_56
; %bb.53:
	ds_read2_b64 v[30:33], v20 offset0:11 offset1:12
	v_add_u32_e32 v18, 12, v88
	v_cmp_gt_u32_e64 s[0:1], s70, v18
	v_mov_b32_e32 v68, 0
	v_mov_b64_e32 v[18:19], 0
                                        ; implicit-def: $sgpr18_sgpr19
	s_and_saveexec_b64 s[68:69], s[0:1]
	s_xor_b64 s[68:69], exec, s[68:69]
	s_cbranch_execz .LBB127_55
; %bb.54:
	v_lshrrev_b32_e32 v68, 24, v21
	ds_read_b64 v[20:21], v20 offset:104
	v_add_u32_e32 v18, 13, v88
	v_cmp_gt_u32_e64 s[0:1], s70, v18
	v_cmp_ne_u64_e64 s[18:19], v[34:35], v[66:67]
	s_and_b64 s[8:9], s[0:1], exec
	s_waitcnt lgkmcnt(1)
	v_mov_b64_e32 v[18:19], v[32:33]
.LBB127_55:
	s_or_b64 exec, exec, s[68:69]
	s_and_b64 s[8:9], s[8:9], exec
	v_mov_b32_e32 v69, v39
.LBB127_56:
	s_or_b64 exec, exec, s[6:7]
	s_and_b64 s[68:69], s[8:9], exec
	s_waitcnt lgkmcnt(0)
	v_mov_b64_e32 v[92:93], v[30:31]
	v_mov_b64_e32 v[90:91], v[28:29]
	;; [unrolled: 1-line block ×3, first 2 shown]
.LBB127_57:
	s_or_b64 exec, exec, s[66:67]
	v_or_b32_e32 v70, v38, v42
	s_and_b64 s[6:7], s[68:69], exec
	s_waitcnt lgkmcnt(0)
	v_mov_b64_e32 v[96:97], v[26:27]
.LBB127_58:
	s_or_b64 exec, exec, s[64:65]
	v_lshrrev_b32_e32 v82, 24, v47
	s_and_b64 s[6:7], s[6:7], exec
	s_waitcnt lgkmcnt(0)
	v_mov_b64_e32 v[94:95], v[24:25]
	v_mov_b64_e32 v[28:29], v[24:25]
.LBB127_59:
	s_or_b64 exec, exec, s[62:63]
	s_and_b64 s[6:7], s[6:7], exec
	v_mov_b32_e32 v83, v46
	s_waitcnt lgkmcnt(0)
	v_mov_b64_e32 v[100:101], v[22:23]
	v_mov_b32_e32 v72, v82
.LBB127_60:
	s_or_b64 exec, exec, s[60:61]
	s_and_b64 s[60:61], s[6:7], exec
	s_waitcnt lgkmcnt(0)
	v_mov_b64_e32 v[98:99], v[16:17]
	v_mov_b32_e32 v73, v81
	v_mov_b32_e32 v74, v83
	v_mov_b64_e32 v[24:25], v[16:17]
.LBB127_61:
	s_or_b64 exec, exec, s[48:49]
	v_or_b32_e32 v84, v37, v36
	s_and_b64 s[6:7], s[60:61], exec
	s_waitcnt lgkmcnt(0)
	v_mov_b64_e32 v[104:105], v[14:15]
.LBB127_62:
	s_or_b64 exec, exec, s[34:35]
	v_lshrrev_b32_e32 v85, 24, v45
	s_and_b64 s[6:7], s[6:7], exec
	s_waitcnt lgkmcnt(0)
	v_mov_b64_e32 v[102:103], v[12:13]
	v_mov_b32_e32 v75, v84
	v_mov_b32_e32 v76, v85
	v_mov_b64_e32 v[16:17], v[12:13]
.LBB127_63:
	s_or_b64 exec, exec, s[30:31]
	s_and_b64 s[6:7], s[6:7], exec
	v_mov_b32_e32 v86, v44
	s_waitcnt lgkmcnt(0)
	v_mov_b64_e32 v[108:109], v[10:11]
	v_mov_b32_e32 v77, v44
.LBB127_64:
	s_or_b64 exec, exec, s[28:29]
	s_and_b64 s[28:29], s[6:7], exec
	s_waitcnt lgkmcnt(0)
	v_mov_b64_e32 v[106:107], v[8:9]
	v_mov_b32_e32 v78, v80
	v_mov_b64_e32 v[12:13], v[8:9]
.LBB127_65:
	s_or_b64 exec, exec, s[26:27]
	v_or_b32_e32 v87, v5, v4
	s_and_b64 s[6:7], s[28:29], exec
	s_waitcnt lgkmcnt(0)
	v_mov_b64_e32 v[4:5], v[6:7]
	v_mov_b32_e32 v79, v87
.LBB127_66:
	s_or_b64 exec, exec, s[24:25]
	v_cndmask_b32_e64 v71, 0, 1, vcc
	s_and_b64 s[0:1], s[6:7], exec
.LBB127_67:
	s_or_b64 exec, exec, s[22:23]
	s_and_b64 vcc, exec, s[20:21]
	v_lshlrev_b32_e32 v60, 3, v0
	s_cbranch_vccz .LBB127_76
.LBB127_68:
	v_mov_b32_e32 v61, 0
	s_waitcnt lgkmcnt(0)
	v_lshl_add_u64 v[2:3], s[10:11], 0, v[60:61]
	s_waitcnt vmcnt(0)
	v_add_co_u32_e32 v8, vcc, 0x1000, v2
	global_load_dwordx2 v[4:5], v60, s[10:11]
	global_load_dwordx2 v[6:7], v60, s[10:11] offset:2048
	v_addc_co_u32_e32 v9, vcc, 0, v3, vcc
	v_add_co_u32_e32 v10, vcc, 0x2000, v2
	s_movk_i32 s0, 0x68
	s_nop 0
	v_addc_co_u32_e32 v11, vcc, 0, v3, vcc
	global_load_dwordx2 v[12:13], v[8:9], off
	global_load_dwordx2 v[14:15], v[8:9], off offset:2048
	global_load_dwordx2 v[16:17], v[10:11], off
	global_load_dwordx2 v[18:19], v[10:11], off offset:2048
	v_add_co_u32_e32 v8, vcc, 0x3000, v2
	v_mad_u32_u24 v38, v0, s0, v60
	s_nop 0
	v_addc_co_u32_e32 v9, vcc, 0, v3, vcc
	v_add_co_u32_e32 v10, vcc, 0x4000, v2
	s_cmp_eq_u64 s[16:17], 0
	s_nop 0
	v_addc_co_u32_e32 v11, vcc, 0, v3, vcc
	global_load_dwordx2 v[20:21], v[8:9], off
	global_load_dwordx2 v[22:23], v[8:9], off offset:2048
	global_load_dwordx2 v[24:25], v[10:11], off
	global_load_dwordx2 v[26:27], v[10:11], off offset:2048
	v_add_co_u32_e32 v8, vcc, 0x5000, v2
	s_nop 1
	v_addc_co_u32_e32 v9, vcc, 0, v3, vcc
	v_add_co_u32_e32 v2, vcc, 0x6000, v2
	s_nop 1
	v_addc_co_u32_e32 v3, vcc, 0, v3, vcc
	global_load_dwordx2 v[10:11], v[8:9], off
	global_load_dwordx2 v[28:29], v[8:9], off offset:2048
	global_load_dwordx2 v[30:31], v[2:3], off
	global_load_dwordx2 v[32:33], v[2:3], off offset:2048
	s_waitcnt vmcnt(12)
	ds_write2st64_b64 v60, v[4:5], v[6:7] offset1:4
	s_waitcnt vmcnt(10)
	ds_write2st64_b64 v60, v[12:13], v[14:15] offset0:8 offset1:12
	s_waitcnt vmcnt(8)
	ds_write2st64_b64 v60, v[16:17], v[18:19] offset0:16 offset1:20
	;; [unrolled: 2-line block ×6, first 2 shown]
	s_waitcnt lgkmcnt(0)
	s_barrier
	ds_read_b128 v[6:9], v38 offset:16
	ds_read2_b64 v[10:13], v38 offset0:3 offset1:4
	ds_read_b128 v[2:5], v38
	ds_read2_b64 v[14:17], v38 offset0:1 offset1:2
	ds_read2_b64 v[18:21], v38 offset0:7 offset1:8
	;; [unrolled: 1-line block ×5, first 2 shown]
	ds_read_b64 v[36:37], v38 offset:104
	s_cbranch_scc1 .LBB127_73
; %bb.69:
	s_add_u32 s10, s10, -8
	s_addc_u32 s11, s11, -1
	s_andn2_b64 vcc, exec, s[14:15]
	s_cbranch_vccnz .LBB127_71
; %bb.70:
	s_lshl_b64 s[0:1], s[16:17], 3
	s_add_u32 s0, s54, s0
	s_addc_u32 s1, s55, s1
	s_add_u32 s10, s0, -8
	s_addc_u32 s11, s1, -1
	s_mov_b64 s[0:1], 0
	s_branch .LBB127_72
.LBB127_71:
	s_mov_b64 s[0:1], -1
.LBB127_72:
	s_andn2_b64 vcc, exec, s[0:1]
.LBB127_73:
	global_load_dwordx2 v[34:35], v61, s[10:11]
	s_movk_i32 s0, 0xff98
	v_mad_i32_i24 v1, v0, s0, v38
	s_waitcnt lgkmcnt(0)
	ds_write_b64 v1, v[36:37] offset:28672
	s_waitcnt lgkmcnt(0)
	s_barrier
	s_and_saveexec_b64 s[0:1], s[4:5]
	s_cbranch_execz .LBB127_75
; %bb.74:
	v_mul_i32_i24_e32 v1, 0xffffff98, v0
	v_add_u32_e32 v1, v38, v1
	s_waitcnt vmcnt(0)
	ds_read_b64 v[34:35], v1 offset:28664
.LBB127_75:
	s_or_b64 exec, exec, s[0:1]
	v_cmp_ne_u64_e32 vcc, v[30:31], v[32:33]
	v_cmp_ne_u64_e64 s[18:19], v[28:29], v[36:37]
	s_waitcnt lgkmcnt(0)
	v_cndmask_b32_e64 v1, 0, 1, vcc
	v_cmp_ne_u64_e32 vcc, v[20:21], v[30:31]
	v_lshlrev_b16_e32 v1, 8, v1
	s_barrier
	v_cndmask_b32_e64 v30, 0, 1, vcc
	v_cmp_ne_u64_e32 vcc, v[26:27], v[28:29]
	v_or_b32_e32 v70, v30, v1
	s_nop 0
	v_cndmask_b32_e64 v28, 0, 1, vcc
	v_cmp_ne_u64_e32 vcc, v[32:33], v[26:27]
	v_lshlrev_b16_e32 v28, 8, v28
	s_mov_b64 s[0:1], -1
	v_cndmask_b32_e64 v26, 0, 1, vcc
	v_or_b32_e32 v69, v26, v28
	v_lshlrev_b32_e32 v26, 16, v69
	v_cmp_ne_u64_e32 vcc, v[22:23], v[24:25]
	v_lshrrev_b32_e32 v68, 24, v26
	v_or_b32_e32 v1, v1, v26
	v_cndmask_b32_e64 v26, 0, 1, vcc
	v_cmp_ne_u64_e32 vcc, v[12:13], v[22:23]
	v_lshlrev_b16_e32 v26, 8, v26
	v_lshrrev_b32_e32 v1, 8, v1
	v_cndmask_b32_e64 v22, 0, 1, vcc
	v_cmp_ne_u64_e32 vcc, v[18:19], v[20:21]
	v_or_b32_e32 v84, v22, v26
	v_mov_b32_e32 v75, v84
	v_cndmask_b32_e64 v20, 0, 1, vcc
	v_cmp_ne_u64_e32 vcc, v[24:25], v[18:19]
	v_lshlrev_b16_e32 v20, 8, v20
	s_nop 0
	v_cndmask_b32_e64 v18, 0, 1, vcc
	v_cmp_ne_u64_e32 vcc, v[4:5], v[16:17]
	v_or_b32_e32 v83, v18, v20
	v_lshlrev_b32_e32 v18, 16, v83
	v_cndmask_b32_e64 v4, 0, 1, vcc
	v_cmp_ne_u64_e32 vcc, v[2:3], v[14:15]
	v_lshlrev_b16_e32 v4, 8, v4
	v_lshrrev_b32_e32 v82, 24, v18
	v_cndmask_b32_e64 v5, 0, 1, vcc
	v_cmp_ne_u64_e32 vcc, v[8:9], v[12:13]
	v_or_b32_e32 v87, v5, v4
	v_or_b32_e32 v18, v26, v18
	v_cndmask_b32_e64 v5, 0, 1, vcc
	v_cmp_ne_u64_e32 vcc, v[6:7], v[10:11]
	v_lshlrev_b16_e32 v5, 8, v5
	v_lshrrev_b32_e32 v81, 8, v18
	v_cndmask_b32_e64 v6, 0, 1, vcc
	v_or_b32_e32 v86, v6, v5
	v_lshlrev_b32_e32 v5, 16, v86
	v_or_b32_e32 v4, v4, v5
	s_waitcnt vmcnt(0)
	v_cmp_ne_u64_e32 vcc, v[34:35], v[2:3]
	v_mov_b64_e32 v[2:3], s[12:13]
	v_lshrrev_b32_e32 v85, 24, v5
	v_lshrrev_b32_e32 v80, 8, v4
	ds_write2st64_b64 v60, v[2:3], v[2:3] offset1:4
	ds_write2st64_b64 v60, v[2:3], v[2:3] offset0:8 offset1:12
	ds_write2st64_b64 v60, v[2:3], v[2:3] offset0:16 offset1:20
	;; [unrolled: 1-line block ×6, first 2 shown]
	s_waitcnt lgkmcnt(0)
	s_barrier
	ds_read_b128 v[2:5], v38
	ds_read_b128 v[106:109], v38 offset:16
	ds_read_b128 v[102:105], v38 offset:32
	;; [unrolled: 1-line block ×6, first 2 shown]
	v_cndmask_b32_e64 v71, 0, 1, vcc
	v_mov_b32_e32 v73, v81
	v_mov_b32_e32 v74, v83
	;; [unrolled: 1-line block ×7, first 2 shown]
	s_waitcnt lgkmcnt(1)
	v_mov_b64_e32 v[30:31], v[92:93]
	v_mov_b64_e32 v[64:65], v[90:91]
	;; [unrolled: 1-line block ×11, first 2 shown]
.LBB127_76:
	v_mov_b32_e32 v61, 0
	s_waitcnt vmcnt(0)
	v_mov_b64_e32 v[8:9], 0
	s_and_saveexec_b64 s[6:7], s[0:1]
	s_cbranch_execz .LBB127_78
; %bb.77:
	v_cndmask_b32_e64 v61, 0, 1, s[18:19]
	v_mov_b64_e32 v[6:7], v[4:5]
	v_mov_b64_e32 v[12:13], v[106:107]
	;; [unrolled: 1-line block ×11, first 2 shown]
	s_waitcnt lgkmcnt(0)
	v_mov_b64_e32 v[8:9], v[20:21]
	v_mov_b32_e32 v79, v87
	v_mov_b32_e32 v78, v80
	;; [unrolled: 1-line block ×8, first 2 shown]
.LBB127_78:
	s_or_b64 exec, exec, s[6:7]
	v_and_b32_e32 v80, 1, v78
	v_and_b32_e32 v67, 1, v75
	;; [unrolled: 1-line block ×4, first 2 shown]
	s_cmp_lg_u32 s47, 0
	v_cmp_eq_u32_e64 s[12:13], 1, v80
	v_cmp_eq_u32_e64 s[0:1], 1, v67
	;; [unrolled: 1-line block ×4, first 2 shown]
	v_cmp_eq_u16_e64 s[6:7], 0, v61
	v_lshrrev_b32_e32 v62, 1, v0
	v_cmp_gt_u32_e32 vcc, 64, v0
	s_waitcnt lgkmcnt(0)
	s_barrier
	s_cbranch_scc0 .LBB127_134
; %bb.79:
	v_mov_b32_e32 v20, 0
	v_cmp_eq_u16_sdwa s[8:9], v79, v20 src0_sel:BYTE_0 src1_sel:DWORD
	s_movk_i32 s62, 0xff
	v_bitop3_b16 v21, v79, s62, v71 bitop3:0xc8
	v_cndmask_b32_e64 v5, 0, v3, s[8:9]
	v_cndmask_b32_e64 v4, 0, v2, s[8:9]
	v_lshl_add_u64 v[4:5], v[4:5], 0, v[6:7]
	v_cmp_eq_u16_sdwa s[10:11], v78, v20 src0_sel:BYTE_0 src1_sel:DWORD
	v_cmp_ne_u16_e64 s[14:15], 0, v21
	s_or_b64 s[34:35], s[14:15], s[12:13]
	v_cndmask_b32_e64 v5, 0, v5, s[10:11]
	v_cndmask_b32_e64 v4, 0, v4, s[10:11]
	v_lshl_add_u64 v[4:5], v[4:5], 0, v[12:13]
	v_cmp_eq_u16_sdwa s[12:13], v77, v20 src0_sel:BYTE_0 src1_sel:DWORD
	v_cmp_eq_u16_sdwa s[14:15], v76, v20 src0_sel:BYTE_0 src1_sel:DWORD
	v_bitop3_b16 v21, v76, s62, v77 bitop3:0xc8
	v_cndmask_b32_e64 v5, 0, v5, s[12:13]
	v_cndmask_b32_e64 v4, 0, v4, s[12:13]
	v_lshl_add_u64 v[4:5], v[4:5], 0, v[10:11]
	v_cndmask_b32_e64 v5, 0, v5, s[14:15]
	v_cndmask_b32_e64 v4, 0, v4, s[14:15]
	v_lshl_add_u64 v[4:5], v[4:5], 0, v[16:17]
	v_cmp_eq_u16_sdwa s[16:17], v75, v20 src0_sel:BYTE_0 src1_sel:DWORD
	v_cmp_ne_u16_e64 s[18:19], 0, v21
	s_or_b64 s[48:49], s[18:19], s[0:1]
	v_cndmask_b32_e64 v5, 0, v5, s[16:17]
	v_cndmask_b32_e64 v4, 0, v4, s[16:17]
	v_lshl_add_u64 v[4:5], v[4:5], 0, v[14:15]
	v_cmp_eq_u16_sdwa s[18:19], v73, v20 src0_sel:BYTE_0 src1_sel:DWORD
	v_cmp_eq_u16_sdwa s[20:21], v74, v20 src0_sel:BYTE_0 src1_sel:DWORD
	v_bitop3_b16 v21, v74, s62, v73 bitop3:0xc8
	v_cndmask_b32_e64 v5, 0, v5, s[18:19]
	v_cndmask_b32_e64 v4, 0, v4, s[18:19]
	v_lshl_add_u64 v[4:5], v[4:5], 0, v[24:25]
	;; [unrolled: 15-line block ×3, first 2 shown]
	v_cndmask_b32_e64 v5, 0, v5, s[26:27]
	v_cndmask_b32_e64 v4, 0, v4, s[26:27]
	v_cmp_ne_u16_e64 s[0:1], 0, v21
	v_lshl_add_u64 v[4:5], v[4:5], 0, v[64:65]
	v_cmp_eq_u16_sdwa s[28:29], v69, v20 src0_sel:BYTE_0 src1_sel:DWORD
	s_or_b64 s[60:61], s[0:1], s[30:31]
	v_cmp_eq_u16_sdwa s[30:31], v68, v20 src0_sel:BYTE_0 src1_sel:DWORD
	v_bitop3_b16 v20, v61, s62, v68 bitop3:0xc8
	v_cndmask_b32_e64 v5, 0, v5, s[28:29]
	v_cndmask_b32_e64 v4, 0, v4, s[28:29]
	v_cmp_ne_u16_e64 s[0:1], 0, v20
	v_lshl_add_u64 v[4:5], v[4:5], 0, v[30:31]
	s_or_b64 s[0:1], s[0:1], s[60:61]
	v_cndmask_b32_e64 v5, 0, v5, s[30:31]
	v_cndmask_b32_e64 v4, 0, v4, s[30:31]
	s_or_b64 s[0:1], s[0:1], s[54:55]
	v_lshl_add_u64 v[4:5], v[4:5], 0, v[18:19]
	s_or_b64 s[0:1], s[0:1], s[48:49]
	v_cndmask_b32_e64 v5, 0, v5, s[6:7]
	v_cndmask_b32_e64 v4, 0, v4, s[6:7]
	s_or_b64 s[48:49], s[0:1], s[34:35]
	v_and_b32_e32 v20, 0x70, v62
	v_lshl_add_u64 v[4:5], v[4:5], 0, v[8:9]
	v_cndmask_b32_e64 v35, 0, 1, s[48:49]
	v_lshl_add_u32 v20, v0, 4, v20
	ds_write_b64 v20, v[4:5]
	ds_write_b8 v20, v35 offset:8
	s_waitcnt lgkmcnt(0)
	s_barrier
	s_and_saveexec_b64 s[54:55], vcc
	s_cbranch_execz .LBB127_93
; %bb.80:
	v_lshlrev_b32_e32 v20, 1, v0
	v_and_b32_e32 v20, 0x1f0, v20
	v_lshlrev_b32_e32 v21, 6, v0
	v_add_u32_e32 v34, v20, v21
	ds_read2_b64 v[38:41], v34 offset0:2 offset1:4
	ds_read_b64 v[20:21], v34
	ds_read_b32 v36, v34 offset:8
	ds_read_u8 v37, v34 offset:24
	ds_read_u8 v44, v34 offset:40
	ds_read_b64 v[32:33], v34 offset:48
	ds_read_u8 v45, v34 offset:56
	s_waitcnt lgkmcnt(4)
	v_and_b32_e32 v42, 1, v36
	s_waitcnt lgkmcnt(3)
	v_cmp_eq_u16_e64 s[34:35], 0, v37
	v_cmp_eq_u32_e64 s[0:1], 1, v42
	s_waitcnt lgkmcnt(0)
	v_bitop3_b16 v37, v44, v45, v37 bitop3:0xfe
	v_cndmask_b32_e64 v43, 0, v21, s[34:35]
	v_cndmask_b32_e64 v42, 0, v20, s[34:35]
	v_lshl_add_u64 v[38:39], v[42:43], 0, v[38:39]
	v_cmp_eq_u16_e64 s[34:35], 0, v44
	v_and_b32_e32 v37, 1, v37
	s_nop 0
	v_cndmask_b32_e64 v39, 0, v39, s[34:35]
	v_cndmask_b32_e64 v38, 0, v38, s[34:35]
	v_lshl_add_u64 v[38:39], v[38:39], 0, v[40:41]
	v_cmp_eq_u16_e64 s[34:35], 0, v45
	s_nop 1
	v_cndmask_b32_e64 v39, 0, v39, s[34:35]
	v_cndmask_b32_e64 v38, 0, v38, s[34:35]
	v_cmp_eq_u32_e64 s[34:35], 1, v37
	s_or_b64 s[34:35], s[34:35], s[0:1]
	v_mbcnt_lo_u32_b32 v37, -1, 0
	v_lshl_add_u64 v[32:33], v[38:39], 0, v[32:33]
	v_mbcnt_hi_u32_b32 v37, -1, v37
	v_and_b32_e32 v38, 0xffffff00, v36
	v_cndmask_b32_e64 v40, 0, 1, s[34:35]
	v_and_b32_e32 v41, 15, v37
	v_or_b32_e32 v40, v38, v40
	v_cndmask_b32_e64 v39, 0, 1, s[34:35]
	v_mov_b32_dpp v42, v32 row_shr:1 row_mask:0xf bank_mask:0xf
	v_mov_b32_dpp v44, v33 row_shr:1 row_mask:0xf bank_mask:0xf
	;; [unrolled: 1-line block ×3, first 2 shown]
	v_cmp_ne_u32_e64 s[0:1], 0, v41
	s_and_saveexec_b64 s[60:61], s[0:1]
; %bb.81:
	v_cndmask_b32_e64 v45, v44, 0, s[34:35]
	v_cndmask_b32_e64 v44, v42, 0, s[34:35]
	v_bitop3_b16 v39, v43, v39, 1 bitop3:0xec
	v_lshl_add_u64 v[32:33], v[44:45], 0, v[32:33]
	v_or_b32_sdwa v40, v38, v39 dst_sel:DWORD dst_unused:UNUSED_PAD src0_sel:DWORD src1_sel:WORD_0
; %bb.82:
	s_or_b64 exec, exec, s[60:61]
	v_mov_b32_dpp v43, v32 row_shr:2 row_mask:0xf bank_mask:0xf
	v_mov_b32_dpp v44, v33 row_shr:2 row_mask:0xf bank_mask:0xf
	;; [unrolled: 1-line block ×3, first 2 shown]
	v_cmp_lt_u32_e64 s[0:1], 1, v41
	s_and_saveexec_b64 s[60:61], s[0:1]
	s_cbranch_execz .LBB127_84
; %bb.83:
	v_cmp_eq_u16_e64 s[0:1], 0, v39
	v_and_b32_e32 v39, 1, v39
	s_nop 0
	v_cndmask_b32_e64 v45, 0, v44, s[0:1]
	v_cndmask_b32_e64 v44, 0, v43, s[0:1]
	v_cmp_eq_u32_e64 s[0:1], 1, v39
	v_and_b32_e32 v39, 1, v42
	v_cmp_eq_u32_e64 s[34:35], 1, v39
	s_or_b64 s[0:1], s[0:1], s[34:35]
	v_cndmask_b32_e64 v40, 0, 1, s[0:1]
	v_lshl_add_u64 v[32:33], v[44:45], 0, v[32:33]
	v_cndmask_b32_e64 v39, 0, 1, s[0:1]
	v_or_b32_e32 v40, v38, v40
.LBB127_84:
	s_or_b64 exec, exec, s[60:61]
	v_mov_b32_dpp v43, v32 row_shr:4 row_mask:0xf bank_mask:0xf
	v_mov_b32_dpp v44, v33 row_shr:4 row_mask:0xf bank_mask:0xf
	;; [unrolled: 1-line block ×3, first 2 shown]
	v_cmp_lt_u32_e64 s[0:1], 3, v41
	s_and_saveexec_b64 s[60:61], s[0:1]
	s_cbranch_execz .LBB127_86
; %bb.85:
	v_cmp_eq_u16_e64 s[0:1], 0, v39
	v_and_b32_e32 v39, 1, v39
	s_nop 0
	v_cndmask_b32_e64 v45, 0, v44, s[0:1]
	v_cndmask_b32_e64 v44, 0, v43, s[0:1]
	v_cmp_eq_u32_e64 s[0:1], 1, v39
	v_and_b32_e32 v39, 1, v42
	v_cmp_eq_u32_e64 s[34:35], 1, v39
	s_or_b64 s[0:1], s[0:1], s[34:35]
	v_cndmask_b32_e64 v40, 0, 1, s[0:1]
	v_lshl_add_u64 v[32:33], v[44:45], 0, v[32:33]
	v_cndmask_b32_e64 v39, 0, 1, s[0:1]
	v_or_b32_e32 v40, v38, v40
.LBB127_86:
	s_or_b64 exec, exec, s[60:61]
	v_mov_b32_dpp v43, v32 row_shr:8 row_mask:0xf bank_mask:0xf
	v_mov_b32_dpp v44, v33 row_shr:8 row_mask:0xf bank_mask:0xf
	;; [unrolled: 1-line block ×3, first 2 shown]
	v_cmp_lt_u32_e64 s[0:1], 7, v41
	s_and_saveexec_b64 s[60:61], s[0:1]
	s_cbranch_execz .LBB127_88
; %bb.87:
	v_cmp_eq_u16_e64 s[0:1], 0, v39
	v_and_b32_e32 v39, 1, v39
	s_nop 0
	v_cndmask_b32_e64 v41, 0, v44, s[0:1]
	v_cndmask_b32_e64 v40, 0, v43, s[0:1]
	v_cmp_eq_u32_e64 s[0:1], 1, v39
	v_and_b32_e32 v39, 1, v42
	v_cmp_eq_u32_e64 s[34:35], 1, v39
	s_or_b64 s[0:1], s[0:1], s[34:35]
	v_lshl_add_u64 v[32:33], v[40:41], 0, v[32:33]
	v_cndmask_b32_e64 v40, 0, 1, s[0:1]
	v_cndmask_b32_e64 v39, 0, 1, s[0:1]
	v_or_b32_e32 v40, v38, v40
.LBB127_88:
	s_or_b64 exec, exec, s[60:61]
	v_and_b32_e32 v44, 16, v37
	v_mov_b32_dpp v42, v32 row_bcast:15 row_mask:0xf bank_mask:0xf
	v_mov_b32_dpp v43, v33 row_bcast:15 row_mask:0xf bank_mask:0xf
	;; [unrolled: 1-line block ×3, first 2 shown]
	v_cmp_ne_u32_e64 s[0:1], 0, v44
	s_and_saveexec_b64 s[60:61], s[0:1]
	s_cbranch_execz .LBB127_90
; %bb.89:
	v_cmp_eq_u16_e64 s[0:1], 0, v39
	v_and_b32_e32 v39, 1, v39
	s_nop 0
	v_cndmask_b32_e64 v43, 0, v43, s[0:1]
	v_cndmask_b32_e64 v42, 0, v42, s[0:1]
	v_cmp_eq_u32_e64 s[0:1], 1, v39
	v_and_b32_e32 v39, 1, v41
	v_cmp_eq_u32_e64 s[34:35], 1, v39
	s_or_b64 s[0:1], s[0:1], s[34:35]
	v_cndmask_b32_e64 v40, 0, 1, s[0:1]
	v_lshl_add_u64 v[32:33], v[42:43], 0, v[32:33]
	v_cndmask_b32_e64 v39, 0, 1, s[0:1]
	v_or_b32_e32 v40, v38, v40
.LBB127_90:
	s_or_b64 exec, exec, s[60:61]
	v_mov_b32_dpp v41, v32 row_bcast:31 row_mask:0xf bank_mask:0xf
	v_mov_b32_dpp v42, v33 row_bcast:31 row_mask:0xf bank_mask:0xf
	;; [unrolled: 1-line block ×3, first 2 shown]
	v_cmp_lt_u32_e64 s[0:1], 31, v37
	s_and_saveexec_b64 s[60:61], s[0:1]
	s_cbranch_execz .LBB127_92
; %bb.91:
	v_cmp_eq_u16_e64 s[0:1], 0, v39
	v_and_b32_e32 v39, 1, v39
	s_nop 0
	v_cndmask_b32_e64 v43, 0, v42, s[0:1]
	v_cndmask_b32_e64 v42, 0, v41, s[0:1]
	v_cmp_eq_u32_e64 s[0:1], 1, v39
	v_and_b32_e32 v39, 1, v40
	v_cmp_eq_u32_e64 s[34:35], 1, v39
	s_or_b64 s[0:1], s[0:1], s[34:35]
	v_lshl_add_u64 v[32:33], v[42:43], 0, v[32:33]
	v_cndmask_b32_e64 v39, 0, 1, s[0:1]
.LBB127_92:
	s_or_b64 exec, exec, s[60:61]
	v_add_u32_e32 v40, -1, v37
	v_and_b32_e32 v41, 64, v37
	v_cmp_lt_i32_e64 s[0:1], v40, v41
	v_or_b32_sdwa v38, v38, v39 dst_sel:DWORD dst_unused:UNUSED_PAD src0_sel:DWORD src1_sel:WORD_0
	s_nop 0
	v_cndmask_b32_e64 v37, v40, v37, s[0:1]
	v_lshlrev_b32_e32 v37, 2, v37
	ds_bpermute_b32 v32, v37, v32
	ds_bpermute_b32 v33, v37, v33
	;; [unrolled: 1-line block ×3, first 2 shown]
	v_mov_b32_e32 v40, 0
	v_cmp_eq_u32_sdwa s[0:1], v36, v40 src0_sel:BYTE_0 src1_sel:DWORD
	; wave barrier
	s_waitcnt lgkmcnt(1)
	s_nop 0
	v_cndmask_b32_e64 v33, 0, v33, s[0:1]
	v_cndmask_b32_e64 v32, 0, v32, s[0:1]
	v_lshl_add_u64 v[20:21], v[32:33], 0, v[20:21]
	s_waitcnt lgkmcnt(0)
	v_or_b32_e32 v32, v37, v36
	v_and_b32_e32 v32, 1, v32
	v_cndmask_b32_e64 v21, v21, v5, s[36:37]
	v_cndmask_b32_e64 v20, v20, v4, s[36:37]
	;; [unrolled: 1-line block ×3, first 2 shown]
	ds_write_b64 v34, v[20:21]
	ds_write_b8 v34, v35 offset:8
	; wave barrier
	ds_read_u8 v41, v34 offset:24
	ds_read2_b64 v[36:39], v34 offset0:2 offset1:4
	ds_read_u8 v42, v34 offset:40
	ds_read_b64 v[32:33], v34 offset:48
	ds_read_u8 v43, v34 offset:56
	s_waitcnt lgkmcnt(4)
	v_cmp_eq_u16_sdwa s[0:1], v41, v40 src0_sel:BYTE_0 src1_sel:DWORD
	v_or_b32_e32 v44, v41, v35
	s_nop 0
	v_cndmask_b32_e64 v21, 0, v21, s[0:1]
	v_cndmask_b32_e64 v20, 0, v20, s[0:1]
	s_waitcnt lgkmcnt(3)
	v_lshl_add_u64 v[20:21], v[20:21], 0, v[36:37]
	v_bitop3_b16 v36, v41, 1, v35 bitop3:0xc8
	s_waitcnt lgkmcnt(2)
	v_cmp_eq_u16_sdwa s[0:1], v42, v40 src0_sel:BYTE_0 src1_sel:DWORD
	ds_write_b8 v34, v36 offset:24
	v_bitop3_b16 v35, v42, v41, v35 bitop3:0xfe
	v_cndmask_b32_e64 v37, 0, v21, s[0:1]
	v_cndmask_b32_e64 v36, 0, v20, s[0:1]
	v_lshl_add_u64 v[36:37], v[36:37], 0, v[38:39]
	s_waitcnt lgkmcnt(1)
	v_cmp_eq_u16_e64 s[0:1], 0, v43
	v_bitop3_b16 v38, v42, 1, v44 bitop3:0xc8
	ds_write2_b64 v34, v[20:21], v[36:37] offset0:2 offset1:4
	ds_write_b8 v34, v38 offset:40
	v_cndmask_b32_e64 v21, 0, v37, s[0:1]
	v_cndmask_b32_e64 v20, 0, v36, s[0:1]
	v_lshl_add_u64 v[20:21], v[20:21], 0, v[32:33]
	v_bitop3_b16 v32, v43, 1, v35 bitop3:0xc8
	ds_write_b64 v34, v[20:21] offset:48
	ds_write_b8 v34, v32 offset:56
.LBB127_93:
	s_or_b64 exec, exec, s[54:55]
	s_waitcnt lgkmcnt(0)
	s_barrier
	s_and_saveexec_b64 s[34:35], s[4:5]
	s_cbranch_execz .LBB127_95
; %bb.94:
	v_add_u32_e32 v4, -1, v0
	v_lshrrev_b32_e32 v5, 1, v4
	v_and_b32_e32 v5, 0x7ffffff0, v5
	v_lshl_add_u32 v4, v4, 4, v5
	ds_read_u8 v20, v4 offset:8
	ds_read_b64 v[4:5], v4
	s_andn2_b64 s[48:49], s[48:49], exec
	s_waitcnt lgkmcnt(1)
	v_and_b32_e32 v20, 1, v20
	v_cmp_eq_u32_e64 s[0:1], 1, v20
	s_and_b64 s[0:1], s[0:1], exec
	s_or_b64 s[48:49], s[48:49], s[0:1]
.LBB127_95:
	s_or_b64 exec, exec, s[34:35]
	s_and_saveexec_b64 s[54:55], vcc
	s_cbranch_execz .LBB127_139
; %bb.96:
	s_movk_i32 s0, 0x1000
	v_add_u32_e64 v20, s0, 0
	ds_read2_b64 v[32:35], v20 offset0:12 offset1:13
	v_mbcnt_lo_u32_b32 v20, -1, 0
	v_mbcnt_hi_u32_b32 v21, -1, v20
	v_mov_b32_e32 v37, 0
	s_mov_b32 s61, 0
	v_cmp_eq_u32_e64 s[34:35], 0, v21
	s_and_saveexec_b64 s[0:1], s[34:35]
	s_cbranch_execz .LBB127_98
; %bb.97:
	s_add_i32 s60, s47, 64
	s_lshl_b64 s[62:63], s[60:61], 4
	s_add_u32 s62, s40, s62
	s_addc_u32 s63, s41, s63
	s_waitcnt lgkmcnt(0)
	global_store_dword v37, v32, s[62:63] sc1
	global_store_dword v37, v33, s[62:63] offset:4 sc1
	global_store_dword v37, v34, s[62:63] offset:8 sc1
	;; [unrolled: 1-line block ×3, first 2 shown]
	v_mov_b32_e32 v20, 1
	v_mov_b32_e32 v35, s60
	s_waitcnt vmcnt(0)
	global_store_byte v35, v20, s[44:45] sc1
.LBB127_98:
	s_or_b64 exec, exec, s[0:1]
	v_xad_u32 v20, v21, -1, s47
	v_add_u32_e32 v36, 64, v20
	s_waitcnt lgkmcnt(0)
	global_load_ubyte v35, v36, s[44:45] sc1
	s_waitcnt vmcnt(0)
	v_cmp_eq_u16_e32 vcc, 0, v35
	s_and_saveexec_b64 s[0:1], vcc
	s_cbranch_execz .LBB127_102
; %bb.99:
	v_lshl_add_u64 v[38:39], s[44:45], 0, v[36:37]
	s_mov_b64 s[60:61], 0
.LBB127_100:                            ; =>This Inner Loop Header: Depth=1
	global_load_ubyte v35, v[38:39], off sc1
	s_waitcnt vmcnt(0)
	v_cmp_ne_u16_e32 vcc, 0, v35
	s_or_b64 s[60:61], vcc, s[60:61]
	s_andn2_b64 exec, exec, s[60:61]
	s_cbranch_execnz .LBB127_100
; %bb.101:
	s_or_b64 exec, exec, s[60:61]
.LBB127_102:
	s_or_b64 exec, exec, s[0:1]
	v_mov_b32_e32 v38, s43
	v_mov_b32_e32 v39, s41
	v_cmp_eq_u16_e32 vcc, 1, v35
	v_mov_b32_e32 v40, s40
	s_waitcnt vmcnt(0)
	v_cndmask_b32_e32 v39, v38, v39, vcc
	v_mov_b32_e32 v38, s42
	v_cndmask_b32_e32 v38, v38, v40, vcc
	v_lshl_add_u64 v[36:37], v[36:37], 4, v[38:39]
	global_load_dword v40, v[36:37], off sc1
	global_load_dword v41, v[36:37], off offset:4 sc1
	global_load_dword v56, v[36:37], off offset:8 sc1
	s_nop 0
	global_load_dword v36, v[36:37], off offset:12 sc1
	v_cmp_eq_u16_e32 vcc, 2, v35
	s_waitcnt vmcnt(0)
	v_lshlrev_b64 v[36:37], v21, -1
	v_and_b32_e32 v42, 63, v21
	v_and_b32_e32 v38, vcc_hi, v37
	v_and_b32_e32 v47, vcc_lo, v36
	v_cmp_ne_u32_e32 vcc, 63, v42
	v_or_b32_e32 v38, 0x80000000, v38
	v_ffbl_b32_e32 v38, v38
	v_addc_co_u32_e32 v39, vcc, 0, v21, vcc
	v_lshlrev_b32_e32 v43, 2, v39
	v_add_u32_e32 v38, 32, v38
	v_ffbl_b32_e32 v47, v47
	v_min_u32_e32 v38, v47, v38
	v_cmp_lt_u32_e32 vcc, v42, v38
	ds_bpermute_b32 v45, v43, v40
	ds_bpermute_b32 v46, v43, v41
	v_and_b32_e32 v39, 0xff, v56
	ds_bpermute_b32 v44, v43, v39
	s_and_saveexec_b64 s[0:1], vcc
	s_cbranch_execz .LBB127_104
; %bb.103:
	v_mov_b32_e32 v39, 0
	v_cmp_eq_u16_sdwa vcc, v56, v39 src0_sel:BYTE_0 src1_sel:DWORD
	s_waitcnt lgkmcnt(0)
	v_or_b32_e32 v39, v44, v56
	v_cndmask_b32_e32 v47, 0, v46, vcc
	v_cndmask_b32_e32 v46, 0, v45, vcc
	v_and_b32_e32 v45, 1, v39
	v_lshl_add_u64 v[40:41], v[46:47], 0, v[40:41]
	v_bitop3_b32 v39, v44, 1, v56 bitop3:0xc8
	v_mov_b32_e32 v56, v45
.LBB127_104:
	s_or_b64 exec, exec, s[0:1]
	v_cmp_gt_u32_e32 vcc, 62, v42
	s_waitcnt lgkmcnt(2)
	v_add_u32_e32 v45, 2, v42
	s_waitcnt lgkmcnt(0)
	v_cndmask_b32_e64 v44, 0, 2, vcc
	v_add_lshl_u32 v44, v44, v21, 2
	ds_bpermute_b32 v47, v44, v40
	ds_bpermute_b32 v48, v44, v41
	ds_bpermute_b32 v46, v44, v39
	v_cmp_le_u32_e32 vcc, v45, v38
	s_and_saveexec_b64 s[60:61], vcc
	s_cbranch_execz .LBB127_106
; %bb.105:
	v_mov_b32_e32 v39, 0
	v_cmp_eq_u16_sdwa vcc, v56, v39 src0_sel:BYTE_0 src1_sel:DWORD
	v_and_b32_e32 v39, 1, v56
	s_waitcnt lgkmcnt(1)
	v_cndmask_b32_e32 v49, 0, v48, vcc
	v_cndmask_b32_e32 v48, 0, v47, vcc
	v_cmp_eq_u32_e32 vcc, 1, v39
	s_waitcnt lgkmcnt(0)
	v_and_b32_e32 v39, 1, v46
	v_cmp_eq_u32_e64 s[0:1], 1, v39
	s_or_b64 s[0:1], vcc, s[0:1]
	v_lshl_add_u64 v[40:41], v[48:49], 0, v[40:41]
	v_cndmask_b32_e64 v56, 0, 1, s[0:1]
	v_cndmask_b32_e64 v39, 0, 1, s[0:1]
.LBB127_106:
	s_or_b64 exec, exec, s[60:61]
	v_cmp_gt_u32_e32 vcc, 60, v42
	s_waitcnt lgkmcnt(2)
	v_add_u32_e32 v47, 4, v42
	s_waitcnt lgkmcnt(0)
	v_cndmask_b32_e64 v46, 0, 4, vcc
	v_add_lshl_u32 v46, v46, v21, 2
	ds_bpermute_b32 v49, v46, v40
	ds_bpermute_b32 v50, v46, v41
	ds_bpermute_b32 v48, v46, v39
	v_cmp_le_u32_e32 vcc, v47, v38
	s_and_saveexec_b64 s[60:61], vcc
	s_cbranch_execz .LBB127_108
; %bb.107:
	v_mov_b32_e32 v39, 0
	v_cmp_eq_u16_sdwa vcc, v56, v39 src0_sel:BYTE_0 src1_sel:DWORD
	v_and_b32_e32 v39, 1, v56
	s_waitcnt lgkmcnt(1)
	v_cndmask_b32_e32 v51, 0, v50, vcc
	v_cndmask_b32_e32 v50, 0, v49, vcc
	v_cmp_eq_u32_e32 vcc, 1, v39
	s_waitcnt lgkmcnt(0)
	v_and_b32_e32 v39, 1, v48
	v_cmp_eq_u32_e64 s[0:1], 1, v39
	s_or_b64 s[0:1], vcc, s[0:1]
	v_lshl_add_u64 v[40:41], v[50:51], 0, v[40:41]
	v_cndmask_b32_e64 v56, 0, 1, s[0:1]
	v_cndmask_b32_e64 v39, 0, 1, s[0:1]
.LBB127_108:
	;; [unrolled: 29-line block ×4, first 2 shown]
	s_or_b64 exec, exec, s[60:61]
	s_waitcnt lgkmcnt(0)
	v_mov_b32_e32 v52, 0x80
	v_lshl_or_b32 v53, v21, 2, v52
	ds_bpermute_b32 v52, v53, v40
	ds_bpermute_b32 v55, v53, v41
	;; [unrolled: 1-line block ×3, first 2 shown]
	v_add_u32_e32 v54, 32, v42
	v_cmp_le_u32_e32 vcc, v54, v38
	s_and_saveexec_b64 s[60:61], vcc
	s_cbranch_execz .LBB127_114
; %bb.113:
	v_mov_b32_e32 v38, 0
	v_cmp_eq_u16_sdwa vcc, v56, v38 src0_sel:BYTE_0 src1_sel:DWORD
	s_waitcnt lgkmcnt(0)
	v_and_b32_e32 v21, 1, v21
	v_cmp_eq_u32_e64 s[0:1], 1, v21
	v_cndmask_b32_e32 v39, 0, v55, vcc
	v_cndmask_b32_e32 v38, 0, v52, vcc
	v_lshl_add_u64 v[40:41], v[38:39], 0, v[40:41]
	v_and_b32_e32 v38, 1, v56
	v_cmp_eq_u32_e32 vcc, 1, v38
	s_or_b64 s[0:1], vcc, s[0:1]
	v_cndmask_b32_e64 v56, 0, 1, s[0:1]
.LBB127_114:
	s_or_b64 exec, exec, s[60:61]
	s_waitcnt lgkmcnt(0)
	v_mov_b32_e32 v21, 0
	v_mov_b32_e32 v55, 2
	s_branch .LBB127_117
.LBB127_115:                            ;   in Loop: Header=BB127_117 Depth=1
	s_or_b64 exec, exec, s[62:63]
	v_cmp_eq_u16_sdwa vcc, v52, v21 src0_sel:BYTE_0 src1_sel:DWORD
	v_and_b32_e32 v56, 1, v52
	v_subrev_u32_e32 v20, 64, v20
	v_cndmask_b32_e32 v41, 0, v41, vcc
	v_cndmask_b32_e32 v40, 0, v40, vcc
	v_cmp_eq_u32_e32 vcc, 1, v56
	s_or_b64 s[0:1], vcc, s[60:61]
	v_lshl_add_u64 v[40:41], v[40:41], 0, v[38:39]
	v_cndmask_b32_e64 v56, 0, 1, s[0:1]
	s_mov_b64 s[0:1], 0
.LBB127_116:                            ;   in Loop: Header=BB127_117 Depth=1
	s_and_b64 vcc, exec, s[0:1]
	s_cbranch_vccnz .LBB127_135
.LBB127_117:                            ; =>This Loop Header: Depth=1
                                        ;     Child Loop BB127_120 Depth 2
	v_cmp_ne_u16_sdwa s[0:1], v35, v55 src0_sel:BYTE_0 src1_sel:DWORD
	v_mov_b32_e32 v52, v56
	v_mov_b64_e32 v[38:39], v[40:41]
	s_cmp_lg_u64 s[0:1], exec
	s_mov_b64 s[0:1], -1
                                        ; implicit-def: $vgpr56
                                        ; implicit-def: $vgpr40_vgpr41
                                        ; implicit-def: $vgpr35
	s_cbranch_scc1 .LBB127_116
; %bb.118:                              ;   in Loop: Header=BB127_117 Depth=1
	global_load_ubyte v35, v20, s[44:45] sc1
	s_waitcnt vmcnt(0)
	v_cmp_eq_u16_e32 vcc, 0, v35
	s_and_saveexec_b64 s[0:1], vcc
	s_cbranch_execz .LBB127_122
; %bb.119:                              ;   in Loop: Header=BB127_117 Depth=1
	v_lshl_add_u64 v[40:41], s[44:45], 0, v[20:21]
	s_mov_b64 s[60:61], 0
.LBB127_120:                            ;   Parent Loop BB127_117 Depth=1
                                        ; =>  This Inner Loop Header: Depth=2
	global_load_ubyte v35, v[40:41], off sc1
	s_waitcnt vmcnt(0)
	v_cmp_ne_u16_e32 vcc, 0, v35
	s_or_b64 s[60:61], vcc, s[60:61]
	s_andn2_b64 exec, exec, s[60:61]
	s_cbranch_execnz .LBB127_120
; %bb.121:                              ;   in Loop: Header=BB127_117 Depth=1
	s_or_b64 exec, exec, s[60:61]
.LBB127_122:                            ;   in Loop: Header=BB127_117 Depth=1
	s_or_b64 exec, exec, s[0:1]
	v_mov_b32_e32 v40, s43
	v_mov_b32_e32 v41, s41
	v_cmp_eq_u16_e32 vcc, 1, v35
	v_mov_b32_e32 v56, s40
	s_waitcnt vmcnt(0)
	v_cndmask_b32_e32 v41, v40, v41, vcc
	v_mov_b32_e32 v40, s42
	v_cndmask_b32_e32 v40, v40, v56, vcc
	s_waitcnt lgkmcnt(0)
	v_lshl_add_u64 v[58:59], v[20:21], 4, v[40:41]
	global_load_dword v40, v[58:59], off sc1
	global_load_dword v41, v[58:59], off offset:4 sc1
	global_load_dword v56, v[58:59], off offset:8 sc1
	;; [unrolled: 1-line block ×3, first 2 shown]
	v_cmp_eq_u16_e32 vcc, 2, v35
	s_waitcnt vmcnt(3)
	ds_bpermute_b32 v81, v43, v40
	s_waitcnt vmcnt(0)
	v_and_b32_e32 v57, vcc_hi, v37
	v_and_b32_e32 v58, 0xff, v56
	v_or_b32_e32 v57, 0x80000000, v57
	ds_bpermute_b32 v82, v43, v41
	ds_bpermute_b32 v59, v43, v58
	v_and_b32_e32 v83, vcc_lo, v36
	v_ffbl_b32_e32 v57, v57
	v_add_u32_e32 v57, 32, v57
	v_ffbl_b32_e32 v83, v83
	v_min_u32_e32 v57, v83, v57
	v_cmp_lt_u32_e32 vcc, v42, v57
	s_and_saveexec_b64 s[0:1], vcc
	s_cbranch_execz .LBB127_124
; %bb.123:                              ;   in Loop: Header=BB127_117 Depth=1
	v_cmp_eq_u16_sdwa vcc, v56, v21 src0_sel:BYTE_0 src1_sel:DWORD
	s_waitcnt lgkmcnt(0)
	v_or_b32_e32 v58, v59, v56
	v_cndmask_b32_e32 v83, 0, v82, vcc
	v_cndmask_b32_e32 v82, 0, v81, vcc
	v_and_b32_e32 v81, 1, v58
	v_lshl_add_u64 v[40:41], v[82:83], 0, v[40:41]
	v_bitop3_b32 v58, v59, 1, v56 bitop3:0xc8
	v_mov_b32_e32 v56, v81
.LBB127_124:                            ;   in Loop: Header=BB127_117 Depth=1
	s_or_b64 exec, exec, s[0:1]
	s_waitcnt lgkmcnt(2)
	ds_bpermute_b32 v81, v44, v40
	s_waitcnt lgkmcnt(2)
	ds_bpermute_b32 v82, v44, v41
	;; [unrolled: 2-line block ×3, first 2 shown]
	v_and_b32_e32 v83, 1, v56
	v_cmp_le_u32_e32 vcc, v45, v57
	v_cmp_eq_u32_e64 s[60:61], 1, v83
	s_and_saveexec_b64 s[0:1], vcc
	s_cbranch_execz .LBB127_126
; %bb.125:                              ;   in Loop: Header=BB127_117 Depth=1
	v_cmp_eq_u16_sdwa vcc, v56, v21 src0_sel:BYTE_0 src1_sel:DWORD
	s_waitcnt lgkmcnt(0)
	v_and_b32_e32 v56, 1, v59
	v_cndmask_b32_e32 v83, 0, v82, vcc
	v_cndmask_b32_e32 v82, 0, v81, vcc
	v_cmp_eq_u32_e32 vcc, 1, v56
	s_or_b64 s[62:63], s[60:61], vcc
	v_cndmask_b32_e64 v56, 0, 1, s[62:63]
	v_cndmask_b32_e64 v58, 0, 1, s[62:63]
	s_andn2_b64 s[60:61], s[60:61], exec
	s_and_b64 s[62:63], s[62:63], exec
	v_lshl_add_u64 v[40:41], v[82:83], 0, v[40:41]
	s_or_b64 s[60:61], s[60:61], s[62:63]
.LBB127_126:                            ;   in Loop: Header=BB127_117 Depth=1
	s_or_b64 exec, exec, s[0:1]
	s_waitcnt lgkmcnt(2)
	ds_bpermute_b32 v81, v46, v40
	s_waitcnt lgkmcnt(2)
	ds_bpermute_b32 v82, v46, v41
	s_waitcnt lgkmcnt(2)
	ds_bpermute_b32 v59, v46, v58
	v_cmp_le_u32_e32 vcc, v47, v57
	s_and_saveexec_b64 s[62:63], vcc
	s_cbranch_execz .LBB127_128
; %bb.127:                              ;   in Loop: Header=BB127_117 Depth=1
	v_cmp_eq_u16_sdwa vcc, v56, v21 src0_sel:BYTE_0 src1_sel:DWORD
	v_and_b32_e32 v56, 1, v56
	s_andn2_b64 s[60:61], s[60:61], exec
	s_waitcnt lgkmcnt(1)
	v_cndmask_b32_e32 v83, 0, v82, vcc
	v_cndmask_b32_e32 v82, 0, v81, vcc
	v_cmp_eq_u32_e32 vcc, 1, v56
	s_waitcnt lgkmcnt(0)
	v_and_b32_e32 v56, 1, v59
	v_cmp_eq_u32_e64 s[0:1], 1, v56
	s_or_b64 s[0:1], vcc, s[0:1]
	v_lshl_add_u64 v[40:41], v[82:83], 0, v[40:41]
	v_cndmask_b32_e64 v56, 0, 1, s[0:1]
	v_cndmask_b32_e64 v58, 0, 1, s[0:1]
	s_and_b64 s[0:1], s[0:1], exec
	s_or_b64 s[60:61], s[60:61], s[0:1]
.LBB127_128:                            ;   in Loop: Header=BB127_117 Depth=1
	s_or_b64 exec, exec, s[62:63]
	s_waitcnt lgkmcnt(2)
	ds_bpermute_b32 v81, v48, v40
	s_waitcnt lgkmcnt(2)
	ds_bpermute_b32 v82, v48, v41
	s_waitcnt lgkmcnt(2)
	ds_bpermute_b32 v59, v48, v58
	v_cmp_le_u32_e32 vcc, v49, v57
	s_and_saveexec_b64 s[62:63], vcc
	s_cbranch_execz .LBB127_130
; %bb.129:                              ;   in Loop: Header=BB127_117 Depth=1
	v_cmp_eq_u16_sdwa vcc, v56, v21 src0_sel:BYTE_0 src1_sel:DWORD
	v_and_b32_e32 v56, 1, v56
	s_andn2_b64 s[60:61], s[60:61], exec
	s_waitcnt lgkmcnt(1)
	v_cndmask_b32_e32 v83, 0, v82, vcc
	v_cndmask_b32_e32 v82, 0, v81, vcc
	v_cmp_eq_u32_e32 vcc, 1, v56
	s_waitcnt lgkmcnt(0)
	v_and_b32_e32 v56, 1, v59
	v_cmp_eq_u32_e64 s[0:1], 1, v56
	s_or_b64 s[0:1], vcc, s[0:1]
	v_lshl_add_u64 v[40:41], v[82:83], 0, v[40:41]
	v_cndmask_b32_e64 v56, 0, 1, s[0:1]
	v_cndmask_b32_e64 v58, 0, 1, s[0:1]
	s_and_b64 s[0:1], s[0:1], exec
	s_or_b64 s[60:61], s[60:61], s[0:1]
.LBB127_130:                            ;   in Loop: Header=BB127_117 Depth=1
	;; [unrolled: 28-line block ×3, first 2 shown]
	s_or_b64 exec, exec, s[62:63]
	s_waitcnt lgkmcnt(0)
	ds_bpermute_b32 v59, v53, v40
	ds_bpermute_b32 v81, v53, v41
	;; [unrolled: 1-line block ×3, first 2 shown]
	v_cmp_le_u32_e32 vcc, v54, v57
	s_and_saveexec_b64 s[62:63], vcc
	s_cbranch_execz .LBB127_115
; %bb.133:                              ;   in Loop: Header=BB127_117 Depth=1
	v_cmp_eq_u16_sdwa vcc, v56, v21 src0_sel:BYTE_0 src1_sel:DWORD
	v_and_b32_e32 v56, 1, v56
	s_andn2_b64 s[60:61], s[60:61], exec
	s_waitcnt lgkmcnt(1)
	v_cndmask_b32_e32 v83, 0, v81, vcc
	v_cndmask_b32_e32 v82, 0, v59, vcc
	v_cmp_eq_u32_e32 vcc, 1, v56
	s_waitcnt lgkmcnt(0)
	v_and_b32_e32 v56, 1, v58
	v_cmp_eq_u32_e64 s[0:1], 1, v56
	s_or_b64 s[0:1], vcc, s[0:1]
	s_and_b64 s[0:1], s[0:1], exec
	v_lshl_add_u64 v[40:41], v[82:83], 0, v[40:41]
	s_or_b64 s[60:61], s[60:61], s[0:1]
	s_branch .LBB127_115
.LBB127_134:
                                        ; implicit-def: $vgpr58_vgpr59
                                        ; implicit-def: $vgpr54_vgpr55
                                        ; implicit-def: $vgpr50_vgpr51
                                        ; implicit-def: $vgpr46_vgpr47
                                        ; implicit-def: $vgpr42_vgpr43
                                        ; implicit-def: $vgpr38_vgpr39
                                        ; implicit-def: $vgpr34_vgpr35
	s_cbranch_execnz .LBB127_140
	s_branch .LBB127_161
.LBB127_135:
	s_and_saveexec_b64 s[0:1], s[34:35]
	s_cbranch_execz .LBB127_137
; %bb.136:
	v_mov_b32_e32 v35, 0
	s_mov_b32 s35, 0
	v_cmp_eq_u32_sdwa vcc, v34, v35 src0_sel:BYTE_0 src1_sel:DWORD
	s_add_i32 s34, s47, 64
	s_lshl_b64 s[40:41], s[34:35], 4
	v_cndmask_b32_e32 v21, 0, v39, vcc
	v_cndmask_b32_e32 v20, 0, v38, vcc
	v_lshl_add_u64 v[20:21], v[20:21], 0, v[32:33]
	v_and_b32_e32 v32, 1, v34
	s_add_u32 s40, s42, s40
	v_and_b32_e32 v33, 1, v52
	v_cmp_eq_u32_e32 vcc, 1, v32
	s_addc_u32 s41, s43, s41
	s_nop 0
	v_cndmask_b32_e64 v32, v33, 1, vcc
	global_store_dword v35, v20, s[40:41] sc1
	global_store_dword v35, v21, s[40:41] offset:4 sc1
	global_store_dword v35, v32, s[40:41] offset:8 sc1
	;; [unrolled: 1-line block ×3, first 2 shown]
	v_mov_b32_e32 v20, 2
	v_mov_b32_e32 v21, s34
	s_waitcnt vmcnt(0) lgkmcnt(0)
	global_store_byte v21, v20, s[44:45] sc1
.LBB127_137:
	s_or_b64 exec, exec, s[0:1]
	s_and_b64 exec, exec, s[36:37]
	s_cbranch_execz .LBB127_139
; %bb.138:
	v_mov_b32_e32 v20, 0
	ds_write_b64 v20, v[38:39]
	ds_write_b8 v20, v52 offset:8
.LBB127_139:
	s_or_b64 exec, exec, s[54:55]
	v_mov_b32_e32 v32, 0
	v_cmp_eq_u16_sdwa vcc, v71, v32 src0_sel:BYTE_0 src1_sel:DWORD
	v_and_b32_e32 v33, 1, v71
	s_waitcnt lgkmcnt(0)
	s_barrier
	ds_read_b64 v[20:21], v32
	v_cndmask_b32_e32 v4, 0, v4, vcc
	v_cndmask_b32_e32 v5, 0, v5, vcc
	v_cmp_eq_u32_e32 vcc, 1, v33
	s_or_b64 s[0:1], vcc, s[48:49]
	v_cndmask_b32_e64 v33, 0, 1, s[0:1]
	v_cndmask_b32_e64 v33, v33, v71, s[36:37]
	;; [unrolled: 1-line block ×4, first 2 shown]
	v_cmp_eq_u16_sdwa vcc, v33, v32 src0_sel:BYTE_0 src1_sel:DWORD
	v_lshl_add_u64 v[4:5], v[4:5], 0, v[2:3]
	s_waitcnt lgkmcnt(0)
	v_cndmask_b32_e32 v21, 0, v21, vcc
	v_cndmask_b32_e32 v20, 0, v20, vcc
	v_lshl_add_u64 v[32:33], v[4:5], 0, v[20:21]
	v_cndmask_b32_e64 v5, 0, v33, s[8:9]
	v_cndmask_b32_e64 v4, 0, v32, s[8:9]
	v_lshl_add_u64 v[34:35], v[4:5], 0, v[6:7]
	v_cndmask_b32_e64 v5, 0, v35, s[10:11]
	v_cndmask_b32_e64 v4, 0, v34, s[10:11]
	;; [unrolled: 3-line block ×13, first 2 shown]
	v_lshl_add_u64 v[58:59], v[4:5], 0, v[8:9]
	s_branch .LBB127_161
.LBB127_140:
	s_cmp_lg_u64 s[58:59], 0
	s_cselect_b64 s[0:1], -1, 0
	s_cmp_lg_u64 s[50:51], 0
	s_cselect_b64 s[6:7], -1, 0
	s_and_b64 s[0:1], s[0:1], s[6:7]
	s_and_b64 s[6:7], s[36:37], s[0:1]
	s_and_saveexec_b64 s[0:1], s[6:7]
	s_cbranch_execz .LBB127_142
; %bb.141:
	v_mov_b32_e32 v20, 0
	global_load_dwordx2 v[4:5], v20, s[50:51]
	global_load_ubyte v21, v20, s[50:51] offset:8
	v_cmp_eq_u16_sdwa vcc, v71, v20 src0_sel:BYTE_0 src1_sel:DWORD
	s_waitcnt vmcnt(0)
	v_bitop3_b16 v71, v71, 1, v21 bitop3:0xc8
	v_cndmask_b32_e32 v5, 0, v5, vcc
	v_cndmask_b32_e32 v4, 0, v4, vcc
	v_lshl_add_u64 v[2:3], v[4:5], 0, v[2:3]
.LBB127_142:
	s_or_b64 exec, exec, s[0:1]
	v_mov_b32_e32 v20, 0
	v_cmp_eq_u16_sdwa vcc, v79, v20 src0_sel:BYTE_0 src1_sel:DWORD
	s_movk_i32 s47, 0xff
	v_cmp_eq_u16_sdwa s[6:7], v78, v20 src0_sel:BYTE_0 src1_sel:DWORD
	v_cndmask_b32_e32 v5, 0, v3, vcc
	v_cndmask_b32_e32 v4, 0, v2, vcc
	v_lshl_add_u64 v[34:35], v[4:5], 0, v[6:7]
	v_bitop3_b16 v4, v71, s47, v79 bitop3:0xc8
	v_cmp_ne_u16_e64 s[0:1], 0, v4
	v_cndmask_b32_e64 v5, 0, v35, s[6:7]
	v_cndmask_b32_e64 v4, 0, v34, s[6:7]
	v_cmp_eq_u32_e64 s[8:9], 1, v80
	v_lshl_add_u64 v[36:37], v[4:5], 0, v[12:13]
	s_or_b64 s[30:31], s[0:1], s[8:9]
	v_cmp_eq_u16_sdwa s[8:9], v77, v20 src0_sel:BYTE_0 src1_sel:DWORD
	v_cmp_eq_u16_sdwa s[10:11], v76, v20 src0_sel:BYTE_0 src1_sel:DWORD
	;; [unrolled: 1-line block ×3, first 2 shown]
	v_cndmask_b32_e64 v5, 0, v37, s[8:9]
	v_cndmask_b32_e64 v4, 0, v36, s[8:9]
	v_lshl_add_u64 v[38:39], v[4:5], 0, v[10:11]
	v_cndmask_b32_e64 v5, 0, v39, s[10:11]
	v_cndmask_b32_e64 v4, 0, v38, s[10:11]
	v_lshl_add_u64 v[40:41], v[4:5], 0, v[16:17]
	v_bitop3_b16 v4, v76, s47, v77 bitop3:0xc8
	v_cmp_ne_u16_e64 s[0:1], 0, v4
	v_cndmask_b32_e64 v5, 0, v41, s[12:13]
	v_cndmask_b32_e64 v4, 0, v40, s[12:13]
	v_cmp_eq_u32_e64 s[14:15], 1, v67
	v_lshl_add_u64 v[42:43], v[4:5], 0, v[14:15]
	s_or_b64 s[34:35], s[0:1], s[14:15]
	v_cmp_eq_u16_sdwa s[14:15], v73, v20 src0_sel:BYTE_0 src1_sel:DWORD
	v_cmp_eq_u16_sdwa s[16:17], v74, v20 src0_sel:BYTE_0 src1_sel:DWORD
	v_cmp_eq_u16_sdwa s[18:19], v72, v20 src0_sel:BYTE_0 src1_sel:DWORD
	v_cndmask_b32_e64 v5, 0, v43, s[14:15]
	v_cndmask_b32_e64 v4, 0, v42, s[14:15]
	v_lshl_add_u64 v[44:45], v[4:5], 0, v[24:25]
	v_cndmask_b32_e64 v5, 0, v45, s[16:17]
	v_cndmask_b32_e64 v4, 0, v44, s[16:17]
	v_lshl_add_u64 v[46:47], v[4:5], 0, v[22:23]
	v_bitop3_b16 v4, v74, s47, v73 bitop3:0xc8
	v_cmp_ne_u16_e64 s[0:1], 0, v4
	v_cndmask_b32_e64 v5, 0, v47, s[18:19]
	v_cndmask_b32_e64 v4, 0, v46, s[18:19]
	v_cmp_eq_u32_e64 s[20:21], 1, v66
	v_lshl_add_u64 v[48:49], v[4:5], 0, v[28:29]
	s_or_b64 s[40:41], s[0:1], s[20:21]
	v_cmp_eq_u16_sdwa s[20:21], v70, v20 src0_sel:BYTE_0 src1_sel:DWORD
	v_cmp_eq_u16_sdwa s[22:23], v1, v20 src0_sel:BYTE_0 src1_sel:DWORD
	v_bitop3_b16 v1, v1, s47, v70 bitop3:0xc8
	v_cndmask_b32_e64 v5, 0, v49, s[20:21]
	v_cndmask_b32_e64 v4, 0, v48, s[20:21]
	v_lshl_add_u64 v[50:51], v[4:5], 0, v[26:27]
	v_cndmask_b32_e64 v5, 0, v51, s[22:23]
	v_cndmask_b32_e64 v4, 0, v50, s[22:23]
	v_lshl_add_u64 v[52:53], v[4:5], 0, v[64:65]
	v_cmp_ne_u16_e64 s[0:1], 0, v1
	v_cmp_eq_u16_sdwa s[24:25], v69, v20 src0_sel:BYTE_0 src1_sel:DWORD
	v_cmp_eq_u32_e64 s[26:27], 1, v63
	v_bitop3_b16 v1, v61, s47, v68 bitop3:0xc8
	v_cndmask_b32_e64 v5, 0, v53, s[24:25]
	v_cndmask_b32_e64 v4, 0, v52, s[24:25]
	s_or_b64 s[48:49], s[0:1], s[26:27]
	v_cmp_ne_u16_e64 s[0:1], 0, v1
	v_lshl_add_u64 v[54:55], v[4:5], 0, v[30:31]
	v_cmp_eq_u16_sdwa s[26:27], v68, v20 src0_sel:BYTE_0 src1_sel:DWORD
	s_or_b64 s[0:1], s[0:1], s[48:49]
	s_or_b64 s[0:1], s[0:1], s[40:41]
	v_cndmask_b32_e64 v5, 0, v55, s[26:27]
	v_cndmask_b32_e64 v4, 0, v54, s[26:27]
	v_lshl_add_u64 v[56:57], v[4:5], 0, v[18:19]
	v_cmp_eq_u16_e64 s[28:29], 0, v61
	s_or_b64 s[0:1], s[0:1], s[34:35]
	s_or_b64 s[0:1], s[0:1], s[30:31]
	v_cndmask_b32_e64 v5, 0, v57, s[28:29]
	v_cndmask_b32_e64 v4, 0, v56, s[28:29]
	v_and_b32_e32 v1, 0x70, v62
	v_lshl_add_u64 v[58:59], v[4:5], 0, v[8:9]
	v_cndmask_b32_e64 v32, 0, 1, s[0:1]
	v_lshl_add_u32 v1, v0, 4, v1
	v_cmp_gt_u32_e64 s[0:1], 64, v0
	ds_write_b64 v1, v[58:59]
	ds_write_b8 v1, v32 offset:8
	s_waitcnt lgkmcnt(0)
	s_barrier
	s_and_saveexec_b64 s[34:35], s[0:1]
	s_cbranch_execz .LBB127_156
; %bb.143:
	v_lshlrev_b32_e32 v1, 1, v0
	v_and_b32_e32 v1, 0x1f0, v1
	v_lshlrev_b32_e32 v4, 6, v0
	v_add_u32_e32 v1, v1, v4
	ds_read2_b64 v[66:69], v1 offset0:2 offset1:4
	ds_read_b64 v[4:5], v1
	ds_read_b32 v33, v1 offset:8
	ds_read_u8 v61, v1 offset:24
	ds_read_u8 v70, v1 offset:40
	ds_read_b64 v[20:21], v1 offset:48
	ds_read_u8 v72, v1 offset:56
	s_waitcnt lgkmcnt(4)
	v_and_b32_e32 v62, 1, v33
	s_waitcnt lgkmcnt(3)
	v_cmp_eq_u16_e64 s[30:31], 0, v61
	v_cmp_eq_u32_e64 s[0:1], 1, v62
	s_waitcnt lgkmcnt(0)
	v_bitop3_b16 v61, v70, v72, v61 bitop3:0xfe
	v_cndmask_b32_e64 v63, 0, v5, s[30:31]
	v_cndmask_b32_e64 v62, 0, v4, s[30:31]
	v_lshl_add_u64 v[62:63], v[62:63], 0, v[66:67]
	v_cmp_eq_u16_e64 s[30:31], 0, v70
	v_and_b32_e32 v61, 1, v61
	s_nop 0
	v_cndmask_b32_e64 v63, 0, v63, s[30:31]
	v_cndmask_b32_e64 v62, 0, v62, s[30:31]
	v_lshl_add_u64 v[62:63], v[62:63], 0, v[68:69]
	v_cmp_eq_u16_e64 s[30:31], 0, v72
	s_nop 1
	v_cndmask_b32_e64 v63, 0, v63, s[30:31]
	v_cndmask_b32_e64 v62, 0, v62, s[30:31]
	v_cmp_eq_u32_e64 s[30:31], 1, v61
	s_or_b64 s[30:31], s[30:31], s[0:1]
	v_mbcnt_lo_u32_b32 v61, -1, 0
	v_lshl_add_u64 v[20:21], v[62:63], 0, v[20:21]
	v_mbcnt_hi_u32_b32 v61, -1, v61
	v_and_b32_e32 v62, 0xffffff00, v33
	v_cndmask_b32_e64 v66, 0, 1, s[30:31]
	v_and_b32_e32 v67, 15, v61
	v_or_b32_e32 v66, v62, v66
	v_cndmask_b32_e64 v63, 0, 1, s[30:31]
	v_mov_b32_dpp v68, v20 row_shr:1 row_mask:0xf bank_mask:0xf
	v_mov_b32_dpp v70, v21 row_shr:1 row_mask:0xf bank_mask:0xf
	;; [unrolled: 1-line block ×3, first 2 shown]
	v_cmp_ne_u32_e64 s[0:1], 0, v67
	s_and_saveexec_b64 s[40:41], s[0:1]
; %bb.144:
	v_cndmask_b32_e64 v73, v70, 0, s[30:31]
	v_cndmask_b32_e64 v72, v68, 0, s[30:31]
	v_bitop3_b16 v63, v69, v63, 1 bitop3:0xec
	v_lshl_add_u64 v[20:21], v[72:73], 0, v[20:21]
	v_or_b32_sdwa v66, v62, v63 dst_sel:DWORD dst_unused:UNUSED_PAD src0_sel:DWORD src1_sel:WORD_0
; %bb.145:
	s_or_b64 exec, exec, s[40:41]
	v_mov_b32_dpp v69, v20 row_shr:2 row_mask:0xf bank_mask:0xf
	v_mov_b32_dpp v70, v21 row_shr:2 row_mask:0xf bank_mask:0xf
	;; [unrolled: 1-line block ×3, first 2 shown]
	v_cmp_lt_u32_e64 s[0:1], 1, v67
	s_and_saveexec_b64 s[40:41], s[0:1]
	s_cbranch_execz .LBB127_147
; %bb.146:
	v_cmp_eq_u16_e64 s[0:1], 0, v63
	v_and_b32_e32 v63, 1, v63
	s_nop 0
	v_cndmask_b32_e64 v73, 0, v70, s[0:1]
	v_cndmask_b32_e64 v72, 0, v69, s[0:1]
	v_cmp_eq_u32_e64 s[0:1], 1, v63
	v_and_b32_e32 v63, 1, v68
	v_cmp_eq_u32_e64 s[30:31], 1, v63
	s_or_b64 s[0:1], s[0:1], s[30:31]
	v_cndmask_b32_e64 v66, 0, 1, s[0:1]
	v_lshl_add_u64 v[20:21], v[72:73], 0, v[20:21]
	v_cndmask_b32_e64 v63, 0, 1, s[0:1]
	v_or_b32_e32 v66, v62, v66
.LBB127_147:
	s_or_b64 exec, exec, s[40:41]
	v_mov_b32_dpp v69, v20 row_shr:4 row_mask:0xf bank_mask:0xf
	v_mov_b32_dpp v70, v21 row_shr:4 row_mask:0xf bank_mask:0xf
	;; [unrolled: 1-line block ×3, first 2 shown]
	v_cmp_lt_u32_e64 s[0:1], 3, v67
	s_and_saveexec_b64 s[40:41], s[0:1]
	s_cbranch_execz .LBB127_149
; %bb.148:
	v_cmp_eq_u16_e64 s[0:1], 0, v63
	v_and_b32_e32 v63, 1, v63
	s_nop 0
	v_cndmask_b32_e64 v73, 0, v70, s[0:1]
	v_cndmask_b32_e64 v72, 0, v69, s[0:1]
	v_cmp_eq_u32_e64 s[0:1], 1, v63
	v_and_b32_e32 v63, 1, v68
	v_cmp_eq_u32_e64 s[30:31], 1, v63
	s_or_b64 s[0:1], s[0:1], s[30:31]
	v_cndmask_b32_e64 v66, 0, 1, s[0:1]
	v_lshl_add_u64 v[20:21], v[72:73], 0, v[20:21]
	v_cndmask_b32_e64 v63, 0, 1, s[0:1]
	v_or_b32_e32 v66, v62, v66
.LBB127_149:
	s_or_b64 exec, exec, s[40:41]
	v_mov_b32_dpp v69, v20 row_shr:8 row_mask:0xf bank_mask:0xf
	v_mov_b32_dpp v70, v21 row_shr:8 row_mask:0xf bank_mask:0xf
	;; [unrolled: 1-line block ×3, first 2 shown]
	v_cmp_lt_u32_e64 s[0:1], 7, v67
	s_and_saveexec_b64 s[40:41], s[0:1]
	s_cbranch_execz .LBB127_151
; %bb.150:
	v_cmp_eq_u16_e64 s[0:1], 0, v63
	v_and_b32_e32 v63, 1, v63
	s_nop 0
	v_cndmask_b32_e64 v67, 0, v70, s[0:1]
	v_cndmask_b32_e64 v66, 0, v69, s[0:1]
	v_cmp_eq_u32_e64 s[0:1], 1, v63
	v_and_b32_e32 v63, 1, v68
	v_cmp_eq_u32_e64 s[30:31], 1, v63
	s_or_b64 s[0:1], s[0:1], s[30:31]
	v_lshl_add_u64 v[20:21], v[66:67], 0, v[20:21]
	v_cndmask_b32_e64 v66, 0, 1, s[0:1]
	v_cndmask_b32_e64 v63, 0, 1, s[0:1]
	v_or_b32_e32 v66, v62, v66
.LBB127_151:
	s_or_b64 exec, exec, s[40:41]
	v_and_b32_e32 v70, 16, v61
	v_mov_b32_dpp v68, v20 row_bcast:15 row_mask:0xf bank_mask:0xf
	v_mov_b32_dpp v69, v21 row_bcast:15 row_mask:0xf bank_mask:0xf
	;; [unrolled: 1-line block ×3, first 2 shown]
	v_cmp_ne_u32_e64 s[0:1], 0, v70
	s_and_saveexec_b64 s[40:41], s[0:1]
	s_cbranch_execz .LBB127_153
; %bb.152:
	v_cmp_eq_u16_e64 s[0:1], 0, v63
	v_and_b32_e32 v63, 1, v63
	s_nop 0
	v_cndmask_b32_e64 v69, 0, v69, s[0:1]
	v_cndmask_b32_e64 v68, 0, v68, s[0:1]
	v_cmp_eq_u32_e64 s[0:1], 1, v63
	v_and_b32_e32 v63, 1, v67
	v_cmp_eq_u32_e64 s[30:31], 1, v63
	s_or_b64 s[0:1], s[0:1], s[30:31]
	v_cndmask_b32_e64 v66, 0, 1, s[0:1]
	v_lshl_add_u64 v[20:21], v[68:69], 0, v[20:21]
	v_cndmask_b32_e64 v63, 0, 1, s[0:1]
	v_or_b32_e32 v66, v62, v66
.LBB127_153:
	s_or_b64 exec, exec, s[40:41]
	v_mov_b32_dpp v67, v20 row_bcast:31 row_mask:0xf bank_mask:0xf
	v_mov_b32_dpp v68, v21 row_bcast:31 row_mask:0xf bank_mask:0xf
	;; [unrolled: 1-line block ×3, first 2 shown]
	v_cmp_lt_u32_e64 s[0:1], 31, v61
	s_and_saveexec_b64 s[40:41], s[0:1]
	s_cbranch_execz .LBB127_155
; %bb.154:
	v_cmp_eq_u16_e64 s[0:1], 0, v63
	v_and_b32_e32 v63, 1, v63
	s_nop 0
	v_cndmask_b32_e64 v69, 0, v68, s[0:1]
	v_cndmask_b32_e64 v68, 0, v67, s[0:1]
	v_cmp_eq_u32_e64 s[0:1], 1, v63
	v_and_b32_e32 v63, 1, v66
	v_cmp_eq_u32_e64 s[30:31], 1, v63
	s_or_b64 s[0:1], s[0:1], s[30:31]
	v_lshl_add_u64 v[20:21], v[68:69], 0, v[20:21]
	v_cndmask_b32_e64 v63, 0, 1, s[0:1]
.LBB127_155:
	s_or_b64 exec, exec, s[40:41]
	v_add_u32_e32 v66, -1, v61
	v_and_b32_e32 v67, 64, v61
	v_cmp_lt_i32_e64 s[0:1], v66, v67
	v_or_b32_sdwa v62, v62, v63 dst_sel:DWORD dst_unused:UNUSED_PAD src0_sel:DWORD src1_sel:WORD_0
	s_nop 0
	v_cndmask_b32_e64 v61, v66, v61, s[0:1]
	v_lshlrev_b32_e32 v61, 2, v61
	ds_bpermute_b32 v20, v61, v20
	ds_bpermute_b32 v21, v61, v21
	ds_bpermute_b32 v61, v61, v62
	v_mov_b32_e32 v62, 0
	v_cmp_eq_u32_sdwa s[0:1], v33, v62 src0_sel:BYTE_0 src1_sel:DWORD
	; wave barrier
	s_waitcnt lgkmcnt(1)
	s_nop 0
	v_cndmask_b32_e64 v21, 0, v21, s[0:1]
	v_cndmask_b32_e64 v20, 0, v20, s[0:1]
	v_lshl_add_u64 v[4:5], v[20:21], 0, v[4:5]
	s_waitcnt lgkmcnt(0)
	v_or_b32_e32 v20, v61, v33
	v_and_b32_e32 v20, 1, v20
	v_cndmask_b32_e64 v5, v5, v59, s[36:37]
	v_cndmask_b32_e64 v4, v4, v58, s[36:37]
	;; [unrolled: 1-line block ×3, first 2 shown]
	ds_write_b64 v1, v[4:5]
	ds_write_b8 v1, v61 offset:8
	; wave barrier
	ds_read_u8 v63, v1 offset:24
	ds_read2_b64 v[66:69], v1 offset0:2 offset1:4
	ds_read_u8 v70, v1 offset:40
	ds_read_b64 v[20:21], v1 offset:48
	ds_read_u8 v72, v1 offset:56
	s_waitcnt lgkmcnt(4)
	v_cmp_eq_u16_sdwa s[0:1], v63, v62 src0_sel:BYTE_0 src1_sel:DWORD
	v_bitop3_b16 v32, v63, 1, v61 bitop3:0xc8
	ds_write_b8 v1, v32 offset:24
	v_cndmask_b32_e64 v5, 0, v5, s[0:1]
	v_cndmask_b32_e64 v4, 0, v4, s[0:1]
	s_waitcnt lgkmcnt(4)
	v_lshl_add_u64 v[4:5], v[4:5], 0, v[66:67]
	s_waitcnt lgkmcnt(3)
	v_cmp_eq_u16_sdwa s[0:1], v70, v62 src0_sel:BYTE_0 src1_sel:DWORD
	v_or_b32_e32 v66, v63, v61
	v_bitop3_b16 v62, v70, 1, v66 bitop3:0xc8
	v_cndmask_b32_e64 v33, 0, v5, s[0:1]
	v_cndmask_b32_e64 v32, 0, v4, s[0:1]
	v_lshl_add_u64 v[32:33], v[32:33], 0, v[68:69]
	s_waitcnt lgkmcnt(1)
	v_cmp_eq_u16_e64 s[0:1], 0, v72
	ds_write2_b64 v1, v[4:5], v[32:33] offset0:2 offset1:4
	ds_write_b8 v1, v62 offset:40
	v_cndmask_b32_e64 v5, 0, v33, s[0:1]
	v_cndmask_b32_e64 v4, 0, v32, s[0:1]
	v_bitop3_b16 v61, v70, v63, v61 bitop3:0xfe
	v_lshl_add_u64 v[4:5], v[4:5], 0, v[20:21]
	v_bitop3_b16 v20, v72, 1, v61 bitop3:0xc8
	ds_write_b64 v1, v[4:5] offset:48
	ds_write_b8 v1, v20 offset:56
.LBB127_156:
	s_or_b64 exec, exec, s[34:35]
	s_waitcnt lgkmcnt(0)
	s_barrier
	s_and_saveexec_b64 s[30:31], s[4:5]
	s_cbranch_execz .LBB127_158
; %bb.157:
	v_add_u32_e32 v1, -1, v0
	v_lshrrev_b32_e32 v4, 1, v1
	v_and_b32_e32 v4, 0x7ffffff0, v4
	v_lshl_add_u32 v1, v1, 4, v4
	ds_read_b64 v[4:5], v1
	v_mov_b32_e32 v1, 0
	v_cmp_eq_u16_sdwa s[0:1], v71, v1 src0_sel:BYTE_0 src1_sel:DWORD
	;;#ASMSTART
	;;#ASMEND
	s_waitcnt lgkmcnt(0)
	s_nop 0
	v_cndmask_b32_e64 v5, 0, v5, s[0:1]
	v_cndmask_b32_e64 v4, 0, v4, s[0:1]
	v_lshl_add_u64 v[2:3], v[4:5], 0, v[2:3]
	v_cndmask_b32_e32 v5, 0, v3, vcc
	v_cndmask_b32_e32 v4, 0, v2, vcc
	v_lshl_add_u64 v[34:35], v[4:5], 0, v[6:7]
	v_cndmask_b32_e64 v5, 0, v35, s[6:7]
	v_cndmask_b32_e64 v4, 0, v34, s[6:7]
	v_lshl_add_u64 v[36:37], v[4:5], 0, v[12:13]
	v_cndmask_b32_e64 v5, 0, v37, s[8:9]
	v_cndmask_b32_e64 v4, 0, v36, s[8:9]
	;; [unrolled: 3-line block ×12, first 2 shown]
	v_lshl_add_u64 v[58:59], v[4:5], 0, v[8:9]
.LBB127_158:
	s_or_b64 exec, exec, s[30:31]
	s_and_saveexec_b64 s[0:1], s[36:37]
	s_cbranch_execz .LBB127_160
; %bb.159:
	v_mov_b32_e32 v1, 0
	ds_read_b64 v[4:5], v1 offset:4192
	ds_read_u8 v6, v1 offset:4200
	s_waitcnt lgkmcnt(1)
	global_store_dword v1, v4, s[42:43] offset:1024 sc1
	global_store_dword v1, v5, s[42:43] offset:1028 sc1
	s_waitcnt lgkmcnt(0)
	global_store_dword v1, v6, s[42:43] offset:1032 sc1
	global_store_dword v1, v1, s[42:43] offset:1036 sc1
	v_mov_b32_e32 v4, 2
	s_waitcnt vmcnt(0)
	global_store_byte v1, v4, s[44:45] offset:64 sc1
.LBB127_160:
	s_or_b64 exec, exec, s[0:1]
	v_mov_b64_e32 v[32:33], v[2:3]
.LBB127_161:
	s_add_u32 s0, s38, s56
	s_addc_u32 s1, s39, s57
	s_add_u32 s0, s0, s52
	s_addc_u32 s1, s1, s53
	s_and_b64 vcc, exec, s[2:3]
	s_cbranch_vccz .LBB127_209
; %bb.162:
	s_add_i32 s33, s33, s46
	v_mul_u32_u24_e32 v1, 14, v0
	v_cmp_gt_u32_e32 vcc, s33, v1
	s_and_saveexec_b64 s[2:3], vcc
	s_cbranch_execz .LBB127_182
; %bb.163:
	v_or_b32_e32 v2, 1, v1
	v_cmp_gt_u32_e32 vcc, s33, v2
	s_and_saveexec_b64 s[4:5], vcc
	s_cbranch_execz .LBB127_181
; %bb.164:
	v_add_u32_e32 v2, 2, v1
	v_cmp_gt_u32_e32 vcc, s33, v2
	s_and_saveexec_b64 s[6:7], vcc
	s_cbranch_execz .LBB127_180
; %bb.165:
	v_add_u32_e32 v2, 3, v1
	;; [unrolled: 5-line block ×8, first 2 shown]
	v_cmp_gt_u32_e32 vcc, s33, v2
	s_and_saveexec_b64 s[20:21], vcc
; %bb.172:
	v_add_u32_e32 v2, 10, v1
	v_cmp_gt_u32_e32 vcc, s33, v2
	s_and_saveexec_b64 s[22:23], vcc
	s_or_b64 exec, exec, s[22:23]
; %bb.173:
	s_or_b64 exec, exec, s[20:21]
.LBB127_174:
	s_or_b64 exec, exec, s[18:19]
.LBB127_175:
	s_or_b64 exec, exec, s[16:17]
.LBB127_176:
	s_or_b64 exec, exec, s[14:15]
.LBB127_177:
	s_or_b64 exec, exec, s[12:13]
.LBB127_178:
	s_or_b64 exec, exec, s[10:11]
.LBB127_179:
	s_or_b64 exec, exec, s[8:9]
.LBB127_180:
	s_or_b64 exec, exec, s[6:7]
.LBB127_181:
	s_or_b64 exec, exec, s[4:5]
.LBB127_182:
	s_or_b64 exec, exec, s[2:3]
	v_lshlrev_b32_e32 v1, 3, v1
	s_movk_i32 s2, 0xff98
	v_mad_i32_i24 v26, v0, s2, v1
	s_barrier
	ds_write_b128 v1, v[32:35]
	ds_write_b128 v1, v[36:39] offset:16
	ds_write_b128 v1, v[40:43] offset:32
	;; [unrolled: 1-line block ×6, first 2 shown]
	s_waitcnt lgkmcnt(0)
	s_barrier
	ds_read2st64_b64 v[22:25], v26 offset0:4 offset1:8
	ds_read2st64_b64 v[18:21], v26 offset0:12 offset1:16
	;; [unrolled: 1-line block ×6, first 2 shown]
	ds_read_b64 v[28:29], v26 offset:26624
	v_mov_b32_e32 v61, 0
	v_lshl_add_u64 v[26:27], s[0:1], 0, v[60:61]
	v_cmp_gt_u32_e32 vcc, s33, v0
	s_and_saveexec_b64 s[2:3], vcc
	s_cbranch_execz .LBB127_184
; %bb.183:
	v_mul_i32_i24_e32 v30, 0xffffff98, v0
	v_add_u32_e32 v1, v1, v30
	ds_read_b64 v[30:31], v1
	s_waitcnt lgkmcnt(0)
	global_store_dwordx2 v[26:27], v[30:31], off
.LBB127_184:
	s_or_b64 exec, exec, s[2:3]
	v_or_b32_e32 v1, 0x100, v0
	v_cmp_gt_u32_e32 vcc, s33, v1
	s_and_saveexec_b64 s[2:3], vcc
	s_cbranch_execz .LBB127_186
; %bb.185:
	s_waitcnt lgkmcnt(6)
	global_store_dwordx2 v[26:27], v[22:23], off offset:2048
.LBB127_186:
	s_or_b64 exec, exec, s[2:3]
	v_or_b32_e32 v1, 0x200, v0
	v_cmp_gt_u32_e32 vcc, s33, v1
	s_and_saveexec_b64 s[2:3], vcc
	s_cbranch_execz .LBB127_188
; %bb.187:
	s_waitcnt lgkmcnt(6)
	v_add_co_u32_e32 v22, vcc, 0x1000, v26
	s_nop 1
	v_addc_co_u32_e32 v23, vcc, 0, v27, vcc
	global_store_dwordx2 v[22:23], v[24:25], off
.LBB127_188:
	s_or_b64 exec, exec, s[2:3]
	v_or_b32_e32 v1, 0x300, v0
	v_cmp_gt_u32_e32 vcc, s33, v1
	s_and_saveexec_b64 s[2:3], vcc
	s_cbranch_execz .LBB127_190
; %bb.189:
	s_waitcnt lgkmcnt(6)
	v_add_co_u32_e32 v22, vcc, 0x1000, v26
	s_nop 1
	v_addc_co_u32_e32 v23, vcc, 0, v27, vcc
	s_waitcnt lgkmcnt(5)
	global_store_dwordx2 v[22:23], v[18:19], off offset:2048
.LBB127_190:
	s_or_b64 exec, exec, s[2:3]
	v_or_b32_e32 v1, 0x400, v0
	v_cmp_gt_u32_e32 vcc, s33, v1
	s_and_saveexec_b64 s[2:3], vcc
	s_cbranch_execz .LBB127_192
; %bb.191:
	s_waitcnt lgkmcnt(5)
	v_add_co_u32_e32 v18, vcc, 0x2000, v26
	s_nop 1
	v_addc_co_u32_e32 v19, vcc, 0, v27, vcc
	global_store_dwordx2 v[18:19], v[20:21], off
.LBB127_192:
	s_or_b64 exec, exec, s[2:3]
	v_or_b32_e32 v1, 0x500, v0
	v_cmp_gt_u32_e32 vcc, s33, v1
	s_and_saveexec_b64 s[2:3], vcc
	s_cbranch_execz .LBB127_194
; %bb.193:
	s_waitcnt lgkmcnt(5)
	v_add_co_u32_e32 v18, vcc, 0x2000, v26
	s_nop 1
	v_addc_co_u32_e32 v19, vcc, 0, v27, vcc
	s_waitcnt lgkmcnt(4)
	global_store_dwordx2 v[18:19], v[14:15], off offset:2048
.LBB127_194:
	;; [unrolled: 25-line block ×5, first 2 shown]
	s_or_b64 exec, exec, s[2:3]
	v_or_b32_e32 v1, 0xc00, v0
	v_cmp_gt_u32_e32 vcc, s33, v1
	s_and_saveexec_b64 s[2:3], vcc
	s_cbranch_execz .LBB127_208
; %bb.207:
	s_waitcnt lgkmcnt(1)
	v_add_co_u32_e32 v2, vcc, 0x6000, v26
	s_nop 1
	v_addc_co_u32_e32 v3, vcc, 0, v27, vcc
	global_store_dwordx2 v[2:3], v[4:5], off
.LBB127_208:
	s_or_b64 exec, exec, s[2:3]
	v_or_b32_e32 v1, 0xd00, v0
	v_cmp_gt_u32_e64 s[2:3], s33, v1
	s_branch .LBB127_211
.LBB127_209:
	s_mov_b64 s[2:3], 0
                                        ; implicit-def: $vgpr28_vgpr29
	s_cbranch_execz .LBB127_211
; %bb.210:
	v_mul_u32_u24_e32 v1, 0x70, v0
	s_waitcnt lgkmcnt(0)
	s_barrier
	s_movk_i32 s4, 0x70
	ds_write_b128 v1, v[32:35]
	ds_write_b128 v1, v[36:39] offset:16
	ds_write_b128 v1, v[40:43] offset:32
	;; [unrolled: 1-line block ×6, first 2 shown]
	v_mul_i32_i24_e32 v1, 0xffffff98, v0
	v_mad_u32_u24 v1, v0, s4, v1
	v_mov_b32_e32 v61, 0
	s_waitcnt lgkmcnt(0)
	s_barrier
	ds_read2st64_b64 v[2:5], v1 offset1:4
	ds_read2st64_b64 v[6:9], v1 offset0:8 offset1:12
	ds_read2st64_b64 v[10:13], v1 offset0:16 offset1:20
	ds_read2st64_b64 v[14:17], v1 offset0:24 offset1:28
	ds_read2st64_b64 v[18:21], v1 offset0:32 offset1:36
	ds_read2st64_b64 v[22:25], v1 offset0:40 offset1:44
	ds_read2st64_b64 v[26:29], v1 offset0:48 offset1:52
	v_lshl_add_u64 v[30:31], s[0:1], 0, v[60:61]
	s_movk_i32 s4, 0x1000
	s_waitcnt lgkmcnt(6)
	global_store_dwordx2 v60, v[2:3], s[0:1]
	global_store_dwordx2 v60, v[4:5], s[0:1] offset:2048
	v_add_co_u32_e32 v2, vcc, s4, v30
	s_movk_i32 s4, 0x2000
	s_nop 0
	v_addc_co_u32_e32 v3, vcc, 0, v31, vcc
	v_add_co_u32_e32 v4, vcc, s4, v30
	s_movk_i32 s4, 0x3000
	s_nop 0
	v_addc_co_u32_e32 v5, vcc, 0, v31, vcc
	s_waitcnt lgkmcnt(5)
	global_store_dwordx2 v[4:5], v[6:7], off offset:-4096
	global_store_dwordx2 v[2:3], v[8:9], off offset:2048
	s_waitcnt lgkmcnt(4)
	global_store_dwordx2 v[4:5], v[10:11], off
	global_store_dwordx2 v[4:5], v[12:13], off offset:2048
	v_add_co_u32_e32 v2, vcc, s4, v30
	s_movk_i32 s4, 0x4000
	s_nop 0
	v_addc_co_u32_e32 v3, vcc, 0, v31, vcc
	v_add_co_u32_e32 v4, vcc, s4, v30
	s_or_b64 s[2:3], s[2:3], exec
	s_nop 0
	v_addc_co_u32_e32 v5, vcc, 0, v31, vcc
	s_waitcnt lgkmcnt(3)
	global_store_dwordx2 v[4:5], v[14:15], off offset:-4096
	global_store_dwordx2 v[2:3], v[16:17], off offset:2048
	s_waitcnt lgkmcnt(2)
	global_store_dwordx2 v[4:5], v[18:19], off
	global_store_dwordx2 v[4:5], v[20:21], off offset:2048
	v_add_co_u32_e32 v2, vcc, 0x5000, v30
	s_nop 1
	v_addc_co_u32_e32 v3, vcc, 0, v31, vcc
	s_waitcnt lgkmcnt(1)
	global_store_dwordx2 v[2:3], v[22:23], off
	global_store_dwordx2 v[2:3], v[24:25], off offset:2048
	v_add_co_u32_e32 v2, vcc, 0x6000, v30
	s_nop 1
	v_addc_co_u32_e32 v3, vcc, 0, v31, vcc
	s_waitcnt lgkmcnt(0)
	global_store_dwordx2 v[2:3], v[26:27], off
.LBB127_211:
	s_and_saveexec_b64 s[4:5], s[2:3]
	s_cbranch_execnz .LBB127_213
; %bb.212:
	s_endpgm
.LBB127_213:
	v_lshlrev_b32_e32 v0, 3, v0
	v_mov_b32_e32 v1, 0
	v_lshl_add_u64 v[0:1], s[0:1], 0, v[0:1]
	v_add_co_u32_e32 v0, vcc, 0x6000, v0
	s_nop 1
	v_addc_co_u32_e32 v1, vcc, 0, v1, vcc
	s_waitcnt lgkmcnt(0)
	global_store_dwordx2 v[0:1], v[28:29], off offset:2048
	s_endpgm
	.section	.rodata,"a",@progbits
	.p2align	6, 0x0
	.amdhsa_kernel _ZN7rocprim17ROCPRIM_400000_NS6detail17trampoline_kernelINS0_14default_configENS1_27scan_by_key_config_selectorIllEEZZNS1_16scan_by_key_implILNS1_25lookback_scan_determinismE0ELb0ES3_PKlN6hipcub16HIPCUB_304000_NS21ConstantInputIteratorIllEEPllNSB_3SumENSB_8EqualityElEE10hipError_tPvRmT2_T3_T4_T5_mT6_T7_P12ihipStream_tbENKUlT_T0_E_clISt17integral_constantIbLb0EESW_IbLb1EEEEDaSS_ST_EUlSS_E_NS1_11comp_targetILNS1_3genE0ELNS1_11target_archE4294967295ELNS1_3gpuE0ELNS1_3repE0EEENS1_30default_config_static_selectorELNS0_4arch9wavefront6targetE1EEEvT1_
		.amdhsa_group_segment_fixed_size 32768
		.amdhsa_private_segment_fixed_size 0
		.amdhsa_kernarg_size 144
		.amdhsa_user_sgpr_count 2
		.amdhsa_user_sgpr_dispatch_ptr 0
		.amdhsa_user_sgpr_queue_ptr 0
		.amdhsa_user_sgpr_kernarg_segment_ptr 1
		.amdhsa_user_sgpr_dispatch_id 0
		.amdhsa_user_sgpr_kernarg_preload_length 0
		.amdhsa_user_sgpr_kernarg_preload_offset 0
		.amdhsa_user_sgpr_private_segment_size 0
		.amdhsa_uses_dynamic_stack 0
		.amdhsa_enable_private_segment 0
		.amdhsa_system_sgpr_workgroup_id_x 1
		.amdhsa_system_sgpr_workgroup_id_y 0
		.amdhsa_system_sgpr_workgroup_id_z 0
		.amdhsa_system_sgpr_workgroup_info 0
		.amdhsa_system_vgpr_workitem_id 0
		.amdhsa_next_free_vgpr 110
		.amdhsa_next_free_sgpr 96
		.amdhsa_accum_offset 112
		.amdhsa_reserve_vcc 1
		.amdhsa_float_round_mode_32 0
		.amdhsa_float_round_mode_16_64 0
		.amdhsa_float_denorm_mode_32 3
		.amdhsa_float_denorm_mode_16_64 3
		.amdhsa_dx10_clamp 1
		.amdhsa_ieee_mode 1
		.amdhsa_fp16_overflow 0
		.amdhsa_tg_split 0
		.amdhsa_exception_fp_ieee_invalid_op 0
		.amdhsa_exception_fp_denorm_src 0
		.amdhsa_exception_fp_ieee_div_zero 0
		.amdhsa_exception_fp_ieee_overflow 0
		.amdhsa_exception_fp_ieee_underflow 0
		.amdhsa_exception_fp_ieee_inexact 0
		.amdhsa_exception_int_div_zero 0
	.end_amdhsa_kernel
	.section	.text._ZN7rocprim17ROCPRIM_400000_NS6detail17trampoline_kernelINS0_14default_configENS1_27scan_by_key_config_selectorIllEEZZNS1_16scan_by_key_implILNS1_25lookback_scan_determinismE0ELb0ES3_PKlN6hipcub16HIPCUB_304000_NS21ConstantInputIteratorIllEEPllNSB_3SumENSB_8EqualityElEE10hipError_tPvRmT2_T3_T4_T5_mT6_T7_P12ihipStream_tbENKUlT_T0_E_clISt17integral_constantIbLb0EESW_IbLb1EEEEDaSS_ST_EUlSS_E_NS1_11comp_targetILNS1_3genE0ELNS1_11target_archE4294967295ELNS1_3gpuE0ELNS1_3repE0EEENS1_30default_config_static_selectorELNS0_4arch9wavefront6targetE1EEEvT1_,"axG",@progbits,_ZN7rocprim17ROCPRIM_400000_NS6detail17trampoline_kernelINS0_14default_configENS1_27scan_by_key_config_selectorIllEEZZNS1_16scan_by_key_implILNS1_25lookback_scan_determinismE0ELb0ES3_PKlN6hipcub16HIPCUB_304000_NS21ConstantInputIteratorIllEEPllNSB_3SumENSB_8EqualityElEE10hipError_tPvRmT2_T3_T4_T5_mT6_T7_P12ihipStream_tbENKUlT_T0_E_clISt17integral_constantIbLb0EESW_IbLb1EEEEDaSS_ST_EUlSS_E_NS1_11comp_targetILNS1_3genE0ELNS1_11target_archE4294967295ELNS1_3gpuE0ELNS1_3repE0EEENS1_30default_config_static_selectorELNS0_4arch9wavefront6targetE1EEEvT1_,comdat
.Lfunc_end127:
	.size	_ZN7rocprim17ROCPRIM_400000_NS6detail17trampoline_kernelINS0_14default_configENS1_27scan_by_key_config_selectorIllEEZZNS1_16scan_by_key_implILNS1_25lookback_scan_determinismE0ELb0ES3_PKlN6hipcub16HIPCUB_304000_NS21ConstantInputIteratorIllEEPllNSB_3SumENSB_8EqualityElEE10hipError_tPvRmT2_T3_T4_T5_mT6_T7_P12ihipStream_tbENKUlT_T0_E_clISt17integral_constantIbLb0EESW_IbLb1EEEEDaSS_ST_EUlSS_E_NS1_11comp_targetILNS1_3genE0ELNS1_11target_archE4294967295ELNS1_3gpuE0ELNS1_3repE0EEENS1_30default_config_static_selectorELNS0_4arch9wavefront6targetE1EEEvT1_, .Lfunc_end127-_ZN7rocprim17ROCPRIM_400000_NS6detail17trampoline_kernelINS0_14default_configENS1_27scan_by_key_config_selectorIllEEZZNS1_16scan_by_key_implILNS1_25lookback_scan_determinismE0ELb0ES3_PKlN6hipcub16HIPCUB_304000_NS21ConstantInputIteratorIllEEPllNSB_3SumENSB_8EqualityElEE10hipError_tPvRmT2_T3_T4_T5_mT6_T7_P12ihipStream_tbENKUlT_T0_E_clISt17integral_constantIbLb0EESW_IbLb1EEEEDaSS_ST_EUlSS_E_NS1_11comp_targetILNS1_3genE0ELNS1_11target_archE4294967295ELNS1_3gpuE0ELNS1_3repE0EEENS1_30default_config_static_selectorELNS0_4arch9wavefront6targetE1EEEvT1_
                                        ; -- End function
	.set _ZN7rocprim17ROCPRIM_400000_NS6detail17trampoline_kernelINS0_14default_configENS1_27scan_by_key_config_selectorIllEEZZNS1_16scan_by_key_implILNS1_25lookback_scan_determinismE0ELb0ES3_PKlN6hipcub16HIPCUB_304000_NS21ConstantInputIteratorIllEEPllNSB_3SumENSB_8EqualityElEE10hipError_tPvRmT2_T3_T4_T5_mT6_T7_P12ihipStream_tbENKUlT_T0_E_clISt17integral_constantIbLb0EESW_IbLb1EEEEDaSS_ST_EUlSS_E_NS1_11comp_targetILNS1_3genE0ELNS1_11target_archE4294967295ELNS1_3gpuE0ELNS1_3repE0EEENS1_30default_config_static_selectorELNS0_4arch9wavefront6targetE1EEEvT1_.num_vgpr, 110
	.set _ZN7rocprim17ROCPRIM_400000_NS6detail17trampoline_kernelINS0_14default_configENS1_27scan_by_key_config_selectorIllEEZZNS1_16scan_by_key_implILNS1_25lookback_scan_determinismE0ELb0ES3_PKlN6hipcub16HIPCUB_304000_NS21ConstantInputIteratorIllEEPllNSB_3SumENSB_8EqualityElEE10hipError_tPvRmT2_T3_T4_T5_mT6_T7_P12ihipStream_tbENKUlT_T0_E_clISt17integral_constantIbLb0EESW_IbLb1EEEEDaSS_ST_EUlSS_E_NS1_11comp_targetILNS1_3genE0ELNS1_11target_archE4294967295ELNS1_3gpuE0ELNS1_3repE0EEENS1_30default_config_static_selectorELNS0_4arch9wavefront6targetE1EEEvT1_.num_agpr, 0
	.set _ZN7rocprim17ROCPRIM_400000_NS6detail17trampoline_kernelINS0_14default_configENS1_27scan_by_key_config_selectorIllEEZZNS1_16scan_by_key_implILNS1_25lookback_scan_determinismE0ELb0ES3_PKlN6hipcub16HIPCUB_304000_NS21ConstantInputIteratorIllEEPllNSB_3SumENSB_8EqualityElEE10hipError_tPvRmT2_T3_T4_T5_mT6_T7_P12ihipStream_tbENKUlT_T0_E_clISt17integral_constantIbLb0EESW_IbLb1EEEEDaSS_ST_EUlSS_E_NS1_11comp_targetILNS1_3genE0ELNS1_11target_archE4294967295ELNS1_3gpuE0ELNS1_3repE0EEENS1_30default_config_static_selectorELNS0_4arch9wavefront6targetE1EEEvT1_.numbered_sgpr, 71
	.set _ZN7rocprim17ROCPRIM_400000_NS6detail17trampoline_kernelINS0_14default_configENS1_27scan_by_key_config_selectorIllEEZZNS1_16scan_by_key_implILNS1_25lookback_scan_determinismE0ELb0ES3_PKlN6hipcub16HIPCUB_304000_NS21ConstantInputIteratorIllEEPllNSB_3SumENSB_8EqualityElEE10hipError_tPvRmT2_T3_T4_T5_mT6_T7_P12ihipStream_tbENKUlT_T0_E_clISt17integral_constantIbLb0EESW_IbLb1EEEEDaSS_ST_EUlSS_E_NS1_11comp_targetILNS1_3genE0ELNS1_11target_archE4294967295ELNS1_3gpuE0ELNS1_3repE0EEENS1_30default_config_static_selectorELNS0_4arch9wavefront6targetE1EEEvT1_.num_named_barrier, 0
	.set _ZN7rocprim17ROCPRIM_400000_NS6detail17trampoline_kernelINS0_14default_configENS1_27scan_by_key_config_selectorIllEEZZNS1_16scan_by_key_implILNS1_25lookback_scan_determinismE0ELb0ES3_PKlN6hipcub16HIPCUB_304000_NS21ConstantInputIteratorIllEEPllNSB_3SumENSB_8EqualityElEE10hipError_tPvRmT2_T3_T4_T5_mT6_T7_P12ihipStream_tbENKUlT_T0_E_clISt17integral_constantIbLb0EESW_IbLb1EEEEDaSS_ST_EUlSS_E_NS1_11comp_targetILNS1_3genE0ELNS1_11target_archE4294967295ELNS1_3gpuE0ELNS1_3repE0EEENS1_30default_config_static_selectorELNS0_4arch9wavefront6targetE1EEEvT1_.private_seg_size, 0
	.set _ZN7rocprim17ROCPRIM_400000_NS6detail17trampoline_kernelINS0_14default_configENS1_27scan_by_key_config_selectorIllEEZZNS1_16scan_by_key_implILNS1_25lookback_scan_determinismE0ELb0ES3_PKlN6hipcub16HIPCUB_304000_NS21ConstantInputIteratorIllEEPllNSB_3SumENSB_8EqualityElEE10hipError_tPvRmT2_T3_T4_T5_mT6_T7_P12ihipStream_tbENKUlT_T0_E_clISt17integral_constantIbLb0EESW_IbLb1EEEEDaSS_ST_EUlSS_E_NS1_11comp_targetILNS1_3genE0ELNS1_11target_archE4294967295ELNS1_3gpuE0ELNS1_3repE0EEENS1_30default_config_static_selectorELNS0_4arch9wavefront6targetE1EEEvT1_.uses_vcc, 1
	.set _ZN7rocprim17ROCPRIM_400000_NS6detail17trampoline_kernelINS0_14default_configENS1_27scan_by_key_config_selectorIllEEZZNS1_16scan_by_key_implILNS1_25lookback_scan_determinismE0ELb0ES3_PKlN6hipcub16HIPCUB_304000_NS21ConstantInputIteratorIllEEPllNSB_3SumENSB_8EqualityElEE10hipError_tPvRmT2_T3_T4_T5_mT6_T7_P12ihipStream_tbENKUlT_T0_E_clISt17integral_constantIbLb0EESW_IbLb1EEEEDaSS_ST_EUlSS_E_NS1_11comp_targetILNS1_3genE0ELNS1_11target_archE4294967295ELNS1_3gpuE0ELNS1_3repE0EEENS1_30default_config_static_selectorELNS0_4arch9wavefront6targetE1EEEvT1_.uses_flat_scratch, 0
	.set _ZN7rocprim17ROCPRIM_400000_NS6detail17trampoline_kernelINS0_14default_configENS1_27scan_by_key_config_selectorIllEEZZNS1_16scan_by_key_implILNS1_25lookback_scan_determinismE0ELb0ES3_PKlN6hipcub16HIPCUB_304000_NS21ConstantInputIteratorIllEEPllNSB_3SumENSB_8EqualityElEE10hipError_tPvRmT2_T3_T4_T5_mT6_T7_P12ihipStream_tbENKUlT_T0_E_clISt17integral_constantIbLb0EESW_IbLb1EEEEDaSS_ST_EUlSS_E_NS1_11comp_targetILNS1_3genE0ELNS1_11target_archE4294967295ELNS1_3gpuE0ELNS1_3repE0EEENS1_30default_config_static_selectorELNS0_4arch9wavefront6targetE1EEEvT1_.has_dyn_sized_stack, 0
	.set _ZN7rocprim17ROCPRIM_400000_NS6detail17trampoline_kernelINS0_14default_configENS1_27scan_by_key_config_selectorIllEEZZNS1_16scan_by_key_implILNS1_25lookback_scan_determinismE0ELb0ES3_PKlN6hipcub16HIPCUB_304000_NS21ConstantInputIteratorIllEEPllNSB_3SumENSB_8EqualityElEE10hipError_tPvRmT2_T3_T4_T5_mT6_T7_P12ihipStream_tbENKUlT_T0_E_clISt17integral_constantIbLb0EESW_IbLb1EEEEDaSS_ST_EUlSS_E_NS1_11comp_targetILNS1_3genE0ELNS1_11target_archE4294967295ELNS1_3gpuE0ELNS1_3repE0EEENS1_30default_config_static_selectorELNS0_4arch9wavefront6targetE1EEEvT1_.has_recursion, 0
	.set _ZN7rocprim17ROCPRIM_400000_NS6detail17trampoline_kernelINS0_14default_configENS1_27scan_by_key_config_selectorIllEEZZNS1_16scan_by_key_implILNS1_25lookback_scan_determinismE0ELb0ES3_PKlN6hipcub16HIPCUB_304000_NS21ConstantInputIteratorIllEEPllNSB_3SumENSB_8EqualityElEE10hipError_tPvRmT2_T3_T4_T5_mT6_T7_P12ihipStream_tbENKUlT_T0_E_clISt17integral_constantIbLb0EESW_IbLb1EEEEDaSS_ST_EUlSS_E_NS1_11comp_targetILNS1_3genE0ELNS1_11target_archE4294967295ELNS1_3gpuE0ELNS1_3repE0EEENS1_30default_config_static_selectorELNS0_4arch9wavefront6targetE1EEEvT1_.has_indirect_call, 0
	.section	.AMDGPU.csdata,"",@progbits
; Kernel info:
; codeLenInByte = 13700
; TotalNumSgprs: 77
; NumVgprs: 110
; NumAgprs: 0
; TotalNumVgprs: 110
; ScratchSize: 0
; MemoryBound: 0
; FloatMode: 240
; IeeeMode: 1
; LDSByteSize: 32768 bytes/workgroup (compile time only)
; SGPRBlocks: 12
; VGPRBlocks: 13
; NumSGPRsForWavesPerEU: 102
; NumVGPRsForWavesPerEU: 110
; AccumOffset: 112
; Occupancy: 4
; WaveLimiterHint : 1
; COMPUTE_PGM_RSRC2:SCRATCH_EN: 0
; COMPUTE_PGM_RSRC2:USER_SGPR: 2
; COMPUTE_PGM_RSRC2:TRAP_HANDLER: 0
; COMPUTE_PGM_RSRC2:TGID_X_EN: 1
; COMPUTE_PGM_RSRC2:TGID_Y_EN: 0
; COMPUTE_PGM_RSRC2:TGID_Z_EN: 0
; COMPUTE_PGM_RSRC2:TIDIG_COMP_CNT: 0
; COMPUTE_PGM_RSRC3_GFX90A:ACCUM_OFFSET: 27
; COMPUTE_PGM_RSRC3_GFX90A:TG_SPLIT: 0
	.section	.text._ZN7rocprim17ROCPRIM_400000_NS6detail17trampoline_kernelINS0_14default_configENS1_27scan_by_key_config_selectorIllEEZZNS1_16scan_by_key_implILNS1_25lookback_scan_determinismE0ELb0ES3_PKlN6hipcub16HIPCUB_304000_NS21ConstantInputIteratorIllEEPllNSB_3SumENSB_8EqualityElEE10hipError_tPvRmT2_T3_T4_T5_mT6_T7_P12ihipStream_tbENKUlT_T0_E_clISt17integral_constantIbLb0EESW_IbLb1EEEEDaSS_ST_EUlSS_E_NS1_11comp_targetILNS1_3genE10ELNS1_11target_archE1201ELNS1_3gpuE5ELNS1_3repE0EEENS1_30default_config_static_selectorELNS0_4arch9wavefront6targetE1EEEvT1_,"axG",@progbits,_ZN7rocprim17ROCPRIM_400000_NS6detail17trampoline_kernelINS0_14default_configENS1_27scan_by_key_config_selectorIllEEZZNS1_16scan_by_key_implILNS1_25lookback_scan_determinismE0ELb0ES3_PKlN6hipcub16HIPCUB_304000_NS21ConstantInputIteratorIllEEPllNSB_3SumENSB_8EqualityElEE10hipError_tPvRmT2_T3_T4_T5_mT6_T7_P12ihipStream_tbENKUlT_T0_E_clISt17integral_constantIbLb0EESW_IbLb1EEEEDaSS_ST_EUlSS_E_NS1_11comp_targetILNS1_3genE10ELNS1_11target_archE1201ELNS1_3gpuE5ELNS1_3repE0EEENS1_30default_config_static_selectorELNS0_4arch9wavefront6targetE1EEEvT1_,comdat
	.protected	_ZN7rocprim17ROCPRIM_400000_NS6detail17trampoline_kernelINS0_14default_configENS1_27scan_by_key_config_selectorIllEEZZNS1_16scan_by_key_implILNS1_25lookback_scan_determinismE0ELb0ES3_PKlN6hipcub16HIPCUB_304000_NS21ConstantInputIteratorIllEEPllNSB_3SumENSB_8EqualityElEE10hipError_tPvRmT2_T3_T4_T5_mT6_T7_P12ihipStream_tbENKUlT_T0_E_clISt17integral_constantIbLb0EESW_IbLb1EEEEDaSS_ST_EUlSS_E_NS1_11comp_targetILNS1_3genE10ELNS1_11target_archE1201ELNS1_3gpuE5ELNS1_3repE0EEENS1_30default_config_static_selectorELNS0_4arch9wavefront6targetE1EEEvT1_ ; -- Begin function _ZN7rocprim17ROCPRIM_400000_NS6detail17trampoline_kernelINS0_14default_configENS1_27scan_by_key_config_selectorIllEEZZNS1_16scan_by_key_implILNS1_25lookback_scan_determinismE0ELb0ES3_PKlN6hipcub16HIPCUB_304000_NS21ConstantInputIteratorIllEEPllNSB_3SumENSB_8EqualityElEE10hipError_tPvRmT2_T3_T4_T5_mT6_T7_P12ihipStream_tbENKUlT_T0_E_clISt17integral_constantIbLb0EESW_IbLb1EEEEDaSS_ST_EUlSS_E_NS1_11comp_targetILNS1_3genE10ELNS1_11target_archE1201ELNS1_3gpuE5ELNS1_3repE0EEENS1_30default_config_static_selectorELNS0_4arch9wavefront6targetE1EEEvT1_
	.globl	_ZN7rocprim17ROCPRIM_400000_NS6detail17trampoline_kernelINS0_14default_configENS1_27scan_by_key_config_selectorIllEEZZNS1_16scan_by_key_implILNS1_25lookback_scan_determinismE0ELb0ES3_PKlN6hipcub16HIPCUB_304000_NS21ConstantInputIteratorIllEEPllNSB_3SumENSB_8EqualityElEE10hipError_tPvRmT2_T3_T4_T5_mT6_T7_P12ihipStream_tbENKUlT_T0_E_clISt17integral_constantIbLb0EESW_IbLb1EEEEDaSS_ST_EUlSS_E_NS1_11comp_targetILNS1_3genE10ELNS1_11target_archE1201ELNS1_3gpuE5ELNS1_3repE0EEENS1_30default_config_static_selectorELNS0_4arch9wavefront6targetE1EEEvT1_
	.p2align	8
	.type	_ZN7rocprim17ROCPRIM_400000_NS6detail17trampoline_kernelINS0_14default_configENS1_27scan_by_key_config_selectorIllEEZZNS1_16scan_by_key_implILNS1_25lookback_scan_determinismE0ELb0ES3_PKlN6hipcub16HIPCUB_304000_NS21ConstantInputIteratorIllEEPllNSB_3SumENSB_8EqualityElEE10hipError_tPvRmT2_T3_T4_T5_mT6_T7_P12ihipStream_tbENKUlT_T0_E_clISt17integral_constantIbLb0EESW_IbLb1EEEEDaSS_ST_EUlSS_E_NS1_11comp_targetILNS1_3genE10ELNS1_11target_archE1201ELNS1_3gpuE5ELNS1_3repE0EEENS1_30default_config_static_selectorELNS0_4arch9wavefront6targetE1EEEvT1_,@function
_ZN7rocprim17ROCPRIM_400000_NS6detail17trampoline_kernelINS0_14default_configENS1_27scan_by_key_config_selectorIllEEZZNS1_16scan_by_key_implILNS1_25lookback_scan_determinismE0ELb0ES3_PKlN6hipcub16HIPCUB_304000_NS21ConstantInputIteratorIllEEPllNSB_3SumENSB_8EqualityElEE10hipError_tPvRmT2_T3_T4_T5_mT6_T7_P12ihipStream_tbENKUlT_T0_E_clISt17integral_constantIbLb0EESW_IbLb1EEEEDaSS_ST_EUlSS_E_NS1_11comp_targetILNS1_3genE10ELNS1_11target_archE1201ELNS1_3gpuE5ELNS1_3repE0EEENS1_30default_config_static_selectorELNS0_4arch9wavefront6targetE1EEEvT1_: ; @_ZN7rocprim17ROCPRIM_400000_NS6detail17trampoline_kernelINS0_14default_configENS1_27scan_by_key_config_selectorIllEEZZNS1_16scan_by_key_implILNS1_25lookback_scan_determinismE0ELb0ES3_PKlN6hipcub16HIPCUB_304000_NS21ConstantInputIteratorIllEEPllNSB_3SumENSB_8EqualityElEE10hipError_tPvRmT2_T3_T4_T5_mT6_T7_P12ihipStream_tbENKUlT_T0_E_clISt17integral_constantIbLb0EESW_IbLb1EEEEDaSS_ST_EUlSS_E_NS1_11comp_targetILNS1_3genE10ELNS1_11target_archE1201ELNS1_3gpuE5ELNS1_3repE0EEENS1_30default_config_static_selectorELNS0_4arch9wavefront6targetE1EEEvT1_
; %bb.0:
	.section	.rodata,"a",@progbits
	.p2align	6, 0x0
	.amdhsa_kernel _ZN7rocprim17ROCPRIM_400000_NS6detail17trampoline_kernelINS0_14default_configENS1_27scan_by_key_config_selectorIllEEZZNS1_16scan_by_key_implILNS1_25lookback_scan_determinismE0ELb0ES3_PKlN6hipcub16HIPCUB_304000_NS21ConstantInputIteratorIllEEPllNSB_3SumENSB_8EqualityElEE10hipError_tPvRmT2_T3_T4_T5_mT6_T7_P12ihipStream_tbENKUlT_T0_E_clISt17integral_constantIbLb0EESW_IbLb1EEEEDaSS_ST_EUlSS_E_NS1_11comp_targetILNS1_3genE10ELNS1_11target_archE1201ELNS1_3gpuE5ELNS1_3repE0EEENS1_30default_config_static_selectorELNS0_4arch9wavefront6targetE1EEEvT1_
		.amdhsa_group_segment_fixed_size 0
		.amdhsa_private_segment_fixed_size 0
		.amdhsa_kernarg_size 144
		.amdhsa_user_sgpr_count 2
		.amdhsa_user_sgpr_dispatch_ptr 0
		.amdhsa_user_sgpr_queue_ptr 0
		.amdhsa_user_sgpr_kernarg_segment_ptr 1
		.amdhsa_user_sgpr_dispatch_id 0
		.amdhsa_user_sgpr_kernarg_preload_length 0
		.amdhsa_user_sgpr_kernarg_preload_offset 0
		.amdhsa_user_sgpr_private_segment_size 0
		.amdhsa_uses_dynamic_stack 0
		.amdhsa_enable_private_segment 0
		.amdhsa_system_sgpr_workgroup_id_x 1
		.amdhsa_system_sgpr_workgroup_id_y 0
		.amdhsa_system_sgpr_workgroup_id_z 0
		.amdhsa_system_sgpr_workgroup_info 0
		.amdhsa_system_vgpr_workitem_id 0
		.amdhsa_next_free_vgpr 1
		.amdhsa_next_free_sgpr 0
		.amdhsa_accum_offset 4
		.amdhsa_reserve_vcc 0
		.amdhsa_float_round_mode_32 0
		.amdhsa_float_round_mode_16_64 0
		.amdhsa_float_denorm_mode_32 3
		.amdhsa_float_denorm_mode_16_64 3
		.amdhsa_dx10_clamp 1
		.amdhsa_ieee_mode 1
		.amdhsa_fp16_overflow 0
		.amdhsa_tg_split 0
		.amdhsa_exception_fp_ieee_invalid_op 0
		.amdhsa_exception_fp_denorm_src 0
		.amdhsa_exception_fp_ieee_div_zero 0
		.amdhsa_exception_fp_ieee_overflow 0
		.amdhsa_exception_fp_ieee_underflow 0
		.amdhsa_exception_fp_ieee_inexact 0
		.amdhsa_exception_int_div_zero 0
	.end_amdhsa_kernel
	.section	.text._ZN7rocprim17ROCPRIM_400000_NS6detail17trampoline_kernelINS0_14default_configENS1_27scan_by_key_config_selectorIllEEZZNS1_16scan_by_key_implILNS1_25lookback_scan_determinismE0ELb0ES3_PKlN6hipcub16HIPCUB_304000_NS21ConstantInputIteratorIllEEPllNSB_3SumENSB_8EqualityElEE10hipError_tPvRmT2_T3_T4_T5_mT6_T7_P12ihipStream_tbENKUlT_T0_E_clISt17integral_constantIbLb0EESW_IbLb1EEEEDaSS_ST_EUlSS_E_NS1_11comp_targetILNS1_3genE10ELNS1_11target_archE1201ELNS1_3gpuE5ELNS1_3repE0EEENS1_30default_config_static_selectorELNS0_4arch9wavefront6targetE1EEEvT1_,"axG",@progbits,_ZN7rocprim17ROCPRIM_400000_NS6detail17trampoline_kernelINS0_14default_configENS1_27scan_by_key_config_selectorIllEEZZNS1_16scan_by_key_implILNS1_25lookback_scan_determinismE0ELb0ES3_PKlN6hipcub16HIPCUB_304000_NS21ConstantInputIteratorIllEEPllNSB_3SumENSB_8EqualityElEE10hipError_tPvRmT2_T3_T4_T5_mT6_T7_P12ihipStream_tbENKUlT_T0_E_clISt17integral_constantIbLb0EESW_IbLb1EEEEDaSS_ST_EUlSS_E_NS1_11comp_targetILNS1_3genE10ELNS1_11target_archE1201ELNS1_3gpuE5ELNS1_3repE0EEENS1_30default_config_static_selectorELNS0_4arch9wavefront6targetE1EEEvT1_,comdat
.Lfunc_end128:
	.size	_ZN7rocprim17ROCPRIM_400000_NS6detail17trampoline_kernelINS0_14default_configENS1_27scan_by_key_config_selectorIllEEZZNS1_16scan_by_key_implILNS1_25lookback_scan_determinismE0ELb0ES3_PKlN6hipcub16HIPCUB_304000_NS21ConstantInputIteratorIllEEPllNSB_3SumENSB_8EqualityElEE10hipError_tPvRmT2_T3_T4_T5_mT6_T7_P12ihipStream_tbENKUlT_T0_E_clISt17integral_constantIbLb0EESW_IbLb1EEEEDaSS_ST_EUlSS_E_NS1_11comp_targetILNS1_3genE10ELNS1_11target_archE1201ELNS1_3gpuE5ELNS1_3repE0EEENS1_30default_config_static_selectorELNS0_4arch9wavefront6targetE1EEEvT1_, .Lfunc_end128-_ZN7rocprim17ROCPRIM_400000_NS6detail17trampoline_kernelINS0_14default_configENS1_27scan_by_key_config_selectorIllEEZZNS1_16scan_by_key_implILNS1_25lookback_scan_determinismE0ELb0ES3_PKlN6hipcub16HIPCUB_304000_NS21ConstantInputIteratorIllEEPllNSB_3SumENSB_8EqualityElEE10hipError_tPvRmT2_T3_T4_T5_mT6_T7_P12ihipStream_tbENKUlT_T0_E_clISt17integral_constantIbLb0EESW_IbLb1EEEEDaSS_ST_EUlSS_E_NS1_11comp_targetILNS1_3genE10ELNS1_11target_archE1201ELNS1_3gpuE5ELNS1_3repE0EEENS1_30default_config_static_selectorELNS0_4arch9wavefront6targetE1EEEvT1_
                                        ; -- End function
	.set _ZN7rocprim17ROCPRIM_400000_NS6detail17trampoline_kernelINS0_14default_configENS1_27scan_by_key_config_selectorIllEEZZNS1_16scan_by_key_implILNS1_25lookback_scan_determinismE0ELb0ES3_PKlN6hipcub16HIPCUB_304000_NS21ConstantInputIteratorIllEEPllNSB_3SumENSB_8EqualityElEE10hipError_tPvRmT2_T3_T4_T5_mT6_T7_P12ihipStream_tbENKUlT_T0_E_clISt17integral_constantIbLb0EESW_IbLb1EEEEDaSS_ST_EUlSS_E_NS1_11comp_targetILNS1_3genE10ELNS1_11target_archE1201ELNS1_3gpuE5ELNS1_3repE0EEENS1_30default_config_static_selectorELNS0_4arch9wavefront6targetE1EEEvT1_.num_vgpr, 0
	.set _ZN7rocprim17ROCPRIM_400000_NS6detail17trampoline_kernelINS0_14default_configENS1_27scan_by_key_config_selectorIllEEZZNS1_16scan_by_key_implILNS1_25lookback_scan_determinismE0ELb0ES3_PKlN6hipcub16HIPCUB_304000_NS21ConstantInputIteratorIllEEPllNSB_3SumENSB_8EqualityElEE10hipError_tPvRmT2_T3_T4_T5_mT6_T7_P12ihipStream_tbENKUlT_T0_E_clISt17integral_constantIbLb0EESW_IbLb1EEEEDaSS_ST_EUlSS_E_NS1_11comp_targetILNS1_3genE10ELNS1_11target_archE1201ELNS1_3gpuE5ELNS1_3repE0EEENS1_30default_config_static_selectorELNS0_4arch9wavefront6targetE1EEEvT1_.num_agpr, 0
	.set _ZN7rocprim17ROCPRIM_400000_NS6detail17trampoline_kernelINS0_14default_configENS1_27scan_by_key_config_selectorIllEEZZNS1_16scan_by_key_implILNS1_25lookback_scan_determinismE0ELb0ES3_PKlN6hipcub16HIPCUB_304000_NS21ConstantInputIteratorIllEEPllNSB_3SumENSB_8EqualityElEE10hipError_tPvRmT2_T3_T4_T5_mT6_T7_P12ihipStream_tbENKUlT_T0_E_clISt17integral_constantIbLb0EESW_IbLb1EEEEDaSS_ST_EUlSS_E_NS1_11comp_targetILNS1_3genE10ELNS1_11target_archE1201ELNS1_3gpuE5ELNS1_3repE0EEENS1_30default_config_static_selectorELNS0_4arch9wavefront6targetE1EEEvT1_.numbered_sgpr, 0
	.set _ZN7rocprim17ROCPRIM_400000_NS6detail17trampoline_kernelINS0_14default_configENS1_27scan_by_key_config_selectorIllEEZZNS1_16scan_by_key_implILNS1_25lookback_scan_determinismE0ELb0ES3_PKlN6hipcub16HIPCUB_304000_NS21ConstantInputIteratorIllEEPllNSB_3SumENSB_8EqualityElEE10hipError_tPvRmT2_T3_T4_T5_mT6_T7_P12ihipStream_tbENKUlT_T0_E_clISt17integral_constantIbLb0EESW_IbLb1EEEEDaSS_ST_EUlSS_E_NS1_11comp_targetILNS1_3genE10ELNS1_11target_archE1201ELNS1_3gpuE5ELNS1_3repE0EEENS1_30default_config_static_selectorELNS0_4arch9wavefront6targetE1EEEvT1_.num_named_barrier, 0
	.set _ZN7rocprim17ROCPRIM_400000_NS6detail17trampoline_kernelINS0_14default_configENS1_27scan_by_key_config_selectorIllEEZZNS1_16scan_by_key_implILNS1_25lookback_scan_determinismE0ELb0ES3_PKlN6hipcub16HIPCUB_304000_NS21ConstantInputIteratorIllEEPllNSB_3SumENSB_8EqualityElEE10hipError_tPvRmT2_T3_T4_T5_mT6_T7_P12ihipStream_tbENKUlT_T0_E_clISt17integral_constantIbLb0EESW_IbLb1EEEEDaSS_ST_EUlSS_E_NS1_11comp_targetILNS1_3genE10ELNS1_11target_archE1201ELNS1_3gpuE5ELNS1_3repE0EEENS1_30default_config_static_selectorELNS0_4arch9wavefront6targetE1EEEvT1_.private_seg_size, 0
	.set _ZN7rocprim17ROCPRIM_400000_NS6detail17trampoline_kernelINS0_14default_configENS1_27scan_by_key_config_selectorIllEEZZNS1_16scan_by_key_implILNS1_25lookback_scan_determinismE0ELb0ES3_PKlN6hipcub16HIPCUB_304000_NS21ConstantInputIteratorIllEEPllNSB_3SumENSB_8EqualityElEE10hipError_tPvRmT2_T3_T4_T5_mT6_T7_P12ihipStream_tbENKUlT_T0_E_clISt17integral_constantIbLb0EESW_IbLb1EEEEDaSS_ST_EUlSS_E_NS1_11comp_targetILNS1_3genE10ELNS1_11target_archE1201ELNS1_3gpuE5ELNS1_3repE0EEENS1_30default_config_static_selectorELNS0_4arch9wavefront6targetE1EEEvT1_.uses_vcc, 0
	.set _ZN7rocprim17ROCPRIM_400000_NS6detail17trampoline_kernelINS0_14default_configENS1_27scan_by_key_config_selectorIllEEZZNS1_16scan_by_key_implILNS1_25lookback_scan_determinismE0ELb0ES3_PKlN6hipcub16HIPCUB_304000_NS21ConstantInputIteratorIllEEPllNSB_3SumENSB_8EqualityElEE10hipError_tPvRmT2_T3_T4_T5_mT6_T7_P12ihipStream_tbENKUlT_T0_E_clISt17integral_constantIbLb0EESW_IbLb1EEEEDaSS_ST_EUlSS_E_NS1_11comp_targetILNS1_3genE10ELNS1_11target_archE1201ELNS1_3gpuE5ELNS1_3repE0EEENS1_30default_config_static_selectorELNS0_4arch9wavefront6targetE1EEEvT1_.uses_flat_scratch, 0
	.set _ZN7rocprim17ROCPRIM_400000_NS6detail17trampoline_kernelINS0_14default_configENS1_27scan_by_key_config_selectorIllEEZZNS1_16scan_by_key_implILNS1_25lookback_scan_determinismE0ELb0ES3_PKlN6hipcub16HIPCUB_304000_NS21ConstantInputIteratorIllEEPllNSB_3SumENSB_8EqualityElEE10hipError_tPvRmT2_T3_T4_T5_mT6_T7_P12ihipStream_tbENKUlT_T0_E_clISt17integral_constantIbLb0EESW_IbLb1EEEEDaSS_ST_EUlSS_E_NS1_11comp_targetILNS1_3genE10ELNS1_11target_archE1201ELNS1_3gpuE5ELNS1_3repE0EEENS1_30default_config_static_selectorELNS0_4arch9wavefront6targetE1EEEvT1_.has_dyn_sized_stack, 0
	.set _ZN7rocprim17ROCPRIM_400000_NS6detail17trampoline_kernelINS0_14default_configENS1_27scan_by_key_config_selectorIllEEZZNS1_16scan_by_key_implILNS1_25lookback_scan_determinismE0ELb0ES3_PKlN6hipcub16HIPCUB_304000_NS21ConstantInputIteratorIllEEPllNSB_3SumENSB_8EqualityElEE10hipError_tPvRmT2_T3_T4_T5_mT6_T7_P12ihipStream_tbENKUlT_T0_E_clISt17integral_constantIbLb0EESW_IbLb1EEEEDaSS_ST_EUlSS_E_NS1_11comp_targetILNS1_3genE10ELNS1_11target_archE1201ELNS1_3gpuE5ELNS1_3repE0EEENS1_30default_config_static_selectorELNS0_4arch9wavefront6targetE1EEEvT1_.has_recursion, 0
	.set _ZN7rocprim17ROCPRIM_400000_NS6detail17trampoline_kernelINS0_14default_configENS1_27scan_by_key_config_selectorIllEEZZNS1_16scan_by_key_implILNS1_25lookback_scan_determinismE0ELb0ES3_PKlN6hipcub16HIPCUB_304000_NS21ConstantInputIteratorIllEEPllNSB_3SumENSB_8EqualityElEE10hipError_tPvRmT2_T3_T4_T5_mT6_T7_P12ihipStream_tbENKUlT_T0_E_clISt17integral_constantIbLb0EESW_IbLb1EEEEDaSS_ST_EUlSS_E_NS1_11comp_targetILNS1_3genE10ELNS1_11target_archE1201ELNS1_3gpuE5ELNS1_3repE0EEENS1_30default_config_static_selectorELNS0_4arch9wavefront6targetE1EEEvT1_.has_indirect_call, 0
	.section	.AMDGPU.csdata,"",@progbits
; Kernel info:
; codeLenInByte = 0
; TotalNumSgprs: 6
; NumVgprs: 0
; NumAgprs: 0
; TotalNumVgprs: 0
; ScratchSize: 0
; MemoryBound: 0
; FloatMode: 240
; IeeeMode: 1
; LDSByteSize: 0 bytes/workgroup (compile time only)
; SGPRBlocks: 0
; VGPRBlocks: 0
; NumSGPRsForWavesPerEU: 6
; NumVGPRsForWavesPerEU: 1
; AccumOffset: 4
; Occupancy: 8
; WaveLimiterHint : 0
; COMPUTE_PGM_RSRC2:SCRATCH_EN: 0
; COMPUTE_PGM_RSRC2:USER_SGPR: 2
; COMPUTE_PGM_RSRC2:TRAP_HANDLER: 0
; COMPUTE_PGM_RSRC2:TGID_X_EN: 1
; COMPUTE_PGM_RSRC2:TGID_Y_EN: 0
; COMPUTE_PGM_RSRC2:TGID_Z_EN: 0
; COMPUTE_PGM_RSRC2:TIDIG_COMP_CNT: 0
; COMPUTE_PGM_RSRC3_GFX90A:ACCUM_OFFSET: 0
; COMPUTE_PGM_RSRC3_GFX90A:TG_SPLIT: 0
	.section	.text._ZN7rocprim17ROCPRIM_400000_NS6detail17trampoline_kernelINS0_14default_configENS1_27scan_by_key_config_selectorIllEEZZNS1_16scan_by_key_implILNS1_25lookback_scan_determinismE0ELb0ES3_PKlN6hipcub16HIPCUB_304000_NS21ConstantInputIteratorIllEEPllNSB_3SumENSB_8EqualityElEE10hipError_tPvRmT2_T3_T4_T5_mT6_T7_P12ihipStream_tbENKUlT_T0_E_clISt17integral_constantIbLb0EESW_IbLb1EEEEDaSS_ST_EUlSS_E_NS1_11comp_targetILNS1_3genE5ELNS1_11target_archE942ELNS1_3gpuE9ELNS1_3repE0EEENS1_30default_config_static_selectorELNS0_4arch9wavefront6targetE1EEEvT1_,"axG",@progbits,_ZN7rocprim17ROCPRIM_400000_NS6detail17trampoline_kernelINS0_14default_configENS1_27scan_by_key_config_selectorIllEEZZNS1_16scan_by_key_implILNS1_25lookback_scan_determinismE0ELb0ES3_PKlN6hipcub16HIPCUB_304000_NS21ConstantInputIteratorIllEEPllNSB_3SumENSB_8EqualityElEE10hipError_tPvRmT2_T3_T4_T5_mT6_T7_P12ihipStream_tbENKUlT_T0_E_clISt17integral_constantIbLb0EESW_IbLb1EEEEDaSS_ST_EUlSS_E_NS1_11comp_targetILNS1_3genE5ELNS1_11target_archE942ELNS1_3gpuE9ELNS1_3repE0EEENS1_30default_config_static_selectorELNS0_4arch9wavefront6targetE1EEEvT1_,comdat
	.protected	_ZN7rocprim17ROCPRIM_400000_NS6detail17trampoline_kernelINS0_14default_configENS1_27scan_by_key_config_selectorIllEEZZNS1_16scan_by_key_implILNS1_25lookback_scan_determinismE0ELb0ES3_PKlN6hipcub16HIPCUB_304000_NS21ConstantInputIteratorIllEEPllNSB_3SumENSB_8EqualityElEE10hipError_tPvRmT2_T3_T4_T5_mT6_T7_P12ihipStream_tbENKUlT_T0_E_clISt17integral_constantIbLb0EESW_IbLb1EEEEDaSS_ST_EUlSS_E_NS1_11comp_targetILNS1_3genE5ELNS1_11target_archE942ELNS1_3gpuE9ELNS1_3repE0EEENS1_30default_config_static_selectorELNS0_4arch9wavefront6targetE1EEEvT1_ ; -- Begin function _ZN7rocprim17ROCPRIM_400000_NS6detail17trampoline_kernelINS0_14default_configENS1_27scan_by_key_config_selectorIllEEZZNS1_16scan_by_key_implILNS1_25lookback_scan_determinismE0ELb0ES3_PKlN6hipcub16HIPCUB_304000_NS21ConstantInputIteratorIllEEPllNSB_3SumENSB_8EqualityElEE10hipError_tPvRmT2_T3_T4_T5_mT6_T7_P12ihipStream_tbENKUlT_T0_E_clISt17integral_constantIbLb0EESW_IbLb1EEEEDaSS_ST_EUlSS_E_NS1_11comp_targetILNS1_3genE5ELNS1_11target_archE942ELNS1_3gpuE9ELNS1_3repE0EEENS1_30default_config_static_selectorELNS0_4arch9wavefront6targetE1EEEvT1_
	.globl	_ZN7rocprim17ROCPRIM_400000_NS6detail17trampoline_kernelINS0_14default_configENS1_27scan_by_key_config_selectorIllEEZZNS1_16scan_by_key_implILNS1_25lookback_scan_determinismE0ELb0ES3_PKlN6hipcub16HIPCUB_304000_NS21ConstantInputIteratorIllEEPllNSB_3SumENSB_8EqualityElEE10hipError_tPvRmT2_T3_T4_T5_mT6_T7_P12ihipStream_tbENKUlT_T0_E_clISt17integral_constantIbLb0EESW_IbLb1EEEEDaSS_ST_EUlSS_E_NS1_11comp_targetILNS1_3genE5ELNS1_11target_archE942ELNS1_3gpuE9ELNS1_3repE0EEENS1_30default_config_static_selectorELNS0_4arch9wavefront6targetE1EEEvT1_
	.p2align	8
	.type	_ZN7rocprim17ROCPRIM_400000_NS6detail17trampoline_kernelINS0_14default_configENS1_27scan_by_key_config_selectorIllEEZZNS1_16scan_by_key_implILNS1_25lookback_scan_determinismE0ELb0ES3_PKlN6hipcub16HIPCUB_304000_NS21ConstantInputIteratorIllEEPllNSB_3SumENSB_8EqualityElEE10hipError_tPvRmT2_T3_T4_T5_mT6_T7_P12ihipStream_tbENKUlT_T0_E_clISt17integral_constantIbLb0EESW_IbLb1EEEEDaSS_ST_EUlSS_E_NS1_11comp_targetILNS1_3genE5ELNS1_11target_archE942ELNS1_3gpuE9ELNS1_3repE0EEENS1_30default_config_static_selectorELNS0_4arch9wavefront6targetE1EEEvT1_,@function
_ZN7rocprim17ROCPRIM_400000_NS6detail17trampoline_kernelINS0_14default_configENS1_27scan_by_key_config_selectorIllEEZZNS1_16scan_by_key_implILNS1_25lookback_scan_determinismE0ELb0ES3_PKlN6hipcub16HIPCUB_304000_NS21ConstantInputIteratorIllEEPllNSB_3SumENSB_8EqualityElEE10hipError_tPvRmT2_T3_T4_T5_mT6_T7_P12ihipStream_tbENKUlT_T0_E_clISt17integral_constantIbLb0EESW_IbLb1EEEEDaSS_ST_EUlSS_E_NS1_11comp_targetILNS1_3genE5ELNS1_11target_archE942ELNS1_3gpuE9ELNS1_3repE0EEENS1_30default_config_static_selectorELNS0_4arch9wavefront6targetE1EEEvT1_: ; @_ZN7rocprim17ROCPRIM_400000_NS6detail17trampoline_kernelINS0_14default_configENS1_27scan_by_key_config_selectorIllEEZZNS1_16scan_by_key_implILNS1_25lookback_scan_determinismE0ELb0ES3_PKlN6hipcub16HIPCUB_304000_NS21ConstantInputIteratorIllEEPllNSB_3SumENSB_8EqualityElEE10hipError_tPvRmT2_T3_T4_T5_mT6_T7_P12ihipStream_tbENKUlT_T0_E_clISt17integral_constantIbLb0EESW_IbLb1EEEEDaSS_ST_EUlSS_E_NS1_11comp_targetILNS1_3genE5ELNS1_11target_archE942ELNS1_3gpuE9ELNS1_3repE0EEENS1_30default_config_static_selectorELNS0_4arch9wavefront6targetE1EEEvT1_
; %bb.0:
	.section	.rodata,"a",@progbits
	.p2align	6, 0x0
	.amdhsa_kernel _ZN7rocprim17ROCPRIM_400000_NS6detail17trampoline_kernelINS0_14default_configENS1_27scan_by_key_config_selectorIllEEZZNS1_16scan_by_key_implILNS1_25lookback_scan_determinismE0ELb0ES3_PKlN6hipcub16HIPCUB_304000_NS21ConstantInputIteratorIllEEPllNSB_3SumENSB_8EqualityElEE10hipError_tPvRmT2_T3_T4_T5_mT6_T7_P12ihipStream_tbENKUlT_T0_E_clISt17integral_constantIbLb0EESW_IbLb1EEEEDaSS_ST_EUlSS_E_NS1_11comp_targetILNS1_3genE5ELNS1_11target_archE942ELNS1_3gpuE9ELNS1_3repE0EEENS1_30default_config_static_selectorELNS0_4arch9wavefront6targetE1EEEvT1_
		.amdhsa_group_segment_fixed_size 0
		.amdhsa_private_segment_fixed_size 0
		.amdhsa_kernarg_size 144
		.amdhsa_user_sgpr_count 2
		.amdhsa_user_sgpr_dispatch_ptr 0
		.amdhsa_user_sgpr_queue_ptr 0
		.amdhsa_user_sgpr_kernarg_segment_ptr 1
		.amdhsa_user_sgpr_dispatch_id 0
		.amdhsa_user_sgpr_kernarg_preload_length 0
		.amdhsa_user_sgpr_kernarg_preload_offset 0
		.amdhsa_user_sgpr_private_segment_size 0
		.amdhsa_uses_dynamic_stack 0
		.amdhsa_enable_private_segment 0
		.amdhsa_system_sgpr_workgroup_id_x 1
		.amdhsa_system_sgpr_workgroup_id_y 0
		.amdhsa_system_sgpr_workgroup_id_z 0
		.amdhsa_system_sgpr_workgroup_info 0
		.amdhsa_system_vgpr_workitem_id 0
		.amdhsa_next_free_vgpr 1
		.amdhsa_next_free_sgpr 0
		.amdhsa_accum_offset 4
		.amdhsa_reserve_vcc 0
		.amdhsa_float_round_mode_32 0
		.amdhsa_float_round_mode_16_64 0
		.amdhsa_float_denorm_mode_32 3
		.amdhsa_float_denorm_mode_16_64 3
		.amdhsa_dx10_clamp 1
		.amdhsa_ieee_mode 1
		.amdhsa_fp16_overflow 0
		.amdhsa_tg_split 0
		.amdhsa_exception_fp_ieee_invalid_op 0
		.amdhsa_exception_fp_denorm_src 0
		.amdhsa_exception_fp_ieee_div_zero 0
		.amdhsa_exception_fp_ieee_overflow 0
		.amdhsa_exception_fp_ieee_underflow 0
		.amdhsa_exception_fp_ieee_inexact 0
		.amdhsa_exception_int_div_zero 0
	.end_amdhsa_kernel
	.section	.text._ZN7rocprim17ROCPRIM_400000_NS6detail17trampoline_kernelINS0_14default_configENS1_27scan_by_key_config_selectorIllEEZZNS1_16scan_by_key_implILNS1_25lookback_scan_determinismE0ELb0ES3_PKlN6hipcub16HIPCUB_304000_NS21ConstantInputIteratorIllEEPllNSB_3SumENSB_8EqualityElEE10hipError_tPvRmT2_T3_T4_T5_mT6_T7_P12ihipStream_tbENKUlT_T0_E_clISt17integral_constantIbLb0EESW_IbLb1EEEEDaSS_ST_EUlSS_E_NS1_11comp_targetILNS1_3genE5ELNS1_11target_archE942ELNS1_3gpuE9ELNS1_3repE0EEENS1_30default_config_static_selectorELNS0_4arch9wavefront6targetE1EEEvT1_,"axG",@progbits,_ZN7rocprim17ROCPRIM_400000_NS6detail17trampoline_kernelINS0_14default_configENS1_27scan_by_key_config_selectorIllEEZZNS1_16scan_by_key_implILNS1_25lookback_scan_determinismE0ELb0ES3_PKlN6hipcub16HIPCUB_304000_NS21ConstantInputIteratorIllEEPllNSB_3SumENSB_8EqualityElEE10hipError_tPvRmT2_T3_T4_T5_mT6_T7_P12ihipStream_tbENKUlT_T0_E_clISt17integral_constantIbLb0EESW_IbLb1EEEEDaSS_ST_EUlSS_E_NS1_11comp_targetILNS1_3genE5ELNS1_11target_archE942ELNS1_3gpuE9ELNS1_3repE0EEENS1_30default_config_static_selectorELNS0_4arch9wavefront6targetE1EEEvT1_,comdat
.Lfunc_end129:
	.size	_ZN7rocprim17ROCPRIM_400000_NS6detail17trampoline_kernelINS0_14default_configENS1_27scan_by_key_config_selectorIllEEZZNS1_16scan_by_key_implILNS1_25lookback_scan_determinismE0ELb0ES3_PKlN6hipcub16HIPCUB_304000_NS21ConstantInputIteratorIllEEPllNSB_3SumENSB_8EqualityElEE10hipError_tPvRmT2_T3_T4_T5_mT6_T7_P12ihipStream_tbENKUlT_T0_E_clISt17integral_constantIbLb0EESW_IbLb1EEEEDaSS_ST_EUlSS_E_NS1_11comp_targetILNS1_3genE5ELNS1_11target_archE942ELNS1_3gpuE9ELNS1_3repE0EEENS1_30default_config_static_selectorELNS0_4arch9wavefront6targetE1EEEvT1_, .Lfunc_end129-_ZN7rocprim17ROCPRIM_400000_NS6detail17trampoline_kernelINS0_14default_configENS1_27scan_by_key_config_selectorIllEEZZNS1_16scan_by_key_implILNS1_25lookback_scan_determinismE0ELb0ES3_PKlN6hipcub16HIPCUB_304000_NS21ConstantInputIteratorIllEEPllNSB_3SumENSB_8EqualityElEE10hipError_tPvRmT2_T3_T4_T5_mT6_T7_P12ihipStream_tbENKUlT_T0_E_clISt17integral_constantIbLb0EESW_IbLb1EEEEDaSS_ST_EUlSS_E_NS1_11comp_targetILNS1_3genE5ELNS1_11target_archE942ELNS1_3gpuE9ELNS1_3repE0EEENS1_30default_config_static_selectorELNS0_4arch9wavefront6targetE1EEEvT1_
                                        ; -- End function
	.set _ZN7rocprim17ROCPRIM_400000_NS6detail17trampoline_kernelINS0_14default_configENS1_27scan_by_key_config_selectorIllEEZZNS1_16scan_by_key_implILNS1_25lookback_scan_determinismE0ELb0ES3_PKlN6hipcub16HIPCUB_304000_NS21ConstantInputIteratorIllEEPllNSB_3SumENSB_8EqualityElEE10hipError_tPvRmT2_T3_T4_T5_mT6_T7_P12ihipStream_tbENKUlT_T0_E_clISt17integral_constantIbLb0EESW_IbLb1EEEEDaSS_ST_EUlSS_E_NS1_11comp_targetILNS1_3genE5ELNS1_11target_archE942ELNS1_3gpuE9ELNS1_3repE0EEENS1_30default_config_static_selectorELNS0_4arch9wavefront6targetE1EEEvT1_.num_vgpr, 0
	.set _ZN7rocprim17ROCPRIM_400000_NS6detail17trampoline_kernelINS0_14default_configENS1_27scan_by_key_config_selectorIllEEZZNS1_16scan_by_key_implILNS1_25lookback_scan_determinismE0ELb0ES3_PKlN6hipcub16HIPCUB_304000_NS21ConstantInputIteratorIllEEPllNSB_3SumENSB_8EqualityElEE10hipError_tPvRmT2_T3_T4_T5_mT6_T7_P12ihipStream_tbENKUlT_T0_E_clISt17integral_constantIbLb0EESW_IbLb1EEEEDaSS_ST_EUlSS_E_NS1_11comp_targetILNS1_3genE5ELNS1_11target_archE942ELNS1_3gpuE9ELNS1_3repE0EEENS1_30default_config_static_selectorELNS0_4arch9wavefront6targetE1EEEvT1_.num_agpr, 0
	.set _ZN7rocprim17ROCPRIM_400000_NS6detail17trampoline_kernelINS0_14default_configENS1_27scan_by_key_config_selectorIllEEZZNS1_16scan_by_key_implILNS1_25lookback_scan_determinismE0ELb0ES3_PKlN6hipcub16HIPCUB_304000_NS21ConstantInputIteratorIllEEPllNSB_3SumENSB_8EqualityElEE10hipError_tPvRmT2_T3_T4_T5_mT6_T7_P12ihipStream_tbENKUlT_T0_E_clISt17integral_constantIbLb0EESW_IbLb1EEEEDaSS_ST_EUlSS_E_NS1_11comp_targetILNS1_3genE5ELNS1_11target_archE942ELNS1_3gpuE9ELNS1_3repE0EEENS1_30default_config_static_selectorELNS0_4arch9wavefront6targetE1EEEvT1_.numbered_sgpr, 0
	.set _ZN7rocprim17ROCPRIM_400000_NS6detail17trampoline_kernelINS0_14default_configENS1_27scan_by_key_config_selectorIllEEZZNS1_16scan_by_key_implILNS1_25lookback_scan_determinismE0ELb0ES3_PKlN6hipcub16HIPCUB_304000_NS21ConstantInputIteratorIllEEPllNSB_3SumENSB_8EqualityElEE10hipError_tPvRmT2_T3_T4_T5_mT6_T7_P12ihipStream_tbENKUlT_T0_E_clISt17integral_constantIbLb0EESW_IbLb1EEEEDaSS_ST_EUlSS_E_NS1_11comp_targetILNS1_3genE5ELNS1_11target_archE942ELNS1_3gpuE9ELNS1_3repE0EEENS1_30default_config_static_selectorELNS0_4arch9wavefront6targetE1EEEvT1_.num_named_barrier, 0
	.set _ZN7rocprim17ROCPRIM_400000_NS6detail17trampoline_kernelINS0_14default_configENS1_27scan_by_key_config_selectorIllEEZZNS1_16scan_by_key_implILNS1_25lookback_scan_determinismE0ELb0ES3_PKlN6hipcub16HIPCUB_304000_NS21ConstantInputIteratorIllEEPllNSB_3SumENSB_8EqualityElEE10hipError_tPvRmT2_T3_T4_T5_mT6_T7_P12ihipStream_tbENKUlT_T0_E_clISt17integral_constantIbLb0EESW_IbLb1EEEEDaSS_ST_EUlSS_E_NS1_11comp_targetILNS1_3genE5ELNS1_11target_archE942ELNS1_3gpuE9ELNS1_3repE0EEENS1_30default_config_static_selectorELNS0_4arch9wavefront6targetE1EEEvT1_.private_seg_size, 0
	.set _ZN7rocprim17ROCPRIM_400000_NS6detail17trampoline_kernelINS0_14default_configENS1_27scan_by_key_config_selectorIllEEZZNS1_16scan_by_key_implILNS1_25lookback_scan_determinismE0ELb0ES3_PKlN6hipcub16HIPCUB_304000_NS21ConstantInputIteratorIllEEPllNSB_3SumENSB_8EqualityElEE10hipError_tPvRmT2_T3_T4_T5_mT6_T7_P12ihipStream_tbENKUlT_T0_E_clISt17integral_constantIbLb0EESW_IbLb1EEEEDaSS_ST_EUlSS_E_NS1_11comp_targetILNS1_3genE5ELNS1_11target_archE942ELNS1_3gpuE9ELNS1_3repE0EEENS1_30default_config_static_selectorELNS0_4arch9wavefront6targetE1EEEvT1_.uses_vcc, 0
	.set _ZN7rocprim17ROCPRIM_400000_NS6detail17trampoline_kernelINS0_14default_configENS1_27scan_by_key_config_selectorIllEEZZNS1_16scan_by_key_implILNS1_25lookback_scan_determinismE0ELb0ES3_PKlN6hipcub16HIPCUB_304000_NS21ConstantInputIteratorIllEEPllNSB_3SumENSB_8EqualityElEE10hipError_tPvRmT2_T3_T4_T5_mT6_T7_P12ihipStream_tbENKUlT_T0_E_clISt17integral_constantIbLb0EESW_IbLb1EEEEDaSS_ST_EUlSS_E_NS1_11comp_targetILNS1_3genE5ELNS1_11target_archE942ELNS1_3gpuE9ELNS1_3repE0EEENS1_30default_config_static_selectorELNS0_4arch9wavefront6targetE1EEEvT1_.uses_flat_scratch, 0
	.set _ZN7rocprim17ROCPRIM_400000_NS6detail17trampoline_kernelINS0_14default_configENS1_27scan_by_key_config_selectorIllEEZZNS1_16scan_by_key_implILNS1_25lookback_scan_determinismE0ELb0ES3_PKlN6hipcub16HIPCUB_304000_NS21ConstantInputIteratorIllEEPllNSB_3SumENSB_8EqualityElEE10hipError_tPvRmT2_T3_T4_T5_mT6_T7_P12ihipStream_tbENKUlT_T0_E_clISt17integral_constantIbLb0EESW_IbLb1EEEEDaSS_ST_EUlSS_E_NS1_11comp_targetILNS1_3genE5ELNS1_11target_archE942ELNS1_3gpuE9ELNS1_3repE0EEENS1_30default_config_static_selectorELNS0_4arch9wavefront6targetE1EEEvT1_.has_dyn_sized_stack, 0
	.set _ZN7rocprim17ROCPRIM_400000_NS6detail17trampoline_kernelINS0_14default_configENS1_27scan_by_key_config_selectorIllEEZZNS1_16scan_by_key_implILNS1_25lookback_scan_determinismE0ELb0ES3_PKlN6hipcub16HIPCUB_304000_NS21ConstantInputIteratorIllEEPllNSB_3SumENSB_8EqualityElEE10hipError_tPvRmT2_T3_T4_T5_mT6_T7_P12ihipStream_tbENKUlT_T0_E_clISt17integral_constantIbLb0EESW_IbLb1EEEEDaSS_ST_EUlSS_E_NS1_11comp_targetILNS1_3genE5ELNS1_11target_archE942ELNS1_3gpuE9ELNS1_3repE0EEENS1_30default_config_static_selectorELNS0_4arch9wavefront6targetE1EEEvT1_.has_recursion, 0
	.set _ZN7rocprim17ROCPRIM_400000_NS6detail17trampoline_kernelINS0_14default_configENS1_27scan_by_key_config_selectorIllEEZZNS1_16scan_by_key_implILNS1_25lookback_scan_determinismE0ELb0ES3_PKlN6hipcub16HIPCUB_304000_NS21ConstantInputIteratorIllEEPllNSB_3SumENSB_8EqualityElEE10hipError_tPvRmT2_T3_T4_T5_mT6_T7_P12ihipStream_tbENKUlT_T0_E_clISt17integral_constantIbLb0EESW_IbLb1EEEEDaSS_ST_EUlSS_E_NS1_11comp_targetILNS1_3genE5ELNS1_11target_archE942ELNS1_3gpuE9ELNS1_3repE0EEENS1_30default_config_static_selectorELNS0_4arch9wavefront6targetE1EEEvT1_.has_indirect_call, 0
	.section	.AMDGPU.csdata,"",@progbits
; Kernel info:
; codeLenInByte = 0
; TotalNumSgprs: 6
; NumVgprs: 0
; NumAgprs: 0
; TotalNumVgprs: 0
; ScratchSize: 0
; MemoryBound: 0
; FloatMode: 240
; IeeeMode: 1
; LDSByteSize: 0 bytes/workgroup (compile time only)
; SGPRBlocks: 0
; VGPRBlocks: 0
; NumSGPRsForWavesPerEU: 6
; NumVGPRsForWavesPerEU: 1
; AccumOffset: 4
; Occupancy: 8
; WaveLimiterHint : 0
; COMPUTE_PGM_RSRC2:SCRATCH_EN: 0
; COMPUTE_PGM_RSRC2:USER_SGPR: 2
; COMPUTE_PGM_RSRC2:TRAP_HANDLER: 0
; COMPUTE_PGM_RSRC2:TGID_X_EN: 1
; COMPUTE_PGM_RSRC2:TGID_Y_EN: 0
; COMPUTE_PGM_RSRC2:TGID_Z_EN: 0
; COMPUTE_PGM_RSRC2:TIDIG_COMP_CNT: 0
; COMPUTE_PGM_RSRC3_GFX90A:ACCUM_OFFSET: 0
; COMPUTE_PGM_RSRC3_GFX90A:TG_SPLIT: 0
	.section	.text._ZN7rocprim17ROCPRIM_400000_NS6detail17trampoline_kernelINS0_14default_configENS1_27scan_by_key_config_selectorIllEEZZNS1_16scan_by_key_implILNS1_25lookback_scan_determinismE0ELb0ES3_PKlN6hipcub16HIPCUB_304000_NS21ConstantInputIteratorIllEEPllNSB_3SumENSB_8EqualityElEE10hipError_tPvRmT2_T3_T4_T5_mT6_T7_P12ihipStream_tbENKUlT_T0_E_clISt17integral_constantIbLb0EESW_IbLb1EEEEDaSS_ST_EUlSS_E_NS1_11comp_targetILNS1_3genE4ELNS1_11target_archE910ELNS1_3gpuE8ELNS1_3repE0EEENS1_30default_config_static_selectorELNS0_4arch9wavefront6targetE1EEEvT1_,"axG",@progbits,_ZN7rocprim17ROCPRIM_400000_NS6detail17trampoline_kernelINS0_14default_configENS1_27scan_by_key_config_selectorIllEEZZNS1_16scan_by_key_implILNS1_25lookback_scan_determinismE0ELb0ES3_PKlN6hipcub16HIPCUB_304000_NS21ConstantInputIteratorIllEEPllNSB_3SumENSB_8EqualityElEE10hipError_tPvRmT2_T3_T4_T5_mT6_T7_P12ihipStream_tbENKUlT_T0_E_clISt17integral_constantIbLb0EESW_IbLb1EEEEDaSS_ST_EUlSS_E_NS1_11comp_targetILNS1_3genE4ELNS1_11target_archE910ELNS1_3gpuE8ELNS1_3repE0EEENS1_30default_config_static_selectorELNS0_4arch9wavefront6targetE1EEEvT1_,comdat
	.protected	_ZN7rocprim17ROCPRIM_400000_NS6detail17trampoline_kernelINS0_14default_configENS1_27scan_by_key_config_selectorIllEEZZNS1_16scan_by_key_implILNS1_25lookback_scan_determinismE0ELb0ES3_PKlN6hipcub16HIPCUB_304000_NS21ConstantInputIteratorIllEEPllNSB_3SumENSB_8EqualityElEE10hipError_tPvRmT2_T3_T4_T5_mT6_T7_P12ihipStream_tbENKUlT_T0_E_clISt17integral_constantIbLb0EESW_IbLb1EEEEDaSS_ST_EUlSS_E_NS1_11comp_targetILNS1_3genE4ELNS1_11target_archE910ELNS1_3gpuE8ELNS1_3repE0EEENS1_30default_config_static_selectorELNS0_4arch9wavefront6targetE1EEEvT1_ ; -- Begin function _ZN7rocprim17ROCPRIM_400000_NS6detail17trampoline_kernelINS0_14default_configENS1_27scan_by_key_config_selectorIllEEZZNS1_16scan_by_key_implILNS1_25lookback_scan_determinismE0ELb0ES3_PKlN6hipcub16HIPCUB_304000_NS21ConstantInputIteratorIllEEPllNSB_3SumENSB_8EqualityElEE10hipError_tPvRmT2_T3_T4_T5_mT6_T7_P12ihipStream_tbENKUlT_T0_E_clISt17integral_constantIbLb0EESW_IbLb1EEEEDaSS_ST_EUlSS_E_NS1_11comp_targetILNS1_3genE4ELNS1_11target_archE910ELNS1_3gpuE8ELNS1_3repE0EEENS1_30default_config_static_selectorELNS0_4arch9wavefront6targetE1EEEvT1_
	.globl	_ZN7rocprim17ROCPRIM_400000_NS6detail17trampoline_kernelINS0_14default_configENS1_27scan_by_key_config_selectorIllEEZZNS1_16scan_by_key_implILNS1_25lookback_scan_determinismE0ELb0ES3_PKlN6hipcub16HIPCUB_304000_NS21ConstantInputIteratorIllEEPllNSB_3SumENSB_8EqualityElEE10hipError_tPvRmT2_T3_T4_T5_mT6_T7_P12ihipStream_tbENKUlT_T0_E_clISt17integral_constantIbLb0EESW_IbLb1EEEEDaSS_ST_EUlSS_E_NS1_11comp_targetILNS1_3genE4ELNS1_11target_archE910ELNS1_3gpuE8ELNS1_3repE0EEENS1_30default_config_static_selectorELNS0_4arch9wavefront6targetE1EEEvT1_
	.p2align	8
	.type	_ZN7rocprim17ROCPRIM_400000_NS6detail17trampoline_kernelINS0_14default_configENS1_27scan_by_key_config_selectorIllEEZZNS1_16scan_by_key_implILNS1_25lookback_scan_determinismE0ELb0ES3_PKlN6hipcub16HIPCUB_304000_NS21ConstantInputIteratorIllEEPllNSB_3SumENSB_8EqualityElEE10hipError_tPvRmT2_T3_T4_T5_mT6_T7_P12ihipStream_tbENKUlT_T0_E_clISt17integral_constantIbLb0EESW_IbLb1EEEEDaSS_ST_EUlSS_E_NS1_11comp_targetILNS1_3genE4ELNS1_11target_archE910ELNS1_3gpuE8ELNS1_3repE0EEENS1_30default_config_static_selectorELNS0_4arch9wavefront6targetE1EEEvT1_,@function
_ZN7rocprim17ROCPRIM_400000_NS6detail17trampoline_kernelINS0_14default_configENS1_27scan_by_key_config_selectorIllEEZZNS1_16scan_by_key_implILNS1_25lookback_scan_determinismE0ELb0ES3_PKlN6hipcub16HIPCUB_304000_NS21ConstantInputIteratorIllEEPllNSB_3SumENSB_8EqualityElEE10hipError_tPvRmT2_T3_T4_T5_mT6_T7_P12ihipStream_tbENKUlT_T0_E_clISt17integral_constantIbLb0EESW_IbLb1EEEEDaSS_ST_EUlSS_E_NS1_11comp_targetILNS1_3genE4ELNS1_11target_archE910ELNS1_3gpuE8ELNS1_3repE0EEENS1_30default_config_static_selectorELNS0_4arch9wavefront6targetE1EEEvT1_: ; @_ZN7rocprim17ROCPRIM_400000_NS6detail17trampoline_kernelINS0_14default_configENS1_27scan_by_key_config_selectorIllEEZZNS1_16scan_by_key_implILNS1_25lookback_scan_determinismE0ELb0ES3_PKlN6hipcub16HIPCUB_304000_NS21ConstantInputIteratorIllEEPllNSB_3SumENSB_8EqualityElEE10hipError_tPvRmT2_T3_T4_T5_mT6_T7_P12ihipStream_tbENKUlT_T0_E_clISt17integral_constantIbLb0EESW_IbLb1EEEEDaSS_ST_EUlSS_E_NS1_11comp_targetILNS1_3genE4ELNS1_11target_archE910ELNS1_3gpuE8ELNS1_3repE0EEENS1_30default_config_static_selectorELNS0_4arch9wavefront6targetE1EEEvT1_
; %bb.0:
	.section	.rodata,"a",@progbits
	.p2align	6, 0x0
	.amdhsa_kernel _ZN7rocprim17ROCPRIM_400000_NS6detail17trampoline_kernelINS0_14default_configENS1_27scan_by_key_config_selectorIllEEZZNS1_16scan_by_key_implILNS1_25lookback_scan_determinismE0ELb0ES3_PKlN6hipcub16HIPCUB_304000_NS21ConstantInputIteratorIllEEPllNSB_3SumENSB_8EqualityElEE10hipError_tPvRmT2_T3_T4_T5_mT6_T7_P12ihipStream_tbENKUlT_T0_E_clISt17integral_constantIbLb0EESW_IbLb1EEEEDaSS_ST_EUlSS_E_NS1_11comp_targetILNS1_3genE4ELNS1_11target_archE910ELNS1_3gpuE8ELNS1_3repE0EEENS1_30default_config_static_selectorELNS0_4arch9wavefront6targetE1EEEvT1_
		.amdhsa_group_segment_fixed_size 0
		.amdhsa_private_segment_fixed_size 0
		.amdhsa_kernarg_size 144
		.amdhsa_user_sgpr_count 2
		.amdhsa_user_sgpr_dispatch_ptr 0
		.amdhsa_user_sgpr_queue_ptr 0
		.amdhsa_user_sgpr_kernarg_segment_ptr 1
		.amdhsa_user_sgpr_dispatch_id 0
		.amdhsa_user_sgpr_kernarg_preload_length 0
		.amdhsa_user_sgpr_kernarg_preload_offset 0
		.amdhsa_user_sgpr_private_segment_size 0
		.amdhsa_uses_dynamic_stack 0
		.amdhsa_enable_private_segment 0
		.amdhsa_system_sgpr_workgroup_id_x 1
		.amdhsa_system_sgpr_workgroup_id_y 0
		.amdhsa_system_sgpr_workgroup_id_z 0
		.amdhsa_system_sgpr_workgroup_info 0
		.amdhsa_system_vgpr_workitem_id 0
		.amdhsa_next_free_vgpr 1
		.amdhsa_next_free_sgpr 0
		.amdhsa_accum_offset 4
		.amdhsa_reserve_vcc 0
		.amdhsa_float_round_mode_32 0
		.amdhsa_float_round_mode_16_64 0
		.amdhsa_float_denorm_mode_32 3
		.amdhsa_float_denorm_mode_16_64 3
		.amdhsa_dx10_clamp 1
		.amdhsa_ieee_mode 1
		.amdhsa_fp16_overflow 0
		.amdhsa_tg_split 0
		.amdhsa_exception_fp_ieee_invalid_op 0
		.amdhsa_exception_fp_denorm_src 0
		.amdhsa_exception_fp_ieee_div_zero 0
		.amdhsa_exception_fp_ieee_overflow 0
		.amdhsa_exception_fp_ieee_underflow 0
		.amdhsa_exception_fp_ieee_inexact 0
		.amdhsa_exception_int_div_zero 0
	.end_amdhsa_kernel
	.section	.text._ZN7rocprim17ROCPRIM_400000_NS6detail17trampoline_kernelINS0_14default_configENS1_27scan_by_key_config_selectorIllEEZZNS1_16scan_by_key_implILNS1_25lookback_scan_determinismE0ELb0ES3_PKlN6hipcub16HIPCUB_304000_NS21ConstantInputIteratorIllEEPllNSB_3SumENSB_8EqualityElEE10hipError_tPvRmT2_T3_T4_T5_mT6_T7_P12ihipStream_tbENKUlT_T0_E_clISt17integral_constantIbLb0EESW_IbLb1EEEEDaSS_ST_EUlSS_E_NS1_11comp_targetILNS1_3genE4ELNS1_11target_archE910ELNS1_3gpuE8ELNS1_3repE0EEENS1_30default_config_static_selectorELNS0_4arch9wavefront6targetE1EEEvT1_,"axG",@progbits,_ZN7rocprim17ROCPRIM_400000_NS6detail17trampoline_kernelINS0_14default_configENS1_27scan_by_key_config_selectorIllEEZZNS1_16scan_by_key_implILNS1_25lookback_scan_determinismE0ELb0ES3_PKlN6hipcub16HIPCUB_304000_NS21ConstantInputIteratorIllEEPllNSB_3SumENSB_8EqualityElEE10hipError_tPvRmT2_T3_T4_T5_mT6_T7_P12ihipStream_tbENKUlT_T0_E_clISt17integral_constantIbLb0EESW_IbLb1EEEEDaSS_ST_EUlSS_E_NS1_11comp_targetILNS1_3genE4ELNS1_11target_archE910ELNS1_3gpuE8ELNS1_3repE0EEENS1_30default_config_static_selectorELNS0_4arch9wavefront6targetE1EEEvT1_,comdat
.Lfunc_end130:
	.size	_ZN7rocprim17ROCPRIM_400000_NS6detail17trampoline_kernelINS0_14default_configENS1_27scan_by_key_config_selectorIllEEZZNS1_16scan_by_key_implILNS1_25lookback_scan_determinismE0ELb0ES3_PKlN6hipcub16HIPCUB_304000_NS21ConstantInputIteratorIllEEPllNSB_3SumENSB_8EqualityElEE10hipError_tPvRmT2_T3_T4_T5_mT6_T7_P12ihipStream_tbENKUlT_T0_E_clISt17integral_constantIbLb0EESW_IbLb1EEEEDaSS_ST_EUlSS_E_NS1_11comp_targetILNS1_3genE4ELNS1_11target_archE910ELNS1_3gpuE8ELNS1_3repE0EEENS1_30default_config_static_selectorELNS0_4arch9wavefront6targetE1EEEvT1_, .Lfunc_end130-_ZN7rocprim17ROCPRIM_400000_NS6detail17trampoline_kernelINS0_14default_configENS1_27scan_by_key_config_selectorIllEEZZNS1_16scan_by_key_implILNS1_25lookback_scan_determinismE0ELb0ES3_PKlN6hipcub16HIPCUB_304000_NS21ConstantInputIteratorIllEEPllNSB_3SumENSB_8EqualityElEE10hipError_tPvRmT2_T3_T4_T5_mT6_T7_P12ihipStream_tbENKUlT_T0_E_clISt17integral_constantIbLb0EESW_IbLb1EEEEDaSS_ST_EUlSS_E_NS1_11comp_targetILNS1_3genE4ELNS1_11target_archE910ELNS1_3gpuE8ELNS1_3repE0EEENS1_30default_config_static_selectorELNS0_4arch9wavefront6targetE1EEEvT1_
                                        ; -- End function
	.set _ZN7rocprim17ROCPRIM_400000_NS6detail17trampoline_kernelINS0_14default_configENS1_27scan_by_key_config_selectorIllEEZZNS1_16scan_by_key_implILNS1_25lookback_scan_determinismE0ELb0ES3_PKlN6hipcub16HIPCUB_304000_NS21ConstantInputIteratorIllEEPllNSB_3SumENSB_8EqualityElEE10hipError_tPvRmT2_T3_T4_T5_mT6_T7_P12ihipStream_tbENKUlT_T0_E_clISt17integral_constantIbLb0EESW_IbLb1EEEEDaSS_ST_EUlSS_E_NS1_11comp_targetILNS1_3genE4ELNS1_11target_archE910ELNS1_3gpuE8ELNS1_3repE0EEENS1_30default_config_static_selectorELNS0_4arch9wavefront6targetE1EEEvT1_.num_vgpr, 0
	.set _ZN7rocprim17ROCPRIM_400000_NS6detail17trampoline_kernelINS0_14default_configENS1_27scan_by_key_config_selectorIllEEZZNS1_16scan_by_key_implILNS1_25lookback_scan_determinismE0ELb0ES3_PKlN6hipcub16HIPCUB_304000_NS21ConstantInputIteratorIllEEPllNSB_3SumENSB_8EqualityElEE10hipError_tPvRmT2_T3_T4_T5_mT6_T7_P12ihipStream_tbENKUlT_T0_E_clISt17integral_constantIbLb0EESW_IbLb1EEEEDaSS_ST_EUlSS_E_NS1_11comp_targetILNS1_3genE4ELNS1_11target_archE910ELNS1_3gpuE8ELNS1_3repE0EEENS1_30default_config_static_selectorELNS0_4arch9wavefront6targetE1EEEvT1_.num_agpr, 0
	.set _ZN7rocprim17ROCPRIM_400000_NS6detail17trampoline_kernelINS0_14default_configENS1_27scan_by_key_config_selectorIllEEZZNS1_16scan_by_key_implILNS1_25lookback_scan_determinismE0ELb0ES3_PKlN6hipcub16HIPCUB_304000_NS21ConstantInputIteratorIllEEPllNSB_3SumENSB_8EqualityElEE10hipError_tPvRmT2_T3_T4_T5_mT6_T7_P12ihipStream_tbENKUlT_T0_E_clISt17integral_constantIbLb0EESW_IbLb1EEEEDaSS_ST_EUlSS_E_NS1_11comp_targetILNS1_3genE4ELNS1_11target_archE910ELNS1_3gpuE8ELNS1_3repE0EEENS1_30default_config_static_selectorELNS0_4arch9wavefront6targetE1EEEvT1_.numbered_sgpr, 0
	.set _ZN7rocprim17ROCPRIM_400000_NS6detail17trampoline_kernelINS0_14default_configENS1_27scan_by_key_config_selectorIllEEZZNS1_16scan_by_key_implILNS1_25lookback_scan_determinismE0ELb0ES3_PKlN6hipcub16HIPCUB_304000_NS21ConstantInputIteratorIllEEPllNSB_3SumENSB_8EqualityElEE10hipError_tPvRmT2_T3_T4_T5_mT6_T7_P12ihipStream_tbENKUlT_T0_E_clISt17integral_constantIbLb0EESW_IbLb1EEEEDaSS_ST_EUlSS_E_NS1_11comp_targetILNS1_3genE4ELNS1_11target_archE910ELNS1_3gpuE8ELNS1_3repE0EEENS1_30default_config_static_selectorELNS0_4arch9wavefront6targetE1EEEvT1_.num_named_barrier, 0
	.set _ZN7rocprim17ROCPRIM_400000_NS6detail17trampoline_kernelINS0_14default_configENS1_27scan_by_key_config_selectorIllEEZZNS1_16scan_by_key_implILNS1_25lookback_scan_determinismE0ELb0ES3_PKlN6hipcub16HIPCUB_304000_NS21ConstantInputIteratorIllEEPllNSB_3SumENSB_8EqualityElEE10hipError_tPvRmT2_T3_T4_T5_mT6_T7_P12ihipStream_tbENKUlT_T0_E_clISt17integral_constantIbLb0EESW_IbLb1EEEEDaSS_ST_EUlSS_E_NS1_11comp_targetILNS1_3genE4ELNS1_11target_archE910ELNS1_3gpuE8ELNS1_3repE0EEENS1_30default_config_static_selectorELNS0_4arch9wavefront6targetE1EEEvT1_.private_seg_size, 0
	.set _ZN7rocprim17ROCPRIM_400000_NS6detail17trampoline_kernelINS0_14default_configENS1_27scan_by_key_config_selectorIllEEZZNS1_16scan_by_key_implILNS1_25lookback_scan_determinismE0ELb0ES3_PKlN6hipcub16HIPCUB_304000_NS21ConstantInputIteratorIllEEPllNSB_3SumENSB_8EqualityElEE10hipError_tPvRmT2_T3_T4_T5_mT6_T7_P12ihipStream_tbENKUlT_T0_E_clISt17integral_constantIbLb0EESW_IbLb1EEEEDaSS_ST_EUlSS_E_NS1_11comp_targetILNS1_3genE4ELNS1_11target_archE910ELNS1_3gpuE8ELNS1_3repE0EEENS1_30default_config_static_selectorELNS0_4arch9wavefront6targetE1EEEvT1_.uses_vcc, 0
	.set _ZN7rocprim17ROCPRIM_400000_NS6detail17trampoline_kernelINS0_14default_configENS1_27scan_by_key_config_selectorIllEEZZNS1_16scan_by_key_implILNS1_25lookback_scan_determinismE0ELb0ES3_PKlN6hipcub16HIPCUB_304000_NS21ConstantInputIteratorIllEEPllNSB_3SumENSB_8EqualityElEE10hipError_tPvRmT2_T3_T4_T5_mT6_T7_P12ihipStream_tbENKUlT_T0_E_clISt17integral_constantIbLb0EESW_IbLb1EEEEDaSS_ST_EUlSS_E_NS1_11comp_targetILNS1_3genE4ELNS1_11target_archE910ELNS1_3gpuE8ELNS1_3repE0EEENS1_30default_config_static_selectorELNS0_4arch9wavefront6targetE1EEEvT1_.uses_flat_scratch, 0
	.set _ZN7rocprim17ROCPRIM_400000_NS6detail17trampoline_kernelINS0_14default_configENS1_27scan_by_key_config_selectorIllEEZZNS1_16scan_by_key_implILNS1_25lookback_scan_determinismE0ELb0ES3_PKlN6hipcub16HIPCUB_304000_NS21ConstantInputIteratorIllEEPllNSB_3SumENSB_8EqualityElEE10hipError_tPvRmT2_T3_T4_T5_mT6_T7_P12ihipStream_tbENKUlT_T0_E_clISt17integral_constantIbLb0EESW_IbLb1EEEEDaSS_ST_EUlSS_E_NS1_11comp_targetILNS1_3genE4ELNS1_11target_archE910ELNS1_3gpuE8ELNS1_3repE0EEENS1_30default_config_static_selectorELNS0_4arch9wavefront6targetE1EEEvT1_.has_dyn_sized_stack, 0
	.set _ZN7rocprim17ROCPRIM_400000_NS6detail17trampoline_kernelINS0_14default_configENS1_27scan_by_key_config_selectorIllEEZZNS1_16scan_by_key_implILNS1_25lookback_scan_determinismE0ELb0ES3_PKlN6hipcub16HIPCUB_304000_NS21ConstantInputIteratorIllEEPllNSB_3SumENSB_8EqualityElEE10hipError_tPvRmT2_T3_T4_T5_mT6_T7_P12ihipStream_tbENKUlT_T0_E_clISt17integral_constantIbLb0EESW_IbLb1EEEEDaSS_ST_EUlSS_E_NS1_11comp_targetILNS1_3genE4ELNS1_11target_archE910ELNS1_3gpuE8ELNS1_3repE0EEENS1_30default_config_static_selectorELNS0_4arch9wavefront6targetE1EEEvT1_.has_recursion, 0
	.set _ZN7rocprim17ROCPRIM_400000_NS6detail17trampoline_kernelINS0_14default_configENS1_27scan_by_key_config_selectorIllEEZZNS1_16scan_by_key_implILNS1_25lookback_scan_determinismE0ELb0ES3_PKlN6hipcub16HIPCUB_304000_NS21ConstantInputIteratorIllEEPllNSB_3SumENSB_8EqualityElEE10hipError_tPvRmT2_T3_T4_T5_mT6_T7_P12ihipStream_tbENKUlT_T0_E_clISt17integral_constantIbLb0EESW_IbLb1EEEEDaSS_ST_EUlSS_E_NS1_11comp_targetILNS1_3genE4ELNS1_11target_archE910ELNS1_3gpuE8ELNS1_3repE0EEENS1_30default_config_static_selectorELNS0_4arch9wavefront6targetE1EEEvT1_.has_indirect_call, 0
	.section	.AMDGPU.csdata,"",@progbits
; Kernel info:
; codeLenInByte = 0
; TotalNumSgprs: 6
; NumVgprs: 0
; NumAgprs: 0
; TotalNumVgprs: 0
; ScratchSize: 0
; MemoryBound: 0
; FloatMode: 240
; IeeeMode: 1
; LDSByteSize: 0 bytes/workgroup (compile time only)
; SGPRBlocks: 0
; VGPRBlocks: 0
; NumSGPRsForWavesPerEU: 6
; NumVGPRsForWavesPerEU: 1
; AccumOffset: 4
; Occupancy: 8
; WaveLimiterHint : 0
; COMPUTE_PGM_RSRC2:SCRATCH_EN: 0
; COMPUTE_PGM_RSRC2:USER_SGPR: 2
; COMPUTE_PGM_RSRC2:TRAP_HANDLER: 0
; COMPUTE_PGM_RSRC2:TGID_X_EN: 1
; COMPUTE_PGM_RSRC2:TGID_Y_EN: 0
; COMPUTE_PGM_RSRC2:TGID_Z_EN: 0
; COMPUTE_PGM_RSRC2:TIDIG_COMP_CNT: 0
; COMPUTE_PGM_RSRC3_GFX90A:ACCUM_OFFSET: 0
; COMPUTE_PGM_RSRC3_GFX90A:TG_SPLIT: 0
	.section	.text._ZN7rocprim17ROCPRIM_400000_NS6detail17trampoline_kernelINS0_14default_configENS1_27scan_by_key_config_selectorIllEEZZNS1_16scan_by_key_implILNS1_25lookback_scan_determinismE0ELb0ES3_PKlN6hipcub16HIPCUB_304000_NS21ConstantInputIteratorIllEEPllNSB_3SumENSB_8EqualityElEE10hipError_tPvRmT2_T3_T4_T5_mT6_T7_P12ihipStream_tbENKUlT_T0_E_clISt17integral_constantIbLb0EESW_IbLb1EEEEDaSS_ST_EUlSS_E_NS1_11comp_targetILNS1_3genE3ELNS1_11target_archE908ELNS1_3gpuE7ELNS1_3repE0EEENS1_30default_config_static_selectorELNS0_4arch9wavefront6targetE1EEEvT1_,"axG",@progbits,_ZN7rocprim17ROCPRIM_400000_NS6detail17trampoline_kernelINS0_14default_configENS1_27scan_by_key_config_selectorIllEEZZNS1_16scan_by_key_implILNS1_25lookback_scan_determinismE0ELb0ES3_PKlN6hipcub16HIPCUB_304000_NS21ConstantInputIteratorIllEEPllNSB_3SumENSB_8EqualityElEE10hipError_tPvRmT2_T3_T4_T5_mT6_T7_P12ihipStream_tbENKUlT_T0_E_clISt17integral_constantIbLb0EESW_IbLb1EEEEDaSS_ST_EUlSS_E_NS1_11comp_targetILNS1_3genE3ELNS1_11target_archE908ELNS1_3gpuE7ELNS1_3repE0EEENS1_30default_config_static_selectorELNS0_4arch9wavefront6targetE1EEEvT1_,comdat
	.protected	_ZN7rocprim17ROCPRIM_400000_NS6detail17trampoline_kernelINS0_14default_configENS1_27scan_by_key_config_selectorIllEEZZNS1_16scan_by_key_implILNS1_25lookback_scan_determinismE0ELb0ES3_PKlN6hipcub16HIPCUB_304000_NS21ConstantInputIteratorIllEEPllNSB_3SumENSB_8EqualityElEE10hipError_tPvRmT2_T3_T4_T5_mT6_T7_P12ihipStream_tbENKUlT_T0_E_clISt17integral_constantIbLb0EESW_IbLb1EEEEDaSS_ST_EUlSS_E_NS1_11comp_targetILNS1_3genE3ELNS1_11target_archE908ELNS1_3gpuE7ELNS1_3repE0EEENS1_30default_config_static_selectorELNS0_4arch9wavefront6targetE1EEEvT1_ ; -- Begin function _ZN7rocprim17ROCPRIM_400000_NS6detail17trampoline_kernelINS0_14default_configENS1_27scan_by_key_config_selectorIllEEZZNS1_16scan_by_key_implILNS1_25lookback_scan_determinismE0ELb0ES3_PKlN6hipcub16HIPCUB_304000_NS21ConstantInputIteratorIllEEPllNSB_3SumENSB_8EqualityElEE10hipError_tPvRmT2_T3_T4_T5_mT6_T7_P12ihipStream_tbENKUlT_T0_E_clISt17integral_constantIbLb0EESW_IbLb1EEEEDaSS_ST_EUlSS_E_NS1_11comp_targetILNS1_3genE3ELNS1_11target_archE908ELNS1_3gpuE7ELNS1_3repE0EEENS1_30default_config_static_selectorELNS0_4arch9wavefront6targetE1EEEvT1_
	.globl	_ZN7rocprim17ROCPRIM_400000_NS6detail17trampoline_kernelINS0_14default_configENS1_27scan_by_key_config_selectorIllEEZZNS1_16scan_by_key_implILNS1_25lookback_scan_determinismE0ELb0ES3_PKlN6hipcub16HIPCUB_304000_NS21ConstantInputIteratorIllEEPllNSB_3SumENSB_8EqualityElEE10hipError_tPvRmT2_T3_T4_T5_mT6_T7_P12ihipStream_tbENKUlT_T0_E_clISt17integral_constantIbLb0EESW_IbLb1EEEEDaSS_ST_EUlSS_E_NS1_11comp_targetILNS1_3genE3ELNS1_11target_archE908ELNS1_3gpuE7ELNS1_3repE0EEENS1_30default_config_static_selectorELNS0_4arch9wavefront6targetE1EEEvT1_
	.p2align	8
	.type	_ZN7rocprim17ROCPRIM_400000_NS6detail17trampoline_kernelINS0_14default_configENS1_27scan_by_key_config_selectorIllEEZZNS1_16scan_by_key_implILNS1_25lookback_scan_determinismE0ELb0ES3_PKlN6hipcub16HIPCUB_304000_NS21ConstantInputIteratorIllEEPllNSB_3SumENSB_8EqualityElEE10hipError_tPvRmT2_T3_T4_T5_mT6_T7_P12ihipStream_tbENKUlT_T0_E_clISt17integral_constantIbLb0EESW_IbLb1EEEEDaSS_ST_EUlSS_E_NS1_11comp_targetILNS1_3genE3ELNS1_11target_archE908ELNS1_3gpuE7ELNS1_3repE0EEENS1_30default_config_static_selectorELNS0_4arch9wavefront6targetE1EEEvT1_,@function
_ZN7rocprim17ROCPRIM_400000_NS6detail17trampoline_kernelINS0_14default_configENS1_27scan_by_key_config_selectorIllEEZZNS1_16scan_by_key_implILNS1_25lookback_scan_determinismE0ELb0ES3_PKlN6hipcub16HIPCUB_304000_NS21ConstantInputIteratorIllEEPllNSB_3SumENSB_8EqualityElEE10hipError_tPvRmT2_T3_T4_T5_mT6_T7_P12ihipStream_tbENKUlT_T0_E_clISt17integral_constantIbLb0EESW_IbLb1EEEEDaSS_ST_EUlSS_E_NS1_11comp_targetILNS1_3genE3ELNS1_11target_archE908ELNS1_3gpuE7ELNS1_3repE0EEENS1_30default_config_static_selectorELNS0_4arch9wavefront6targetE1EEEvT1_: ; @_ZN7rocprim17ROCPRIM_400000_NS6detail17trampoline_kernelINS0_14default_configENS1_27scan_by_key_config_selectorIllEEZZNS1_16scan_by_key_implILNS1_25lookback_scan_determinismE0ELb0ES3_PKlN6hipcub16HIPCUB_304000_NS21ConstantInputIteratorIllEEPllNSB_3SumENSB_8EqualityElEE10hipError_tPvRmT2_T3_T4_T5_mT6_T7_P12ihipStream_tbENKUlT_T0_E_clISt17integral_constantIbLb0EESW_IbLb1EEEEDaSS_ST_EUlSS_E_NS1_11comp_targetILNS1_3genE3ELNS1_11target_archE908ELNS1_3gpuE7ELNS1_3repE0EEENS1_30default_config_static_selectorELNS0_4arch9wavefront6targetE1EEEvT1_
; %bb.0:
	.section	.rodata,"a",@progbits
	.p2align	6, 0x0
	.amdhsa_kernel _ZN7rocprim17ROCPRIM_400000_NS6detail17trampoline_kernelINS0_14default_configENS1_27scan_by_key_config_selectorIllEEZZNS1_16scan_by_key_implILNS1_25lookback_scan_determinismE0ELb0ES3_PKlN6hipcub16HIPCUB_304000_NS21ConstantInputIteratorIllEEPllNSB_3SumENSB_8EqualityElEE10hipError_tPvRmT2_T3_T4_T5_mT6_T7_P12ihipStream_tbENKUlT_T0_E_clISt17integral_constantIbLb0EESW_IbLb1EEEEDaSS_ST_EUlSS_E_NS1_11comp_targetILNS1_3genE3ELNS1_11target_archE908ELNS1_3gpuE7ELNS1_3repE0EEENS1_30default_config_static_selectorELNS0_4arch9wavefront6targetE1EEEvT1_
		.amdhsa_group_segment_fixed_size 0
		.amdhsa_private_segment_fixed_size 0
		.amdhsa_kernarg_size 144
		.amdhsa_user_sgpr_count 2
		.amdhsa_user_sgpr_dispatch_ptr 0
		.amdhsa_user_sgpr_queue_ptr 0
		.amdhsa_user_sgpr_kernarg_segment_ptr 1
		.amdhsa_user_sgpr_dispatch_id 0
		.amdhsa_user_sgpr_kernarg_preload_length 0
		.amdhsa_user_sgpr_kernarg_preload_offset 0
		.amdhsa_user_sgpr_private_segment_size 0
		.amdhsa_uses_dynamic_stack 0
		.amdhsa_enable_private_segment 0
		.amdhsa_system_sgpr_workgroup_id_x 1
		.amdhsa_system_sgpr_workgroup_id_y 0
		.amdhsa_system_sgpr_workgroup_id_z 0
		.amdhsa_system_sgpr_workgroup_info 0
		.amdhsa_system_vgpr_workitem_id 0
		.amdhsa_next_free_vgpr 1
		.amdhsa_next_free_sgpr 0
		.amdhsa_accum_offset 4
		.amdhsa_reserve_vcc 0
		.amdhsa_float_round_mode_32 0
		.amdhsa_float_round_mode_16_64 0
		.amdhsa_float_denorm_mode_32 3
		.amdhsa_float_denorm_mode_16_64 3
		.amdhsa_dx10_clamp 1
		.amdhsa_ieee_mode 1
		.amdhsa_fp16_overflow 0
		.amdhsa_tg_split 0
		.amdhsa_exception_fp_ieee_invalid_op 0
		.amdhsa_exception_fp_denorm_src 0
		.amdhsa_exception_fp_ieee_div_zero 0
		.amdhsa_exception_fp_ieee_overflow 0
		.amdhsa_exception_fp_ieee_underflow 0
		.amdhsa_exception_fp_ieee_inexact 0
		.amdhsa_exception_int_div_zero 0
	.end_amdhsa_kernel
	.section	.text._ZN7rocprim17ROCPRIM_400000_NS6detail17trampoline_kernelINS0_14default_configENS1_27scan_by_key_config_selectorIllEEZZNS1_16scan_by_key_implILNS1_25lookback_scan_determinismE0ELb0ES3_PKlN6hipcub16HIPCUB_304000_NS21ConstantInputIteratorIllEEPllNSB_3SumENSB_8EqualityElEE10hipError_tPvRmT2_T3_T4_T5_mT6_T7_P12ihipStream_tbENKUlT_T0_E_clISt17integral_constantIbLb0EESW_IbLb1EEEEDaSS_ST_EUlSS_E_NS1_11comp_targetILNS1_3genE3ELNS1_11target_archE908ELNS1_3gpuE7ELNS1_3repE0EEENS1_30default_config_static_selectorELNS0_4arch9wavefront6targetE1EEEvT1_,"axG",@progbits,_ZN7rocprim17ROCPRIM_400000_NS6detail17trampoline_kernelINS0_14default_configENS1_27scan_by_key_config_selectorIllEEZZNS1_16scan_by_key_implILNS1_25lookback_scan_determinismE0ELb0ES3_PKlN6hipcub16HIPCUB_304000_NS21ConstantInputIteratorIllEEPllNSB_3SumENSB_8EqualityElEE10hipError_tPvRmT2_T3_T4_T5_mT6_T7_P12ihipStream_tbENKUlT_T0_E_clISt17integral_constantIbLb0EESW_IbLb1EEEEDaSS_ST_EUlSS_E_NS1_11comp_targetILNS1_3genE3ELNS1_11target_archE908ELNS1_3gpuE7ELNS1_3repE0EEENS1_30default_config_static_selectorELNS0_4arch9wavefront6targetE1EEEvT1_,comdat
.Lfunc_end131:
	.size	_ZN7rocprim17ROCPRIM_400000_NS6detail17trampoline_kernelINS0_14default_configENS1_27scan_by_key_config_selectorIllEEZZNS1_16scan_by_key_implILNS1_25lookback_scan_determinismE0ELb0ES3_PKlN6hipcub16HIPCUB_304000_NS21ConstantInputIteratorIllEEPllNSB_3SumENSB_8EqualityElEE10hipError_tPvRmT2_T3_T4_T5_mT6_T7_P12ihipStream_tbENKUlT_T0_E_clISt17integral_constantIbLb0EESW_IbLb1EEEEDaSS_ST_EUlSS_E_NS1_11comp_targetILNS1_3genE3ELNS1_11target_archE908ELNS1_3gpuE7ELNS1_3repE0EEENS1_30default_config_static_selectorELNS0_4arch9wavefront6targetE1EEEvT1_, .Lfunc_end131-_ZN7rocprim17ROCPRIM_400000_NS6detail17trampoline_kernelINS0_14default_configENS1_27scan_by_key_config_selectorIllEEZZNS1_16scan_by_key_implILNS1_25lookback_scan_determinismE0ELb0ES3_PKlN6hipcub16HIPCUB_304000_NS21ConstantInputIteratorIllEEPllNSB_3SumENSB_8EqualityElEE10hipError_tPvRmT2_T3_T4_T5_mT6_T7_P12ihipStream_tbENKUlT_T0_E_clISt17integral_constantIbLb0EESW_IbLb1EEEEDaSS_ST_EUlSS_E_NS1_11comp_targetILNS1_3genE3ELNS1_11target_archE908ELNS1_3gpuE7ELNS1_3repE0EEENS1_30default_config_static_selectorELNS0_4arch9wavefront6targetE1EEEvT1_
                                        ; -- End function
	.set _ZN7rocprim17ROCPRIM_400000_NS6detail17trampoline_kernelINS0_14default_configENS1_27scan_by_key_config_selectorIllEEZZNS1_16scan_by_key_implILNS1_25lookback_scan_determinismE0ELb0ES3_PKlN6hipcub16HIPCUB_304000_NS21ConstantInputIteratorIllEEPllNSB_3SumENSB_8EqualityElEE10hipError_tPvRmT2_T3_T4_T5_mT6_T7_P12ihipStream_tbENKUlT_T0_E_clISt17integral_constantIbLb0EESW_IbLb1EEEEDaSS_ST_EUlSS_E_NS1_11comp_targetILNS1_3genE3ELNS1_11target_archE908ELNS1_3gpuE7ELNS1_3repE0EEENS1_30default_config_static_selectorELNS0_4arch9wavefront6targetE1EEEvT1_.num_vgpr, 0
	.set _ZN7rocprim17ROCPRIM_400000_NS6detail17trampoline_kernelINS0_14default_configENS1_27scan_by_key_config_selectorIllEEZZNS1_16scan_by_key_implILNS1_25lookback_scan_determinismE0ELb0ES3_PKlN6hipcub16HIPCUB_304000_NS21ConstantInputIteratorIllEEPllNSB_3SumENSB_8EqualityElEE10hipError_tPvRmT2_T3_T4_T5_mT6_T7_P12ihipStream_tbENKUlT_T0_E_clISt17integral_constantIbLb0EESW_IbLb1EEEEDaSS_ST_EUlSS_E_NS1_11comp_targetILNS1_3genE3ELNS1_11target_archE908ELNS1_3gpuE7ELNS1_3repE0EEENS1_30default_config_static_selectorELNS0_4arch9wavefront6targetE1EEEvT1_.num_agpr, 0
	.set _ZN7rocprim17ROCPRIM_400000_NS6detail17trampoline_kernelINS0_14default_configENS1_27scan_by_key_config_selectorIllEEZZNS1_16scan_by_key_implILNS1_25lookback_scan_determinismE0ELb0ES3_PKlN6hipcub16HIPCUB_304000_NS21ConstantInputIteratorIllEEPllNSB_3SumENSB_8EqualityElEE10hipError_tPvRmT2_T3_T4_T5_mT6_T7_P12ihipStream_tbENKUlT_T0_E_clISt17integral_constantIbLb0EESW_IbLb1EEEEDaSS_ST_EUlSS_E_NS1_11comp_targetILNS1_3genE3ELNS1_11target_archE908ELNS1_3gpuE7ELNS1_3repE0EEENS1_30default_config_static_selectorELNS0_4arch9wavefront6targetE1EEEvT1_.numbered_sgpr, 0
	.set _ZN7rocprim17ROCPRIM_400000_NS6detail17trampoline_kernelINS0_14default_configENS1_27scan_by_key_config_selectorIllEEZZNS1_16scan_by_key_implILNS1_25lookback_scan_determinismE0ELb0ES3_PKlN6hipcub16HIPCUB_304000_NS21ConstantInputIteratorIllEEPllNSB_3SumENSB_8EqualityElEE10hipError_tPvRmT2_T3_T4_T5_mT6_T7_P12ihipStream_tbENKUlT_T0_E_clISt17integral_constantIbLb0EESW_IbLb1EEEEDaSS_ST_EUlSS_E_NS1_11comp_targetILNS1_3genE3ELNS1_11target_archE908ELNS1_3gpuE7ELNS1_3repE0EEENS1_30default_config_static_selectorELNS0_4arch9wavefront6targetE1EEEvT1_.num_named_barrier, 0
	.set _ZN7rocprim17ROCPRIM_400000_NS6detail17trampoline_kernelINS0_14default_configENS1_27scan_by_key_config_selectorIllEEZZNS1_16scan_by_key_implILNS1_25lookback_scan_determinismE0ELb0ES3_PKlN6hipcub16HIPCUB_304000_NS21ConstantInputIteratorIllEEPllNSB_3SumENSB_8EqualityElEE10hipError_tPvRmT2_T3_T4_T5_mT6_T7_P12ihipStream_tbENKUlT_T0_E_clISt17integral_constantIbLb0EESW_IbLb1EEEEDaSS_ST_EUlSS_E_NS1_11comp_targetILNS1_3genE3ELNS1_11target_archE908ELNS1_3gpuE7ELNS1_3repE0EEENS1_30default_config_static_selectorELNS0_4arch9wavefront6targetE1EEEvT1_.private_seg_size, 0
	.set _ZN7rocprim17ROCPRIM_400000_NS6detail17trampoline_kernelINS0_14default_configENS1_27scan_by_key_config_selectorIllEEZZNS1_16scan_by_key_implILNS1_25lookback_scan_determinismE0ELb0ES3_PKlN6hipcub16HIPCUB_304000_NS21ConstantInputIteratorIllEEPllNSB_3SumENSB_8EqualityElEE10hipError_tPvRmT2_T3_T4_T5_mT6_T7_P12ihipStream_tbENKUlT_T0_E_clISt17integral_constantIbLb0EESW_IbLb1EEEEDaSS_ST_EUlSS_E_NS1_11comp_targetILNS1_3genE3ELNS1_11target_archE908ELNS1_3gpuE7ELNS1_3repE0EEENS1_30default_config_static_selectorELNS0_4arch9wavefront6targetE1EEEvT1_.uses_vcc, 0
	.set _ZN7rocprim17ROCPRIM_400000_NS6detail17trampoline_kernelINS0_14default_configENS1_27scan_by_key_config_selectorIllEEZZNS1_16scan_by_key_implILNS1_25lookback_scan_determinismE0ELb0ES3_PKlN6hipcub16HIPCUB_304000_NS21ConstantInputIteratorIllEEPllNSB_3SumENSB_8EqualityElEE10hipError_tPvRmT2_T3_T4_T5_mT6_T7_P12ihipStream_tbENKUlT_T0_E_clISt17integral_constantIbLb0EESW_IbLb1EEEEDaSS_ST_EUlSS_E_NS1_11comp_targetILNS1_3genE3ELNS1_11target_archE908ELNS1_3gpuE7ELNS1_3repE0EEENS1_30default_config_static_selectorELNS0_4arch9wavefront6targetE1EEEvT1_.uses_flat_scratch, 0
	.set _ZN7rocprim17ROCPRIM_400000_NS6detail17trampoline_kernelINS0_14default_configENS1_27scan_by_key_config_selectorIllEEZZNS1_16scan_by_key_implILNS1_25lookback_scan_determinismE0ELb0ES3_PKlN6hipcub16HIPCUB_304000_NS21ConstantInputIteratorIllEEPllNSB_3SumENSB_8EqualityElEE10hipError_tPvRmT2_T3_T4_T5_mT6_T7_P12ihipStream_tbENKUlT_T0_E_clISt17integral_constantIbLb0EESW_IbLb1EEEEDaSS_ST_EUlSS_E_NS1_11comp_targetILNS1_3genE3ELNS1_11target_archE908ELNS1_3gpuE7ELNS1_3repE0EEENS1_30default_config_static_selectorELNS0_4arch9wavefront6targetE1EEEvT1_.has_dyn_sized_stack, 0
	.set _ZN7rocprim17ROCPRIM_400000_NS6detail17trampoline_kernelINS0_14default_configENS1_27scan_by_key_config_selectorIllEEZZNS1_16scan_by_key_implILNS1_25lookback_scan_determinismE0ELb0ES3_PKlN6hipcub16HIPCUB_304000_NS21ConstantInputIteratorIllEEPllNSB_3SumENSB_8EqualityElEE10hipError_tPvRmT2_T3_T4_T5_mT6_T7_P12ihipStream_tbENKUlT_T0_E_clISt17integral_constantIbLb0EESW_IbLb1EEEEDaSS_ST_EUlSS_E_NS1_11comp_targetILNS1_3genE3ELNS1_11target_archE908ELNS1_3gpuE7ELNS1_3repE0EEENS1_30default_config_static_selectorELNS0_4arch9wavefront6targetE1EEEvT1_.has_recursion, 0
	.set _ZN7rocprim17ROCPRIM_400000_NS6detail17trampoline_kernelINS0_14default_configENS1_27scan_by_key_config_selectorIllEEZZNS1_16scan_by_key_implILNS1_25lookback_scan_determinismE0ELb0ES3_PKlN6hipcub16HIPCUB_304000_NS21ConstantInputIteratorIllEEPllNSB_3SumENSB_8EqualityElEE10hipError_tPvRmT2_T3_T4_T5_mT6_T7_P12ihipStream_tbENKUlT_T0_E_clISt17integral_constantIbLb0EESW_IbLb1EEEEDaSS_ST_EUlSS_E_NS1_11comp_targetILNS1_3genE3ELNS1_11target_archE908ELNS1_3gpuE7ELNS1_3repE0EEENS1_30default_config_static_selectorELNS0_4arch9wavefront6targetE1EEEvT1_.has_indirect_call, 0
	.section	.AMDGPU.csdata,"",@progbits
; Kernel info:
; codeLenInByte = 0
; TotalNumSgprs: 6
; NumVgprs: 0
; NumAgprs: 0
; TotalNumVgprs: 0
; ScratchSize: 0
; MemoryBound: 0
; FloatMode: 240
; IeeeMode: 1
; LDSByteSize: 0 bytes/workgroup (compile time only)
; SGPRBlocks: 0
; VGPRBlocks: 0
; NumSGPRsForWavesPerEU: 6
; NumVGPRsForWavesPerEU: 1
; AccumOffset: 4
; Occupancy: 8
; WaveLimiterHint : 0
; COMPUTE_PGM_RSRC2:SCRATCH_EN: 0
; COMPUTE_PGM_RSRC2:USER_SGPR: 2
; COMPUTE_PGM_RSRC2:TRAP_HANDLER: 0
; COMPUTE_PGM_RSRC2:TGID_X_EN: 1
; COMPUTE_PGM_RSRC2:TGID_Y_EN: 0
; COMPUTE_PGM_RSRC2:TGID_Z_EN: 0
; COMPUTE_PGM_RSRC2:TIDIG_COMP_CNT: 0
; COMPUTE_PGM_RSRC3_GFX90A:ACCUM_OFFSET: 0
; COMPUTE_PGM_RSRC3_GFX90A:TG_SPLIT: 0
	.section	.text._ZN7rocprim17ROCPRIM_400000_NS6detail17trampoline_kernelINS0_14default_configENS1_27scan_by_key_config_selectorIllEEZZNS1_16scan_by_key_implILNS1_25lookback_scan_determinismE0ELb0ES3_PKlN6hipcub16HIPCUB_304000_NS21ConstantInputIteratorIllEEPllNSB_3SumENSB_8EqualityElEE10hipError_tPvRmT2_T3_T4_T5_mT6_T7_P12ihipStream_tbENKUlT_T0_E_clISt17integral_constantIbLb0EESW_IbLb1EEEEDaSS_ST_EUlSS_E_NS1_11comp_targetILNS1_3genE2ELNS1_11target_archE906ELNS1_3gpuE6ELNS1_3repE0EEENS1_30default_config_static_selectorELNS0_4arch9wavefront6targetE1EEEvT1_,"axG",@progbits,_ZN7rocprim17ROCPRIM_400000_NS6detail17trampoline_kernelINS0_14default_configENS1_27scan_by_key_config_selectorIllEEZZNS1_16scan_by_key_implILNS1_25lookback_scan_determinismE0ELb0ES3_PKlN6hipcub16HIPCUB_304000_NS21ConstantInputIteratorIllEEPllNSB_3SumENSB_8EqualityElEE10hipError_tPvRmT2_T3_T4_T5_mT6_T7_P12ihipStream_tbENKUlT_T0_E_clISt17integral_constantIbLb0EESW_IbLb1EEEEDaSS_ST_EUlSS_E_NS1_11comp_targetILNS1_3genE2ELNS1_11target_archE906ELNS1_3gpuE6ELNS1_3repE0EEENS1_30default_config_static_selectorELNS0_4arch9wavefront6targetE1EEEvT1_,comdat
	.protected	_ZN7rocprim17ROCPRIM_400000_NS6detail17trampoline_kernelINS0_14default_configENS1_27scan_by_key_config_selectorIllEEZZNS1_16scan_by_key_implILNS1_25lookback_scan_determinismE0ELb0ES3_PKlN6hipcub16HIPCUB_304000_NS21ConstantInputIteratorIllEEPllNSB_3SumENSB_8EqualityElEE10hipError_tPvRmT2_T3_T4_T5_mT6_T7_P12ihipStream_tbENKUlT_T0_E_clISt17integral_constantIbLb0EESW_IbLb1EEEEDaSS_ST_EUlSS_E_NS1_11comp_targetILNS1_3genE2ELNS1_11target_archE906ELNS1_3gpuE6ELNS1_3repE0EEENS1_30default_config_static_selectorELNS0_4arch9wavefront6targetE1EEEvT1_ ; -- Begin function _ZN7rocprim17ROCPRIM_400000_NS6detail17trampoline_kernelINS0_14default_configENS1_27scan_by_key_config_selectorIllEEZZNS1_16scan_by_key_implILNS1_25lookback_scan_determinismE0ELb0ES3_PKlN6hipcub16HIPCUB_304000_NS21ConstantInputIteratorIllEEPllNSB_3SumENSB_8EqualityElEE10hipError_tPvRmT2_T3_T4_T5_mT6_T7_P12ihipStream_tbENKUlT_T0_E_clISt17integral_constantIbLb0EESW_IbLb1EEEEDaSS_ST_EUlSS_E_NS1_11comp_targetILNS1_3genE2ELNS1_11target_archE906ELNS1_3gpuE6ELNS1_3repE0EEENS1_30default_config_static_selectorELNS0_4arch9wavefront6targetE1EEEvT1_
	.globl	_ZN7rocprim17ROCPRIM_400000_NS6detail17trampoline_kernelINS0_14default_configENS1_27scan_by_key_config_selectorIllEEZZNS1_16scan_by_key_implILNS1_25lookback_scan_determinismE0ELb0ES3_PKlN6hipcub16HIPCUB_304000_NS21ConstantInputIteratorIllEEPllNSB_3SumENSB_8EqualityElEE10hipError_tPvRmT2_T3_T4_T5_mT6_T7_P12ihipStream_tbENKUlT_T0_E_clISt17integral_constantIbLb0EESW_IbLb1EEEEDaSS_ST_EUlSS_E_NS1_11comp_targetILNS1_3genE2ELNS1_11target_archE906ELNS1_3gpuE6ELNS1_3repE0EEENS1_30default_config_static_selectorELNS0_4arch9wavefront6targetE1EEEvT1_
	.p2align	8
	.type	_ZN7rocprim17ROCPRIM_400000_NS6detail17trampoline_kernelINS0_14default_configENS1_27scan_by_key_config_selectorIllEEZZNS1_16scan_by_key_implILNS1_25lookback_scan_determinismE0ELb0ES3_PKlN6hipcub16HIPCUB_304000_NS21ConstantInputIteratorIllEEPllNSB_3SumENSB_8EqualityElEE10hipError_tPvRmT2_T3_T4_T5_mT6_T7_P12ihipStream_tbENKUlT_T0_E_clISt17integral_constantIbLb0EESW_IbLb1EEEEDaSS_ST_EUlSS_E_NS1_11comp_targetILNS1_3genE2ELNS1_11target_archE906ELNS1_3gpuE6ELNS1_3repE0EEENS1_30default_config_static_selectorELNS0_4arch9wavefront6targetE1EEEvT1_,@function
_ZN7rocprim17ROCPRIM_400000_NS6detail17trampoline_kernelINS0_14default_configENS1_27scan_by_key_config_selectorIllEEZZNS1_16scan_by_key_implILNS1_25lookback_scan_determinismE0ELb0ES3_PKlN6hipcub16HIPCUB_304000_NS21ConstantInputIteratorIllEEPllNSB_3SumENSB_8EqualityElEE10hipError_tPvRmT2_T3_T4_T5_mT6_T7_P12ihipStream_tbENKUlT_T0_E_clISt17integral_constantIbLb0EESW_IbLb1EEEEDaSS_ST_EUlSS_E_NS1_11comp_targetILNS1_3genE2ELNS1_11target_archE906ELNS1_3gpuE6ELNS1_3repE0EEENS1_30default_config_static_selectorELNS0_4arch9wavefront6targetE1EEEvT1_: ; @_ZN7rocprim17ROCPRIM_400000_NS6detail17trampoline_kernelINS0_14default_configENS1_27scan_by_key_config_selectorIllEEZZNS1_16scan_by_key_implILNS1_25lookback_scan_determinismE0ELb0ES3_PKlN6hipcub16HIPCUB_304000_NS21ConstantInputIteratorIllEEPllNSB_3SumENSB_8EqualityElEE10hipError_tPvRmT2_T3_T4_T5_mT6_T7_P12ihipStream_tbENKUlT_T0_E_clISt17integral_constantIbLb0EESW_IbLb1EEEEDaSS_ST_EUlSS_E_NS1_11comp_targetILNS1_3genE2ELNS1_11target_archE906ELNS1_3gpuE6ELNS1_3repE0EEENS1_30default_config_static_selectorELNS0_4arch9wavefront6targetE1EEEvT1_
; %bb.0:
	.section	.rodata,"a",@progbits
	.p2align	6, 0x0
	.amdhsa_kernel _ZN7rocprim17ROCPRIM_400000_NS6detail17trampoline_kernelINS0_14default_configENS1_27scan_by_key_config_selectorIllEEZZNS1_16scan_by_key_implILNS1_25lookback_scan_determinismE0ELb0ES3_PKlN6hipcub16HIPCUB_304000_NS21ConstantInputIteratorIllEEPllNSB_3SumENSB_8EqualityElEE10hipError_tPvRmT2_T3_T4_T5_mT6_T7_P12ihipStream_tbENKUlT_T0_E_clISt17integral_constantIbLb0EESW_IbLb1EEEEDaSS_ST_EUlSS_E_NS1_11comp_targetILNS1_3genE2ELNS1_11target_archE906ELNS1_3gpuE6ELNS1_3repE0EEENS1_30default_config_static_selectorELNS0_4arch9wavefront6targetE1EEEvT1_
		.amdhsa_group_segment_fixed_size 0
		.amdhsa_private_segment_fixed_size 0
		.amdhsa_kernarg_size 144
		.amdhsa_user_sgpr_count 2
		.amdhsa_user_sgpr_dispatch_ptr 0
		.amdhsa_user_sgpr_queue_ptr 0
		.amdhsa_user_sgpr_kernarg_segment_ptr 1
		.amdhsa_user_sgpr_dispatch_id 0
		.amdhsa_user_sgpr_kernarg_preload_length 0
		.amdhsa_user_sgpr_kernarg_preload_offset 0
		.amdhsa_user_sgpr_private_segment_size 0
		.amdhsa_uses_dynamic_stack 0
		.amdhsa_enable_private_segment 0
		.amdhsa_system_sgpr_workgroup_id_x 1
		.amdhsa_system_sgpr_workgroup_id_y 0
		.amdhsa_system_sgpr_workgroup_id_z 0
		.amdhsa_system_sgpr_workgroup_info 0
		.amdhsa_system_vgpr_workitem_id 0
		.amdhsa_next_free_vgpr 1
		.amdhsa_next_free_sgpr 0
		.amdhsa_accum_offset 4
		.amdhsa_reserve_vcc 0
		.amdhsa_float_round_mode_32 0
		.amdhsa_float_round_mode_16_64 0
		.amdhsa_float_denorm_mode_32 3
		.amdhsa_float_denorm_mode_16_64 3
		.amdhsa_dx10_clamp 1
		.amdhsa_ieee_mode 1
		.amdhsa_fp16_overflow 0
		.amdhsa_tg_split 0
		.amdhsa_exception_fp_ieee_invalid_op 0
		.amdhsa_exception_fp_denorm_src 0
		.amdhsa_exception_fp_ieee_div_zero 0
		.amdhsa_exception_fp_ieee_overflow 0
		.amdhsa_exception_fp_ieee_underflow 0
		.amdhsa_exception_fp_ieee_inexact 0
		.amdhsa_exception_int_div_zero 0
	.end_amdhsa_kernel
	.section	.text._ZN7rocprim17ROCPRIM_400000_NS6detail17trampoline_kernelINS0_14default_configENS1_27scan_by_key_config_selectorIllEEZZNS1_16scan_by_key_implILNS1_25lookback_scan_determinismE0ELb0ES3_PKlN6hipcub16HIPCUB_304000_NS21ConstantInputIteratorIllEEPllNSB_3SumENSB_8EqualityElEE10hipError_tPvRmT2_T3_T4_T5_mT6_T7_P12ihipStream_tbENKUlT_T0_E_clISt17integral_constantIbLb0EESW_IbLb1EEEEDaSS_ST_EUlSS_E_NS1_11comp_targetILNS1_3genE2ELNS1_11target_archE906ELNS1_3gpuE6ELNS1_3repE0EEENS1_30default_config_static_selectorELNS0_4arch9wavefront6targetE1EEEvT1_,"axG",@progbits,_ZN7rocprim17ROCPRIM_400000_NS6detail17trampoline_kernelINS0_14default_configENS1_27scan_by_key_config_selectorIllEEZZNS1_16scan_by_key_implILNS1_25lookback_scan_determinismE0ELb0ES3_PKlN6hipcub16HIPCUB_304000_NS21ConstantInputIteratorIllEEPllNSB_3SumENSB_8EqualityElEE10hipError_tPvRmT2_T3_T4_T5_mT6_T7_P12ihipStream_tbENKUlT_T0_E_clISt17integral_constantIbLb0EESW_IbLb1EEEEDaSS_ST_EUlSS_E_NS1_11comp_targetILNS1_3genE2ELNS1_11target_archE906ELNS1_3gpuE6ELNS1_3repE0EEENS1_30default_config_static_selectorELNS0_4arch9wavefront6targetE1EEEvT1_,comdat
.Lfunc_end132:
	.size	_ZN7rocprim17ROCPRIM_400000_NS6detail17trampoline_kernelINS0_14default_configENS1_27scan_by_key_config_selectorIllEEZZNS1_16scan_by_key_implILNS1_25lookback_scan_determinismE0ELb0ES3_PKlN6hipcub16HIPCUB_304000_NS21ConstantInputIteratorIllEEPllNSB_3SumENSB_8EqualityElEE10hipError_tPvRmT2_T3_T4_T5_mT6_T7_P12ihipStream_tbENKUlT_T0_E_clISt17integral_constantIbLb0EESW_IbLb1EEEEDaSS_ST_EUlSS_E_NS1_11comp_targetILNS1_3genE2ELNS1_11target_archE906ELNS1_3gpuE6ELNS1_3repE0EEENS1_30default_config_static_selectorELNS0_4arch9wavefront6targetE1EEEvT1_, .Lfunc_end132-_ZN7rocprim17ROCPRIM_400000_NS6detail17trampoline_kernelINS0_14default_configENS1_27scan_by_key_config_selectorIllEEZZNS1_16scan_by_key_implILNS1_25lookback_scan_determinismE0ELb0ES3_PKlN6hipcub16HIPCUB_304000_NS21ConstantInputIteratorIllEEPllNSB_3SumENSB_8EqualityElEE10hipError_tPvRmT2_T3_T4_T5_mT6_T7_P12ihipStream_tbENKUlT_T0_E_clISt17integral_constantIbLb0EESW_IbLb1EEEEDaSS_ST_EUlSS_E_NS1_11comp_targetILNS1_3genE2ELNS1_11target_archE906ELNS1_3gpuE6ELNS1_3repE0EEENS1_30default_config_static_selectorELNS0_4arch9wavefront6targetE1EEEvT1_
                                        ; -- End function
	.set _ZN7rocprim17ROCPRIM_400000_NS6detail17trampoline_kernelINS0_14default_configENS1_27scan_by_key_config_selectorIllEEZZNS1_16scan_by_key_implILNS1_25lookback_scan_determinismE0ELb0ES3_PKlN6hipcub16HIPCUB_304000_NS21ConstantInputIteratorIllEEPllNSB_3SumENSB_8EqualityElEE10hipError_tPvRmT2_T3_T4_T5_mT6_T7_P12ihipStream_tbENKUlT_T0_E_clISt17integral_constantIbLb0EESW_IbLb1EEEEDaSS_ST_EUlSS_E_NS1_11comp_targetILNS1_3genE2ELNS1_11target_archE906ELNS1_3gpuE6ELNS1_3repE0EEENS1_30default_config_static_selectorELNS0_4arch9wavefront6targetE1EEEvT1_.num_vgpr, 0
	.set _ZN7rocprim17ROCPRIM_400000_NS6detail17trampoline_kernelINS0_14default_configENS1_27scan_by_key_config_selectorIllEEZZNS1_16scan_by_key_implILNS1_25lookback_scan_determinismE0ELb0ES3_PKlN6hipcub16HIPCUB_304000_NS21ConstantInputIteratorIllEEPllNSB_3SumENSB_8EqualityElEE10hipError_tPvRmT2_T3_T4_T5_mT6_T7_P12ihipStream_tbENKUlT_T0_E_clISt17integral_constantIbLb0EESW_IbLb1EEEEDaSS_ST_EUlSS_E_NS1_11comp_targetILNS1_3genE2ELNS1_11target_archE906ELNS1_3gpuE6ELNS1_3repE0EEENS1_30default_config_static_selectorELNS0_4arch9wavefront6targetE1EEEvT1_.num_agpr, 0
	.set _ZN7rocprim17ROCPRIM_400000_NS6detail17trampoline_kernelINS0_14default_configENS1_27scan_by_key_config_selectorIllEEZZNS1_16scan_by_key_implILNS1_25lookback_scan_determinismE0ELb0ES3_PKlN6hipcub16HIPCUB_304000_NS21ConstantInputIteratorIllEEPllNSB_3SumENSB_8EqualityElEE10hipError_tPvRmT2_T3_T4_T5_mT6_T7_P12ihipStream_tbENKUlT_T0_E_clISt17integral_constantIbLb0EESW_IbLb1EEEEDaSS_ST_EUlSS_E_NS1_11comp_targetILNS1_3genE2ELNS1_11target_archE906ELNS1_3gpuE6ELNS1_3repE0EEENS1_30default_config_static_selectorELNS0_4arch9wavefront6targetE1EEEvT1_.numbered_sgpr, 0
	.set _ZN7rocprim17ROCPRIM_400000_NS6detail17trampoline_kernelINS0_14default_configENS1_27scan_by_key_config_selectorIllEEZZNS1_16scan_by_key_implILNS1_25lookback_scan_determinismE0ELb0ES3_PKlN6hipcub16HIPCUB_304000_NS21ConstantInputIteratorIllEEPllNSB_3SumENSB_8EqualityElEE10hipError_tPvRmT2_T3_T4_T5_mT6_T7_P12ihipStream_tbENKUlT_T0_E_clISt17integral_constantIbLb0EESW_IbLb1EEEEDaSS_ST_EUlSS_E_NS1_11comp_targetILNS1_3genE2ELNS1_11target_archE906ELNS1_3gpuE6ELNS1_3repE0EEENS1_30default_config_static_selectorELNS0_4arch9wavefront6targetE1EEEvT1_.num_named_barrier, 0
	.set _ZN7rocprim17ROCPRIM_400000_NS6detail17trampoline_kernelINS0_14default_configENS1_27scan_by_key_config_selectorIllEEZZNS1_16scan_by_key_implILNS1_25lookback_scan_determinismE0ELb0ES3_PKlN6hipcub16HIPCUB_304000_NS21ConstantInputIteratorIllEEPllNSB_3SumENSB_8EqualityElEE10hipError_tPvRmT2_T3_T4_T5_mT6_T7_P12ihipStream_tbENKUlT_T0_E_clISt17integral_constantIbLb0EESW_IbLb1EEEEDaSS_ST_EUlSS_E_NS1_11comp_targetILNS1_3genE2ELNS1_11target_archE906ELNS1_3gpuE6ELNS1_3repE0EEENS1_30default_config_static_selectorELNS0_4arch9wavefront6targetE1EEEvT1_.private_seg_size, 0
	.set _ZN7rocprim17ROCPRIM_400000_NS6detail17trampoline_kernelINS0_14default_configENS1_27scan_by_key_config_selectorIllEEZZNS1_16scan_by_key_implILNS1_25lookback_scan_determinismE0ELb0ES3_PKlN6hipcub16HIPCUB_304000_NS21ConstantInputIteratorIllEEPllNSB_3SumENSB_8EqualityElEE10hipError_tPvRmT2_T3_T4_T5_mT6_T7_P12ihipStream_tbENKUlT_T0_E_clISt17integral_constantIbLb0EESW_IbLb1EEEEDaSS_ST_EUlSS_E_NS1_11comp_targetILNS1_3genE2ELNS1_11target_archE906ELNS1_3gpuE6ELNS1_3repE0EEENS1_30default_config_static_selectorELNS0_4arch9wavefront6targetE1EEEvT1_.uses_vcc, 0
	.set _ZN7rocprim17ROCPRIM_400000_NS6detail17trampoline_kernelINS0_14default_configENS1_27scan_by_key_config_selectorIllEEZZNS1_16scan_by_key_implILNS1_25lookback_scan_determinismE0ELb0ES3_PKlN6hipcub16HIPCUB_304000_NS21ConstantInputIteratorIllEEPllNSB_3SumENSB_8EqualityElEE10hipError_tPvRmT2_T3_T4_T5_mT6_T7_P12ihipStream_tbENKUlT_T0_E_clISt17integral_constantIbLb0EESW_IbLb1EEEEDaSS_ST_EUlSS_E_NS1_11comp_targetILNS1_3genE2ELNS1_11target_archE906ELNS1_3gpuE6ELNS1_3repE0EEENS1_30default_config_static_selectorELNS0_4arch9wavefront6targetE1EEEvT1_.uses_flat_scratch, 0
	.set _ZN7rocprim17ROCPRIM_400000_NS6detail17trampoline_kernelINS0_14default_configENS1_27scan_by_key_config_selectorIllEEZZNS1_16scan_by_key_implILNS1_25lookback_scan_determinismE0ELb0ES3_PKlN6hipcub16HIPCUB_304000_NS21ConstantInputIteratorIllEEPllNSB_3SumENSB_8EqualityElEE10hipError_tPvRmT2_T3_T4_T5_mT6_T7_P12ihipStream_tbENKUlT_T0_E_clISt17integral_constantIbLb0EESW_IbLb1EEEEDaSS_ST_EUlSS_E_NS1_11comp_targetILNS1_3genE2ELNS1_11target_archE906ELNS1_3gpuE6ELNS1_3repE0EEENS1_30default_config_static_selectorELNS0_4arch9wavefront6targetE1EEEvT1_.has_dyn_sized_stack, 0
	.set _ZN7rocprim17ROCPRIM_400000_NS6detail17trampoline_kernelINS0_14default_configENS1_27scan_by_key_config_selectorIllEEZZNS1_16scan_by_key_implILNS1_25lookback_scan_determinismE0ELb0ES3_PKlN6hipcub16HIPCUB_304000_NS21ConstantInputIteratorIllEEPllNSB_3SumENSB_8EqualityElEE10hipError_tPvRmT2_T3_T4_T5_mT6_T7_P12ihipStream_tbENKUlT_T0_E_clISt17integral_constantIbLb0EESW_IbLb1EEEEDaSS_ST_EUlSS_E_NS1_11comp_targetILNS1_3genE2ELNS1_11target_archE906ELNS1_3gpuE6ELNS1_3repE0EEENS1_30default_config_static_selectorELNS0_4arch9wavefront6targetE1EEEvT1_.has_recursion, 0
	.set _ZN7rocprim17ROCPRIM_400000_NS6detail17trampoline_kernelINS0_14default_configENS1_27scan_by_key_config_selectorIllEEZZNS1_16scan_by_key_implILNS1_25lookback_scan_determinismE0ELb0ES3_PKlN6hipcub16HIPCUB_304000_NS21ConstantInputIteratorIllEEPllNSB_3SumENSB_8EqualityElEE10hipError_tPvRmT2_T3_T4_T5_mT6_T7_P12ihipStream_tbENKUlT_T0_E_clISt17integral_constantIbLb0EESW_IbLb1EEEEDaSS_ST_EUlSS_E_NS1_11comp_targetILNS1_3genE2ELNS1_11target_archE906ELNS1_3gpuE6ELNS1_3repE0EEENS1_30default_config_static_selectorELNS0_4arch9wavefront6targetE1EEEvT1_.has_indirect_call, 0
	.section	.AMDGPU.csdata,"",@progbits
; Kernel info:
; codeLenInByte = 0
; TotalNumSgprs: 6
; NumVgprs: 0
; NumAgprs: 0
; TotalNumVgprs: 0
; ScratchSize: 0
; MemoryBound: 0
; FloatMode: 240
; IeeeMode: 1
; LDSByteSize: 0 bytes/workgroup (compile time only)
; SGPRBlocks: 0
; VGPRBlocks: 0
; NumSGPRsForWavesPerEU: 6
; NumVGPRsForWavesPerEU: 1
; AccumOffset: 4
; Occupancy: 8
; WaveLimiterHint : 0
; COMPUTE_PGM_RSRC2:SCRATCH_EN: 0
; COMPUTE_PGM_RSRC2:USER_SGPR: 2
; COMPUTE_PGM_RSRC2:TRAP_HANDLER: 0
; COMPUTE_PGM_RSRC2:TGID_X_EN: 1
; COMPUTE_PGM_RSRC2:TGID_Y_EN: 0
; COMPUTE_PGM_RSRC2:TGID_Z_EN: 0
; COMPUTE_PGM_RSRC2:TIDIG_COMP_CNT: 0
; COMPUTE_PGM_RSRC3_GFX90A:ACCUM_OFFSET: 0
; COMPUTE_PGM_RSRC3_GFX90A:TG_SPLIT: 0
	.section	.text._ZN7rocprim17ROCPRIM_400000_NS6detail17trampoline_kernelINS0_14default_configENS1_27scan_by_key_config_selectorIllEEZZNS1_16scan_by_key_implILNS1_25lookback_scan_determinismE0ELb0ES3_PKlN6hipcub16HIPCUB_304000_NS21ConstantInputIteratorIllEEPllNSB_3SumENSB_8EqualityElEE10hipError_tPvRmT2_T3_T4_T5_mT6_T7_P12ihipStream_tbENKUlT_T0_E_clISt17integral_constantIbLb0EESW_IbLb1EEEEDaSS_ST_EUlSS_E_NS1_11comp_targetILNS1_3genE10ELNS1_11target_archE1200ELNS1_3gpuE4ELNS1_3repE0EEENS1_30default_config_static_selectorELNS0_4arch9wavefront6targetE1EEEvT1_,"axG",@progbits,_ZN7rocprim17ROCPRIM_400000_NS6detail17trampoline_kernelINS0_14default_configENS1_27scan_by_key_config_selectorIllEEZZNS1_16scan_by_key_implILNS1_25lookback_scan_determinismE0ELb0ES3_PKlN6hipcub16HIPCUB_304000_NS21ConstantInputIteratorIllEEPllNSB_3SumENSB_8EqualityElEE10hipError_tPvRmT2_T3_T4_T5_mT6_T7_P12ihipStream_tbENKUlT_T0_E_clISt17integral_constantIbLb0EESW_IbLb1EEEEDaSS_ST_EUlSS_E_NS1_11comp_targetILNS1_3genE10ELNS1_11target_archE1200ELNS1_3gpuE4ELNS1_3repE0EEENS1_30default_config_static_selectorELNS0_4arch9wavefront6targetE1EEEvT1_,comdat
	.protected	_ZN7rocprim17ROCPRIM_400000_NS6detail17trampoline_kernelINS0_14default_configENS1_27scan_by_key_config_selectorIllEEZZNS1_16scan_by_key_implILNS1_25lookback_scan_determinismE0ELb0ES3_PKlN6hipcub16HIPCUB_304000_NS21ConstantInputIteratorIllEEPllNSB_3SumENSB_8EqualityElEE10hipError_tPvRmT2_T3_T4_T5_mT6_T7_P12ihipStream_tbENKUlT_T0_E_clISt17integral_constantIbLb0EESW_IbLb1EEEEDaSS_ST_EUlSS_E_NS1_11comp_targetILNS1_3genE10ELNS1_11target_archE1200ELNS1_3gpuE4ELNS1_3repE0EEENS1_30default_config_static_selectorELNS0_4arch9wavefront6targetE1EEEvT1_ ; -- Begin function _ZN7rocprim17ROCPRIM_400000_NS6detail17trampoline_kernelINS0_14default_configENS1_27scan_by_key_config_selectorIllEEZZNS1_16scan_by_key_implILNS1_25lookback_scan_determinismE0ELb0ES3_PKlN6hipcub16HIPCUB_304000_NS21ConstantInputIteratorIllEEPllNSB_3SumENSB_8EqualityElEE10hipError_tPvRmT2_T3_T4_T5_mT6_T7_P12ihipStream_tbENKUlT_T0_E_clISt17integral_constantIbLb0EESW_IbLb1EEEEDaSS_ST_EUlSS_E_NS1_11comp_targetILNS1_3genE10ELNS1_11target_archE1200ELNS1_3gpuE4ELNS1_3repE0EEENS1_30default_config_static_selectorELNS0_4arch9wavefront6targetE1EEEvT1_
	.globl	_ZN7rocprim17ROCPRIM_400000_NS6detail17trampoline_kernelINS0_14default_configENS1_27scan_by_key_config_selectorIllEEZZNS1_16scan_by_key_implILNS1_25lookback_scan_determinismE0ELb0ES3_PKlN6hipcub16HIPCUB_304000_NS21ConstantInputIteratorIllEEPllNSB_3SumENSB_8EqualityElEE10hipError_tPvRmT2_T3_T4_T5_mT6_T7_P12ihipStream_tbENKUlT_T0_E_clISt17integral_constantIbLb0EESW_IbLb1EEEEDaSS_ST_EUlSS_E_NS1_11comp_targetILNS1_3genE10ELNS1_11target_archE1200ELNS1_3gpuE4ELNS1_3repE0EEENS1_30default_config_static_selectorELNS0_4arch9wavefront6targetE1EEEvT1_
	.p2align	8
	.type	_ZN7rocprim17ROCPRIM_400000_NS6detail17trampoline_kernelINS0_14default_configENS1_27scan_by_key_config_selectorIllEEZZNS1_16scan_by_key_implILNS1_25lookback_scan_determinismE0ELb0ES3_PKlN6hipcub16HIPCUB_304000_NS21ConstantInputIteratorIllEEPllNSB_3SumENSB_8EqualityElEE10hipError_tPvRmT2_T3_T4_T5_mT6_T7_P12ihipStream_tbENKUlT_T0_E_clISt17integral_constantIbLb0EESW_IbLb1EEEEDaSS_ST_EUlSS_E_NS1_11comp_targetILNS1_3genE10ELNS1_11target_archE1200ELNS1_3gpuE4ELNS1_3repE0EEENS1_30default_config_static_selectorELNS0_4arch9wavefront6targetE1EEEvT1_,@function
_ZN7rocprim17ROCPRIM_400000_NS6detail17trampoline_kernelINS0_14default_configENS1_27scan_by_key_config_selectorIllEEZZNS1_16scan_by_key_implILNS1_25lookback_scan_determinismE0ELb0ES3_PKlN6hipcub16HIPCUB_304000_NS21ConstantInputIteratorIllEEPllNSB_3SumENSB_8EqualityElEE10hipError_tPvRmT2_T3_T4_T5_mT6_T7_P12ihipStream_tbENKUlT_T0_E_clISt17integral_constantIbLb0EESW_IbLb1EEEEDaSS_ST_EUlSS_E_NS1_11comp_targetILNS1_3genE10ELNS1_11target_archE1200ELNS1_3gpuE4ELNS1_3repE0EEENS1_30default_config_static_selectorELNS0_4arch9wavefront6targetE1EEEvT1_: ; @_ZN7rocprim17ROCPRIM_400000_NS6detail17trampoline_kernelINS0_14default_configENS1_27scan_by_key_config_selectorIllEEZZNS1_16scan_by_key_implILNS1_25lookback_scan_determinismE0ELb0ES3_PKlN6hipcub16HIPCUB_304000_NS21ConstantInputIteratorIllEEPllNSB_3SumENSB_8EqualityElEE10hipError_tPvRmT2_T3_T4_T5_mT6_T7_P12ihipStream_tbENKUlT_T0_E_clISt17integral_constantIbLb0EESW_IbLb1EEEEDaSS_ST_EUlSS_E_NS1_11comp_targetILNS1_3genE10ELNS1_11target_archE1200ELNS1_3gpuE4ELNS1_3repE0EEENS1_30default_config_static_selectorELNS0_4arch9wavefront6targetE1EEEvT1_
; %bb.0:
	.section	.rodata,"a",@progbits
	.p2align	6, 0x0
	.amdhsa_kernel _ZN7rocprim17ROCPRIM_400000_NS6detail17trampoline_kernelINS0_14default_configENS1_27scan_by_key_config_selectorIllEEZZNS1_16scan_by_key_implILNS1_25lookback_scan_determinismE0ELb0ES3_PKlN6hipcub16HIPCUB_304000_NS21ConstantInputIteratorIllEEPllNSB_3SumENSB_8EqualityElEE10hipError_tPvRmT2_T3_T4_T5_mT6_T7_P12ihipStream_tbENKUlT_T0_E_clISt17integral_constantIbLb0EESW_IbLb1EEEEDaSS_ST_EUlSS_E_NS1_11comp_targetILNS1_3genE10ELNS1_11target_archE1200ELNS1_3gpuE4ELNS1_3repE0EEENS1_30default_config_static_selectorELNS0_4arch9wavefront6targetE1EEEvT1_
		.amdhsa_group_segment_fixed_size 0
		.amdhsa_private_segment_fixed_size 0
		.amdhsa_kernarg_size 144
		.amdhsa_user_sgpr_count 2
		.amdhsa_user_sgpr_dispatch_ptr 0
		.amdhsa_user_sgpr_queue_ptr 0
		.amdhsa_user_sgpr_kernarg_segment_ptr 1
		.amdhsa_user_sgpr_dispatch_id 0
		.amdhsa_user_sgpr_kernarg_preload_length 0
		.amdhsa_user_sgpr_kernarg_preload_offset 0
		.amdhsa_user_sgpr_private_segment_size 0
		.amdhsa_uses_dynamic_stack 0
		.amdhsa_enable_private_segment 0
		.amdhsa_system_sgpr_workgroup_id_x 1
		.amdhsa_system_sgpr_workgroup_id_y 0
		.amdhsa_system_sgpr_workgroup_id_z 0
		.amdhsa_system_sgpr_workgroup_info 0
		.amdhsa_system_vgpr_workitem_id 0
		.amdhsa_next_free_vgpr 1
		.amdhsa_next_free_sgpr 0
		.amdhsa_accum_offset 4
		.amdhsa_reserve_vcc 0
		.amdhsa_float_round_mode_32 0
		.amdhsa_float_round_mode_16_64 0
		.amdhsa_float_denorm_mode_32 3
		.amdhsa_float_denorm_mode_16_64 3
		.amdhsa_dx10_clamp 1
		.amdhsa_ieee_mode 1
		.amdhsa_fp16_overflow 0
		.amdhsa_tg_split 0
		.amdhsa_exception_fp_ieee_invalid_op 0
		.amdhsa_exception_fp_denorm_src 0
		.amdhsa_exception_fp_ieee_div_zero 0
		.amdhsa_exception_fp_ieee_overflow 0
		.amdhsa_exception_fp_ieee_underflow 0
		.amdhsa_exception_fp_ieee_inexact 0
		.amdhsa_exception_int_div_zero 0
	.end_amdhsa_kernel
	.section	.text._ZN7rocprim17ROCPRIM_400000_NS6detail17trampoline_kernelINS0_14default_configENS1_27scan_by_key_config_selectorIllEEZZNS1_16scan_by_key_implILNS1_25lookback_scan_determinismE0ELb0ES3_PKlN6hipcub16HIPCUB_304000_NS21ConstantInputIteratorIllEEPllNSB_3SumENSB_8EqualityElEE10hipError_tPvRmT2_T3_T4_T5_mT6_T7_P12ihipStream_tbENKUlT_T0_E_clISt17integral_constantIbLb0EESW_IbLb1EEEEDaSS_ST_EUlSS_E_NS1_11comp_targetILNS1_3genE10ELNS1_11target_archE1200ELNS1_3gpuE4ELNS1_3repE0EEENS1_30default_config_static_selectorELNS0_4arch9wavefront6targetE1EEEvT1_,"axG",@progbits,_ZN7rocprim17ROCPRIM_400000_NS6detail17trampoline_kernelINS0_14default_configENS1_27scan_by_key_config_selectorIllEEZZNS1_16scan_by_key_implILNS1_25lookback_scan_determinismE0ELb0ES3_PKlN6hipcub16HIPCUB_304000_NS21ConstantInputIteratorIllEEPllNSB_3SumENSB_8EqualityElEE10hipError_tPvRmT2_T3_T4_T5_mT6_T7_P12ihipStream_tbENKUlT_T0_E_clISt17integral_constantIbLb0EESW_IbLb1EEEEDaSS_ST_EUlSS_E_NS1_11comp_targetILNS1_3genE10ELNS1_11target_archE1200ELNS1_3gpuE4ELNS1_3repE0EEENS1_30default_config_static_selectorELNS0_4arch9wavefront6targetE1EEEvT1_,comdat
.Lfunc_end133:
	.size	_ZN7rocprim17ROCPRIM_400000_NS6detail17trampoline_kernelINS0_14default_configENS1_27scan_by_key_config_selectorIllEEZZNS1_16scan_by_key_implILNS1_25lookback_scan_determinismE0ELb0ES3_PKlN6hipcub16HIPCUB_304000_NS21ConstantInputIteratorIllEEPllNSB_3SumENSB_8EqualityElEE10hipError_tPvRmT2_T3_T4_T5_mT6_T7_P12ihipStream_tbENKUlT_T0_E_clISt17integral_constantIbLb0EESW_IbLb1EEEEDaSS_ST_EUlSS_E_NS1_11comp_targetILNS1_3genE10ELNS1_11target_archE1200ELNS1_3gpuE4ELNS1_3repE0EEENS1_30default_config_static_selectorELNS0_4arch9wavefront6targetE1EEEvT1_, .Lfunc_end133-_ZN7rocprim17ROCPRIM_400000_NS6detail17trampoline_kernelINS0_14default_configENS1_27scan_by_key_config_selectorIllEEZZNS1_16scan_by_key_implILNS1_25lookback_scan_determinismE0ELb0ES3_PKlN6hipcub16HIPCUB_304000_NS21ConstantInputIteratorIllEEPllNSB_3SumENSB_8EqualityElEE10hipError_tPvRmT2_T3_T4_T5_mT6_T7_P12ihipStream_tbENKUlT_T0_E_clISt17integral_constantIbLb0EESW_IbLb1EEEEDaSS_ST_EUlSS_E_NS1_11comp_targetILNS1_3genE10ELNS1_11target_archE1200ELNS1_3gpuE4ELNS1_3repE0EEENS1_30default_config_static_selectorELNS0_4arch9wavefront6targetE1EEEvT1_
                                        ; -- End function
	.set _ZN7rocprim17ROCPRIM_400000_NS6detail17trampoline_kernelINS0_14default_configENS1_27scan_by_key_config_selectorIllEEZZNS1_16scan_by_key_implILNS1_25lookback_scan_determinismE0ELb0ES3_PKlN6hipcub16HIPCUB_304000_NS21ConstantInputIteratorIllEEPllNSB_3SumENSB_8EqualityElEE10hipError_tPvRmT2_T3_T4_T5_mT6_T7_P12ihipStream_tbENKUlT_T0_E_clISt17integral_constantIbLb0EESW_IbLb1EEEEDaSS_ST_EUlSS_E_NS1_11comp_targetILNS1_3genE10ELNS1_11target_archE1200ELNS1_3gpuE4ELNS1_3repE0EEENS1_30default_config_static_selectorELNS0_4arch9wavefront6targetE1EEEvT1_.num_vgpr, 0
	.set _ZN7rocprim17ROCPRIM_400000_NS6detail17trampoline_kernelINS0_14default_configENS1_27scan_by_key_config_selectorIllEEZZNS1_16scan_by_key_implILNS1_25lookback_scan_determinismE0ELb0ES3_PKlN6hipcub16HIPCUB_304000_NS21ConstantInputIteratorIllEEPllNSB_3SumENSB_8EqualityElEE10hipError_tPvRmT2_T3_T4_T5_mT6_T7_P12ihipStream_tbENKUlT_T0_E_clISt17integral_constantIbLb0EESW_IbLb1EEEEDaSS_ST_EUlSS_E_NS1_11comp_targetILNS1_3genE10ELNS1_11target_archE1200ELNS1_3gpuE4ELNS1_3repE0EEENS1_30default_config_static_selectorELNS0_4arch9wavefront6targetE1EEEvT1_.num_agpr, 0
	.set _ZN7rocprim17ROCPRIM_400000_NS6detail17trampoline_kernelINS0_14default_configENS1_27scan_by_key_config_selectorIllEEZZNS1_16scan_by_key_implILNS1_25lookback_scan_determinismE0ELb0ES3_PKlN6hipcub16HIPCUB_304000_NS21ConstantInputIteratorIllEEPllNSB_3SumENSB_8EqualityElEE10hipError_tPvRmT2_T3_T4_T5_mT6_T7_P12ihipStream_tbENKUlT_T0_E_clISt17integral_constantIbLb0EESW_IbLb1EEEEDaSS_ST_EUlSS_E_NS1_11comp_targetILNS1_3genE10ELNS1_11target_archE1200ELNS1_3gpuE4ELNS1_3repE0EEENS1_30default_config_static_selectorELNS0_4arch9wavefront6targetE1EEEvT1_.numbered_sgpr, 0
	.set _ZN7rocprim17ROCPRIM_400000_NS6detail17trampoline_kernelINS0_14default_configENS1_27scan_by_key_config_selectorIllEEZZNS1_16scan_by_key_implILNS1_25lookback_scan_determinismE0ELb0ES3_PKlN6hipcub16HIPCUB_304000_NS21ConstantInputIteratorIllEEPllNSB_3SumENSB_8EqualityElEE10hipError_tPvRmT2_T3_T4_T5_mT6_T7_P12ihipStream_tbENKUlT_T0_E_clISt17integral_constantIbLb0EESW_IbLb1EEEEDaSS_ST_EUlSS_E_NS1_11comp_targetILNS1_3genE10ELNS1_11target_archE1200ELNS1_3gpuE4ELNS1_3repE0EEENS1_30default_config_static_selectorELNS0_4arch9wavefront6targetE1EEEvT1_.num_named_barrier, 0
	.set _ZN7rocprim17ROCPRIM_400000_NS6detail17trampoline_kernelINS0_14default_configENS1_27scan_by_key_config_selectorIllEEZZNS1_16scan_by_key_implILNS1_25lookback_scan_determinismE0ELb0ES3_PKlN6hipcub16HIPCUB_304000_NS21ConstantInputIteratorIllEEPllNSB_3SumENSB_8EqualityElEE10hipError_tPvRmT2_T3_T4_T5_mT6_T7_P12ihipStream_tbENKUlT_T0_E_clISt17integral_constantIbLb0EESW_IbLb1EEEEDaSS_ST_EUlSS_E_NS1_11comp_targetILNS1_3genE10ELNS1_11target_archE1200ELNS1_3gpuE4ELNS1_3repE0EEENS1_30default_config_static_selectorELNS0_4arch9wavefront6targetE1EEEvT1_.private_seg_size, 0
	.set _ZN7rocprim17ROCPRIM_400000_NS6detail17trampoline_kernelINS0_14default_configENS1_27scan_by_key_config_selectorIllEEZZNS1_16scan_by_key_implILNS1_25lookback_scan_determinismE0ELb0ES3_PKlN6hipcub16HIPCUB_304000_NS21ConstantInputIteratorIllEEPllNSB_3SumENSB_8EqualityElEE10hipError_tPvRmT2_T3_T4_T5_mT6_T7_P12ihipStream_tbENKUlT_T0_E_clISt17integral_constantIbLb0EESW_IbLb1EEEEDaSS_ST_EUlSS_E_NS1_11comp_targetILNS1_3genE10ELNS1_11target_archE1200ELNS1_3gpuE4ELNS1_3repE0EEENS1_30default_config_static_selectorELNS0_4arch9wavefront6targetE1EEEvT1_.uses_vcc, 0
	.set _ZN7rocprim17ROCPRIM_400000_NS6detail17trampoline_kernelINS0_14default_configENS1_27scan_by_key_config_selectorIllEEZZNS1_16scan_by_key_implILNS1_25lookback_scan_determinismE0ELb0ES3_PKlN6hipcub16HIPCUB_304000_NS21ConstantInputIteratorIllEEPllNSB_3SumENSB_8EqualityElEE10hipError_tPvRmT2_T3_T4_T5_mT6_T7_P12ihipStream_tbENKUlT_T0_E_clISt17integral_constantIbLb0EESW_IbLb1EEEEDaSS_ST_EUlSS_E_NS1_11comp_targetILNS1_3genE10ELNS1_11target_archE1200ELNS1_3gpuE4ELNS1_3repE0EEENS1_30default_config_static_selectorELNS0_4arch9wavefront6targetE1EEEvT1_.uses_flat_scratch, 0
	.set _ZN7rocprim17ROCPRIM_400000_NS6detail17trampoline_kernelINS0_14default_configENS1_27scan_by_key_config_selectorIllEEZZNS1_16scan_by_key_implILNS1_25lookback_scan_determinismE0ELb0ES3_PKlN6hipcub16HIPCUB_304000_NS21ConstantInputIteratorIllEEPllNSB_3SumENSB_8EqualityElEE10hipError_tPvRmT2_T3_T4_T5_mT6_T7_P12ihipStream_tbENKUlT_T0_E_clISt17integral_constantIbLb0EESW_IbLb1EEEEDaSS_ST_EUlSS_E_NS1_11comp_targetILNS1_3genE10ELNS1_11target_archE1200ELNS1_3gpuE4ELNS1_3repE0EEENS1_30default_config_static_selectorELNS0_4arch9wavefront6targetE1EEEvT1_.has_dyn_sized_stack, 0
	.set _ZN7rocprim17ROCPRIM_400000_NS6detail17trampoline_kernelINS0_14default_configENS1_27scan_by_key_config_selectorIllEEZZNS1_16scan_by_key_implILNS1_25lookback_scan_determinismE0ELb0ES3_PKlN6hipcub16HIPCUB_304000_NS21ConstantInputIteratorIllEEPllNSB_3SumENSB_8EqualityElEE10hipError_tPvRmT2_T3_T4_T5_mT6_T7_P12ihipStream_tbENKUlT_T0_E_clISt17integral_constantIbLb0EESW_IbLb1EEEEDaSS_ST_EUlSS_E_NS1_11comp_targetILNS1_3genE10ELNS1_11target_archE1200ELNS1_3gpuE4ELNS1_3repE0EEENS1_30default_config_static_selectorELNS0_4arch9wavefront6targetE1EEEvT1_.has_recursion, 0
	.set _ZN7rocprim17ROCPRIM_400000_NS6detail17trampoline_kernelINS0_14default_configENS1_27scan_by_key_config_selectorIllEEZZNS1_16scan_by_key_implILNS1_25lookback_scan_determinismE0ELb0ES3_PKlN6hipcub16HIPCUB_304000_NS21ConstantInputIteratorIllEEPllNSB_3SumENSB_8EqualityElEE10hipError_tPvRmT2_T3_T4_T5_mT6_T7_P12ihipStream_tbENKUlT_T0_E_clISt17integral_constantIbLb0EESW_IbLb1EEEEDaSS_ST_EUlSS_E_NS1_11comp_targetILNS1_3genE10ELNS1_11target_archE1200ELNS1_3gpuE4ELNS1_3repE0EEENS1_30default_config_static_selectorELNS0_4arch9wavefront6targetE1EEEvT1_.has_indirect_call, 0
	.section	.AMDGPU.csdata,"",@progbits
; Kernel info:
; codeLenInByte = 0
; TotalNumSgprs: 6
; NumVgprs: 0
; NumAgprs: 0
; TotalNumVgprs: 0
; ScratchSize: 0
; MemoryBound: 0
; FloatMode: 240
; IeeeMode: 1
; LDSByteSize: 0 bytes/workgroup (compile time only)
; SGPRBlocks: 0
; VGPRBlocks: 0
; NumSGPRsForWavesPerEU: 6
; NumVGPRsForWavesPerEU: 1
; AccumOffset: 4
; Occupancy: 8
; WaveLimiterHint : 0
; COMPUTE_PGM_RSRC2:SCRATCH_EN: 0
; COMPUTE_PGM_RSRC2:USER_SGPR: 2
; COMPUTE_PGM_RSRC2:TRAP_HANDLER: 0
; COMPUTE_PGM_RSRC2:TGID_X_EN: 1
; COMPUTE_PGM_RSRC2:TGID_Y_EN: 0
; COMPUTE_PGM_RSRC2:TGID_Z_EN: 0
; COMPUTE_PGM_RSRC2:TIDIG_COMP_CNT: 0
; COMPUTE_PGM_RSRC3_GFX90A:ACCUM_OFFSET: 0
; COMPUTE_PGM_RSRC3_GFX90A:TG_SPLIT: 0
	.section	.text._ZN7rocprim17ROCPRIM_400000_NS6detail17trampoline_kernelINS0_14default_configENS1_27scan_by_key_config_selectorIllEEZZNS1_16scan_by_key_implILNS1_25lookback_scan_determinismE0ELb0ES3_PKlN6hipcub16HIPCUB_304000_NS21ConstantInputIteratorIllEEPllNSB_3SumENSB_8EqualityElEE10hipError_tPvRmT2_T3_T4_T5_mT6_T7_P12ihipStream_tbENKUlT_T0_E_clISt17integral_constantIbLb0EESW_IbLb1EEEEDaSS_ST_EUlSS_E_NS1_11comp_targetILNS1_3genE9ELNS1_11target_archE1100ELNS1_3gpuE3ELNS1_3repE0EEENS1_30default_config_static_selectorELNS0_4arch9wavefront6targetE1EEEvT1_,"axG",@progbits,_ZN7rocprim17ROCPRIM_400000_NS6detail17trampoline_kernelINS0_14default_configENS1_27scan_by_key_config_selectorIllEEZZNS1_16scan_by_key_implILNS1_25lookback_scan_determinismE0ELb0ES3_PKlN6hipcub16HIPCUB_304000_NS21ConstantInputIteratorIllEEPllNSB_3SumENSB_8EqualityElEE10hipError_tPvRmT2_T3_T4_T5_mT6_T7_P12ihipStream_tbENKUlT_T0_E_clISt17integral_constantIbLb0EESW_IbLb1EEEEDaSS_ST_EUlSS_E_NS1_11comp_targetILNS1_3genE9ELNS1_11target_archE1100ELNS1_3gpuE3ELNS1_3repE0EEENS1_30default_config_static_selectorELNS0_4arch9wavefront6targetE1EEEvT1_,comdat
	.protected	_ZN7rocprim17ROCPRIM_400000_NS6detail17trampoline_kernelINS0_14default_configENS1_27scan_by_key_config_selectorIllEEZZNS1_16scan_by_key_implILNS1_25lookback_scan_determinismE0ELb0ES3_PKlN6hipcub16HIPCUB_304000_NS21ConstantInputIteratorIllEEPllNSB_3SumENSB_8EqualityElEE10hipError_tPvRmT2_T3_T4_T5_mT6_T7_P12ihipStream_tbENKUlT_T0_E_clISt17integral_constantIbLb0EESW_IbLb1EEEEDaSS_ST_EUlSS_E_NS1_11comp_targetILNS1_3genE9ELNS1_11target_archE1100ELNS1_3gpuE3ELNS1_3repE0EEENS1_30default_config_static_selectorELNS0_4arch9wavefront6targetE1EEEvT1_ ; -- Begin function _ZN7rocprim17ROCPRIM_400000_NS6detail17trampoline_kernelINS0_14default_configENS1_27scan_by_key_config_selectorIllEEZZNS1_16scan_by_key_implILNS1_25lookback_scan_determinismE0ELb0ES3_PKlN6hipcub16HIPCUB_304000_NS21ConstantInputIteratorIllEEPllNSB_3SumENSB_8EqualityElEE10hipError_tPvRmT2_T3_T4_T5_mT6_T7_P12ihipStream_tbENKUlT_T0_E_clISt17integral_constantIbLb0EESW_IbLb1EEEEDaSS_ST_EUlSS_E_NS1_11comp_targetILNS1_3genE9ELNS1_11target_archE1100ELNS1_3gpuE3ELNS1_3repE0EEENS1_30default_config_static_selectorELNS0_4arch9wavefront6targetE1EEEvT1_
	.globl	_ZN7rocprim17ROCPRIM_400000_NS6detail17trampoline_kernelINS0_14default_configENS1_27scan_by_key_config_selectorIllEEZZNS1_16scan_by_key_implILNS1_25lookback_scan_determinismE0ELb0ES3_PKlN6hipcub16HIPCUB_304000_NS21ConstantInputIteratorIllEEPllNSB_3SumENSB_8EqualityElEE10hipError_tPvRmT2_T3_T4_T5_mT6_T7_P12ihipStream_tbENKUlT_T0_E_clISt17integral_constantIbLb0EESW_IbLb1EEEEDaSS_ST_EUlSS_E_NS1_11comp_targetILNS1_3genE9ELNS1_11target_archE1100ELNS1_3gpuE3ELNS1_3repE0EEENS1_30default_config_static_selectorELNS0_4arch9wavefront6targetE1EEEvT1_
	.p2align	8
	.type	_ZN7rocprim17ROCPRIM_400000_NS6detail17trampoline_kernelINS0_14default_configENS1_27scan_by_key_config_selectorIllEEZZNS1_16scan_by_key_implILNS1_25lookback_scan_determinismE0ELb0ES3_PKlN6hipcub16HIPCUB_304000_NS21ConstantInputIteratorIllEEPllNSB_3SumENSB_8EqualityElEE10hipError_tPvRmT2_T3_T4_T5_mT6_T7_P12ihipStream_tbENKUlT_T0_E_clISt17integral_constantIbLb0EESW_IbLb1EEEEDaSS_ST_EUlSS_E_NS1_11comp_targetILNS1_3genE9ELNS1_11target_archE1100ELNS1_3gpuE3ELNS1_3repE0EEENS1_30default_config_static_selectorELNS0_4arch9wavefront6targetE1EEEvT1_,@function
_ZN7rocprim17ROCPRIM_400000_NS6detail17trampoline_kernelINS0_14default_configENS1_27scan_by_key_config_selectorIllEEZZNS1_16scan_by_key_implILNS1_25lookback_scan_determinismE0ELb0ES3_PKlN6hipcub16HIPCUB_304000_NS21ConstantInputIteratorIllEEPllNSB_3SumENSB_8EqualityElEE10hipError_tPvRmT2_T3_T4_T5_mT6_T7_P12ihipStream_tbENKUlT_T0_E_clISt17integral_constantIbLb0EESW_IbLb1EEEEDaSS_ST_EUlSS_E_NS1_11comp_targetILNS1_3genE9ELNS1_11target_archE1100ELNS1_3gpuE3ELNS1_3repE0EEENS1_30default_config_static_selectorELNS0_4arch9wavefront6targetE1EEEvT1_: ; @_ZN7rocprim17ROCPRIM_400000_NS6detail17trampoline_kernelINS0_14default_configENS1_27scan_by_key_config_selectorIllEEZZNS1_16scan_by_key_implILNS1_25lookback_scan_determinismE0ELb0ES3_PKlN6hipcub16HIPCUB_304000_NS21ConstantInputIteratorIllEEPllNSB_3SumENSB_8EqualityElEE10hipError_tPvRmT2_T3_T4_T5_mT6_T7_P12ihipStream_tbENKUlT_T0_E_clISt17integral_constantIbLb0EESW_IbLb1EEEEDaSS_ST_EUlSS_E_NS1_11comp_targetILNS1_3genE9ELNS1_11target_archE1100ELNS1_3gpuE3ELNS1_3repE0EEENS1_30default_config_static_selectorELNS0_4arch9wavefront6targetE1EEEvT1_
; %bb.0:
	.section	.rodata,"a",@progbits
	.p2align	6, 0x0
	.amdhsa_kernel _ZN7rocprim17ROCPRIM_400000_NS6detail17trampoline_kernelINS0_14default_configENS1_27scan_by_key_config_selectorIllEEZZNS1_16scan_by_key_implILNS1_25lookback_scan_determinismE0ELb0ES3_PKlN6hipcub16HIPCUB_304000_NS21ConstantInputIteratorIllEEPllNSB_3SumENSB_8EqualityElEE10hipError_tPvRmT2_T3_T4_T5_mT6_T7_P12ihipStream_tbENKUlT_T0_E_clISt17integral_constantIbLb0EESW_IbLb1EEEEDaSS_ST_EUlSS_E_NS1_11comp_targetILNS1_3genE9ELNS1_11target_archE1100ELNS1_3gpuE3ELNS1_3repE0EEENS1_30default_config_static_selectorELNS0_4arch9wavefront6targetE1EEEvT1_
		.amdhsa_group_segment_fixed_size 0
		.amdhsa_private_segment_fixed_size 0
		.amdhsa_kernarg_size 144
		.amdhsa_user_sgpr_count 2
		.amdhsa_user_sgpr_dispatch_ptr 0
		.amdhsa_user_sgpr_queue_ptr 0
		.amdhsa_user_sgpr_kernarg_segment_ptr 1
		.amdhsa_user_sgpr_dispatch_id 0
		.amdhsa_user_sgpr_kernarg_preload_length 0
		.amdhsa_user_sgpr_kernarg_preload_offset 0
		.amdhsa_user_sgpr_private_segment_size 0
		.amdhsa_uses_dynamic_stack 0
		.amdhsa_enable_private_segment 0
		.amdhsa_system_sgpr_workgroup_id_x 1
		.amdhsa_system_sgpr_workgroup_id_y 0
		.amdhsa_system_sgpr_workgroup_id_z 0
		.amdhsa_system_sgpr_workgroup_info 0
		.amdhsa_system_vgpr_workitem_id 0
		.amdhsa_next_free_vgpr 1
		.amdhsa_next_free_sgpr 0
		.amdhsa_accum_offset 4
		.amdhsa_reserve_vcc 0
		.amdhsa_float_round_mode_32 0
		.amdhsa_float_round_mode_16_64 0
		.amdhsa_float_denorm_mode_32 3
		.amdhsa_float_denorm_mode_16_64 3
		.amdhsa_dx10_clamp 1
		.amdhsa_ieee_mode 1
		.amdhsa_fp16_overflow 0
		.amdhsa_tg_split 0
		.amdhsa_exception_fp_ieee_invalid_op 0
		.amdhsa_exception_fp_denorm_src 0
		.amdhsa_exception_fp_ieee_div_zero 0
		.amdhsa_exception_fp_ieee_overflow 0
		.amdhsa_exception_fp_ieee_underflow 0
		.amdhsa_exception_fp_ieee_inexact 0
		.amdhsa_exception_int_div_zero 0
	.end_amdhsa_kernel
	.section	.text._ZN7rocprim17ROCPRIM_400000_NS6detail17trampoline_kernelINS0_14default_configENS1_27scan_by_key_config_selectorIllEEZZNS1_16scan_by_key_implILNS1_25lookback_scan_determinismE0ELb0ES3_PKlN6hipcub16HIPCUB_304000_NS21ConstantInputIteratorIllEEPllNSB_3SumENSB_8EqualityElEE10hipError_tPvRmT2_T3_T4_T5_mT6_T7_P12ihipStream_tbENKUlT_T0_E_clISt17integral_constantIbLb0EESW_IbLb1EEEEDaSS_ST_EUlSS_E_NS1_11comp_targetILNS1_3genE9ELNS1_11target_archE1100ELNS1_3gpuE3ELNS1_3repE0EEENS1_30default_config_static_selectorELNS0_4arch9wavefront6targetE1EEEvT1_,"axG",@progbits,_ZN7rocprim17ROCPRIM_400000_NS6detail17trampoline_kernelINS0_14default_configENS1_27scan_by_key_config_selectorIllEEZZNS1_16scan_by_key_implILNS1_25lookback_scan_determinismE0ELb0ES3_PKlN6hipcub16HIPCUB_304000_NS21ConstantInputIteratorIllEEPllNSB_3SumENSB_8EqualityElEE10hipError_tPvRmT2_T3_T4_T5_mT6_T7_P12ihipStream_tbENKUlT_T0_E_clISt17integral_constantIbLb0EESW_IbLb1EEEEDaSS_ST_EUlSS_E_NS1_11comp_targetILNS1_3genE9ELNS1_11target_archE1100ELNS1_3gpuE3ELNS1_3repE0EEENS1_30default_config_static_selectorELNS0_4arch9wavefront6targetE1EEEvT1_,comdat
.Lfunc_end134:
	.size	_ZN7rocprim17ROCPRIM_400000_NS6detail17trampoline_kernelINS0_14default_configENS1_27scan_by_key_config_selectorIllEEZZNS1_16scan_by_key_implILNS1_25lookback_scan_determinismE0ELb0ES3_PKlN6hipcub16HIPCUB_304000_NS21ConstantInputIteratorIllEEPllNSB_3SumENSB_8EqualityElEE10hipError_tPvRmT2_T3_T4_T5_mT6_T7_P12ihipStream_tbENKUlT_T0_E_clISt17integral_constantIbLb0EESW_IbLb1EEEEDaSS_ST_EUlSS_E_NS1_11comp_targetILNS1_3genE9ELNS1_11target_archE1100ELNS1_3gpuE3ELNS1_3repE0EEENS1_30default_config_static_selectorELNS0_4arch9wavefront6targetE1EEEvT1_, .Lfunc_end134-_ZN7rocprim17ROCPRIM_400000_NS6detail17trampoline_kernelINS0_14default_configENS1_27scan_by_key_config_selectorIllEEZZNS1_16scan_by_key_implILNS1_25lookback_scan_determinismE0ELb0ES3_PKlN6hipcub16HIPCUB_304000_NS21ConstantInputIteratorIllEEPllNSB_3SumENSB_8EqualityElEE10hipError_tPvRmT2_T3_T4_T5_mT6_T7_P12ihipStream_tbENKUlT_T0_E_clISt17integral_constantIbLb0EESW_IbLb1EEEEDaSS_ST_EUlSS_E_NS1_11comp_targetILNS1_3genE9ELNS1_11target_archE1100ELNS1_3gpuE3ELNS1_3repE0EEENS1_30default_config_static_selectorELNS0_4arch9wavefront6targetE1EEEvT1_
                                        ; -- End function
	.set _ZN7rocprim17ROCPRIM_400000_NS6detail17trampoline_kernelINS0_14default_configENS1_27scan_by_key_config_selectorIllEEZZNS1_16scan_by_key_implILNS1_25lookback_scan_determinismE0ELb0ES3_PKlN6hipcub16HIPCUB_304000_NS21ConstantInputIteratorIllEEPllNSB_3SumENSB_8EqualityElEE10hipError_tPvRmT2_T3_T4_T5_mT6_T7_P12ihipStream_tbENKUlT_T0_E_clISt17integral_constantIbLb0EESW_IbLb1EEEEDaSS_ST_EUlSS_E_NS1_11comp_targetILNS1_3genE9ELNS1_11target_archE1100ELNS1_3gpuE3ELNS1_3repE0EEENS1_30default_config_static_selectorELNS0_4arch9wavefront6targetE1EEEvT1_.num_vgpr, 0
	.set _ZN7rocprim17ROCPRIM_400000_NS6detail17trampoline_kernelINS0_14default_configENS1_27scan_by_key_config_selectorIllEEZZNS1_16scan_by_key_implILNS1_25lookback_scan_determinismE0ELb0ES3_PKlN6hipcub16HIPCUB_304000_NS21ConstantInputIteratorIllEEPllNSB_3SumENSB_8EqualityElEE10hipError_tPvRmT2_T3_T4_T5_mT6_T7_P12ihipStream_tbENKUlT_T0_E_clISt17integral_constantIbLb0EESW_IbLb1EEEEDaSS_ST_EUlSS_E_NS1_11comp_targetILNS1_3genE9ELNS1_11target_archE1100ELNS1_3gpuE3ELNS1_3repE0EEENS1_30default_config_static_selectorELNS0_4arch9wavefront6targetE1EEEvT1_.num_agpr, 0
	.set _ZN7rocprim17ROCPRIM_400000_NS6detail17trampoline_kernelINS0_14default_configENS1_27scan_by_key_config_selectorIllEEZZNS1_16scan_by_key_implILNS1_25lookback_scan_determinismE0ELb0ES3_PKlN6hipcub16HIPCUB_304000_NS21ConstantInputIteratorIllEEPllNSB_3SumENSB_8EqualityElEE10hipError_tPvRmT2_T3_T4_T5_mT6_T7_P12ihipStream_tbENKUlT_T0_E_clISt17integral_constantIbLb0EESW_IbLb1EEEEDaSS_ST_EUlSS_E_NS1_11comp_targetILNS1_3genE9ELNS1_11target_archE1100ELNS1_3gpuE3ELNS1_3repE0EEENS1_30default_config_static_selectorELNS0_4arch9wavefront6targetE1EEEvT1_.numbered_sgpr, 0
	.set _ZN7rocprim17ROCPRIM_400000_NS6detail17trampoline_kernelINS0_14default_configENS1_27scan_by_key_config_selectorIllEEZZNS1_16scan_by_key_implILNS1_25lookback_scan_determinismE0ELb0ES3_PKlN6hipcub16HIPCUB_304000_NS21ConstantInputIteratorIllEEPllNSB_3SumENSB_8EqualityElEE10hipError_tPvRmT2_T3_T4_T5_mT6_T7_P12ihipStream_tbENKUlT_T0_E_clISt17integral_constantIbLb0EESW_IbLb1EEEEDaSS_ST_EUlSS_E_NS1_11comp_targetILNS1_3genE9ELNS1_11target_archE1100ELNS1_3gpuE3ELNS1_3repE0EEENS1_30default_config_static_selectorELNS0_4arch9wavefront6targetE1EEEvT1_.num_named_barrier, 0
	.set _ZN7rocprim17ROCPRIM_400000_NS6detail17trampoline_kernelINS0_14default_configENS1_27scan_by_key_config_selectorIllEEZZNS1_16scan_by_key_implILNS1_25lookback_scan_determinismE0ELb0ES3_PKlN6hipcub16HIPCUB_304000_NS21ConstantInputIteratorIllEEPllNSB_3SumENSB_8EqualityElEE10hipError_tPvRmT2_T3_T4_T5_mT6_T7_P12ihipStream_tbENKUlT_T0_E_clISt17integral_constantIbLb0EESW_IbLb1EEEEDaSS_ST_EUlSS_E_NS1_11comp_targetILNS1_3genE9ELNS1_11target_archE1100ELNS1_3gpuE3ELNS1_3repE0EEENS1_30default_config_static_selectorELNS0_4arch9wavefront6targetE1EEEvT1_.private_seg_size, 0
	.set _ZN7rocprim17ROCPRIM_400000_NS6detail17trampoline_kernelINS0_14default_configENS1_27scan_by_key_config_selectorIllEEZZNS1_16scan_by_key_implILNS1_25lookback_scan_determinismE0ELb0ES3_PKlN6hipcub16HIPCUB_304000_NS21ConstantInputIteratorIllEEPllNSB_3SumENSB_8EqualityElEE10hipError_tPvRmT2_T3_T4_T5_mT6_T7_P12ihipStream_tbENKUlT_T0_E_clISt17integral_constantIbLb0EESW_IbLb1EEEEDaSS_ST_EUlSS_E_NS1_11comp_targetILNS1_3genE9ELNS1_11target_archE1100ELNS1_3gpuE3ELNS1_3repE0EEENS1_30default_config_static_selectorELNS0_4arch9wavefront6targetE1EEEvT1_.uses_vcc, 0
	.set _ZN7rocprim17ROCPRIM_400000_NS6detail17trampoline_kernelINS0_14default_configENS1_27scan_by_key_config_selectorIllEEZZNS1_16scan_by_key_implILNS1_25lookback_scan_determinismE0ELb0ES3_PKlN6hipcub16HIPCUB_304000_NS21ConstantInputIteratorIllEEPllNSB_3SumENSB_8EqualityElEE10hipError_tPvRmT2_T3_T4_T5_mT6_T7_P12ihipStream_tbENKUlT_T0_E_clISt17integral_constantIbLb0EESW_IbLb1EEEEDaSS_ST_EUlSS_E_NS1_11comp_targetILNS1_3genE9ELNS1_11target_archE1100ELNS1_3gpuE3ELNS1_3repE0EEENS1_30default_config_static_selectorELNS0_4arch9wavefront6targetE1EEEvT1_.uses_flat_scratch, 0
	.set _ZN7rocprim17ROCPRIM_400000_NS6detail17trampoline_kernelINS0_14default_configENS1_27scan_by_key_config_selectorIllEEZZNS1_16scan_by_key_implILNS1_25lookback_scan_determinismE0ELb0ES3_PKlN6hipcub16HIPCUB_304000_NS21ConstantInputIteratorIllEEPllNSB_3SumENSB_8EqualityElEE10hipError_tPvRmT2_T3_T4_T5_mT6_T7_P12ihipStream_tbENKUlT_T0_E_clISt17integral_constantIbLb0EESW_IbLb1EEEEDaSS_ST_EUlSS_E_NS1_11comp_targetILNS1_3genE9ELNS1_11target_archE1100ELNS1_3gpuE3ELNS1_3repE0EEENS1_30default_config_static_selectorELNS0_4arch9wavefront6targetE1EEEvT1_.has_dyn_sized_stack, 0
	.set _ZN7rocprim17ROCPRIM_400000_NS6detail17trampoline_kernelINS0_14default_configENS1_27scan_by_key_config_selectorIllEEZZNS1_16scan_by_key_implILNS1_25lookback_scan_determinismE0ELb0ES3_PKlN6hipcub16HIPCUB_304000_NS21ConstantInputIteratorIllEEPllNSB_3SumENSB_8EqualityElEE10hipError_tPvRmT2_T3_T4_T5_mT6_T7_P12ihipStream_tbENKUlT_T0_E_clISt17integral_constantIbLb0EESW_IbLb1EEEEDaSS_ST_EUlSS_E_NS1_11comp_targetILNS1_3genE9ELNS1_11target_archE1100ELNS1_3gpuE3ELNS1_3repE0EEENS1_30default_config_static_selectorELNS0_4arch9wavefront6targetE1EEEvT1_.has_recursion, 0
	.set _ZN7rocprim17ROCPRIM_400000_NS6detail17trampoline_kernelINS0_14default_configENS1_27scan_by_key_config_selectorIllEEZZNS1_16scan_by_key_implILNS1_25lookback_scan_determinismE0ELb0ES3_PKlN6hipcub16HIPCUB_304000_NS21ConstantInputIteratorIllEEPllNSB_3SumENSB_8EqualityElEE10hipError_tPvRmT2_T3_T4_T5_mT6_T7_P12ihipStream_tbENKUlT_T0_E_clISt17integral_constantIbLb0EESW_IbLb1EEEEDaSS_ST_EUlSS_E_NS1_11comp_targetILNS1_3genE9ELNS1_11target_archE1100ELNS1_3gpuE3ELNS1_3repE0EEENS1_30default_config_static_selectorELNS0_4arch9wavefront6targetE1EEEvT1_.has_indirect_call, 0
	.section	.AMDGPU.csdata,"",@progbits
; Kernel info:
; codeLenInByte = 0
; TotalNumSgprs: 6
; NumVgprs: 0
; NumAgprs: 0
; TotalNumVgprs: 0
; ScratchSize: 0
; MemoryBound: 0
; FloatMode: 240
; IeeeMode: 1
; LDSByteSize: 0 bytes/workgroup (compile time only)
; SGPRBlocks: 0
; VGPRBlocks: 0
; NumSGPRsForWavesPerEU: 6
; NumVGPRsForWavesPerEU: 1
; AccumOffset: 4
; Occupancy: 8
; WaveLimiterHint : 0
; COMPUTE_PGM_RSRC2:SCRATCH_EN: 0
; COMPUTE_PGM_RSRC2:USER_SGPR: 2
; COMPUTE_PGM_RSRC2:TRAP_HANDLER: 0
; COMPUTE_PGM_RSRC2:TGID_X_EN: 1
; COMPUTE_PGM_RSRC2:TGID_Y_EN: 0
; COMPUTE_PGM_RSRC2:TGID_Z_EN: 0
; COMPUTE_PGM_RSRC2:TIDIG_COMP_CNT: 0
; COMPUTE_PGM_RSRC3_GFX90A:ACCUM_OFFSET: 0
; COMPUTE_PGM_RSRC3_GFX90A:TG_SPLIT: 0
	.section	.text._ZN7rocprim17ROCPRIM_400000_NS6detail17trampoline_kernelINS0_14default_configENS1_27scan_by_key_config_selectorIllEEZZNS1_16scan_by_key_implILNS1_25lookback_scan_determinismE0ELb0ES3_PKlN6hipcub16HIPCUB_304000_NS21ConstantInputIteratorIllEEPllNSB_3SumENSB_8EqualityElEE10hipError_tPvRmT2_T3_T4_T5_mT6_T7_P12ihipStream_tbENKUlT_T0_E_clISt17integral_constantIbLb0EESW_IbLb1EEEEDaSS_ST_EUlSS_E_NS1_11comp_targetILNS1_3genE8ELNS1_11target_archE1030ELNS1_3gpuE2ELNS1_3repE0EEENS1_30default_config_static_selectorELNS0_4arch9wavefront6targetE1EEEvT1_,"axG",@progbits,_ZN7rocprim17ROCPRIM_400000_NS6detail17trampoline_kernelINS0_14default_configENS1_27scan_by_key_config_selectorIllEEZZNS1_16scan_by_key_implILNS1_25lookback_scan_determinismE0ELb0ES3_PKlN6hipcub16HIPCUB_304000_NS21ConstantInputIteratorIllEEPllNSB_3SumENSB_8EqualityElEE10hipError_tPvRmT2_T3_T4_T5_mT6_T7_P12ihipStream_tbENKUlT_T0_E_clISt17integral_constantIbLb0EESW_IbLb1EEEEDaSS_ST_EUlSS_E_NS1_11comp_targetILNS1_3genE8ELNS1_11target_archE1030ELNS1_3gpuE2ELNS1_3repE0EEENS1_30default_config_static_selectorELNS0_4arch9wavefront6targetE1EEEvT1_,comdat
	.protected	_ZN7rocprim17ROCPRIM_400000_NS6detail17trampoline_kernelINS0_14default_configENS1_27scan_by_key_config_selectorIllEEZZNS1_16scan_by_key_implILNS1_25lookback_scan_determinismE0ELb0ES3_PKlN6hipcub16HIPCUB_304000_NS21ConstantInputIteratorIllEEPllNSB_3SumENSB_8EqualityElEE10hipError_tPvRmT2_T3_T4_T5_mT6_T7_P12ihipStream_tbENKUlT_T0_E_clISt17integral_constantIbLb0EESW_IbLb1EEEEDaSS_ST_EUlSS_E_NS1_11comp_targetILNS1_3genE8ELNS1_11target_archE1030ELNS1_3gpuE2ELNS1_3repE0EEENS1_30default_config_static_selectorELNS0_4arch9wavefront6targetE1EEEvT1_ ; -- Begin function _ZN7rocprim17ROCPRIM_400000_NS6detail17trampoline_kernelINS0_14default_configENS1_27scan_by_key_config_selectorIllEEZZNS1_16scan_by_key_implILNS1_25lookback_scan_determinismE0ELb0ES3_PKlN6hipcub16HIPCUB_304000_NS21ConstantInputIteratorIllEEPllNSB_3SumENSB_8EqualityElEE10hipError_tPvRmT2_T3_T4_T5_mT6_T7_P12ihipStream_tbENKUlT_T0_E_clISt17integral_constantIbLb0EESW_IbLb1EEEEDaSS_ST_EUlSS_E_NS1_11comp_targetILNS1_3genE8ELNS1_11target_archE1030ELNS1_3gpuE2ELNS1_3repE0EEENS1_30default_config_static_selectorELNS0_4arch9wavefront6targetE1EEEvT1_
	.globl	_ZN7rocprim17ROCPRIM_400000_NS6detail17trampoline_kernelINS0_14default_configENS1_27scan_by_key_config_selectorIllEEZZNS1_16scan_by_key_implILNS1_25lookback_scan_determinismE0ELb0ES3_PKlN6hipcub16HIPCUB_304000_NS21ConstantInputIteratorIllEEPllNSB_3SumENSB_8EqualityElEE10hipError_tPvRmT2_T3_T4_T5_mT6_T7_P12ihipStream_tbENKUlT_T0_E_clISt17integral_constantIbLb0EESW_IbLb1EEEEDaSS_ST_EUlSS_E_NS1_11comp_targetILNS1_3genE8ELNS1_11target_archE1030ELNS1_3gpuE2ELNS1_3repE0EEENS1_30default_config_static_selectorELNS0_4arch9wavefront6targetE1EEEvT1_
	.p2align	8
	.type	_ZN7rocprim17ROCPRIM_400000_NS6detail17trampoline_kernelINS0_14default_configENS1_27scan_by_key_config_selectorIllEEZZNS1_16scan_by_key_implILNS1_25lookback_scan_determinismE0ELb0ES3_PKlN6hipcub16HIPCUB_304000_NS21ConstantInputIteratorIllEEPllNSB_3SumENSB_8EqualityElEE10hipError_tPvRmT2_T3_T4_T5_mT6_T7_P12ihipStream_tbENKUlT_T0_E_clISt17integral_constantIbLb0EESW_IbLb1EEEEDaSS_ST_EUlSS_E_NS1_11comp_targetILNS1_3genE8ELNS1_11target_archE1030ELNS1_3gpuE2ELNS1_3repE0EEENS1_30default_config_static_selectorELNS0_4arch9wavefront6targetE1EEEvT1_,@function
_ZN7rocprim17ROCPRIM_400000_NS6detail17trampoline_kernelINS0_14default_configENS1_27scan_by_key_config_selectorIllEEZZNS1_16scan_by_key_implILNS1_25lookback_scan_determinismE0ELb0ES3_PKlN6hipcub16HIPCUB_304000_NS21ConstantInputIteratorIllEEPllNSB_3SumENSB_8EqualityElEE10hipError_tPvRmT2_T3_T4_T5_mT6_T7_P12ihipStream_tbENKUlT_T0_E_clISt17integral_constantIbLb0EESW_IbLb1EEEEDaSS_ST_EUlSS_E_NS1_11comp_targetILNS1_3genE8ELNS1_11target_archE1030ELNS1_3gpuE2ELNS1_3repE0EEENS1_30default_config_static_selectorELNS0_4arch9wavefront6targetE1EEEvT1_: ; @_ZN7rocprim17ROCPRIM_400000_NS6detail17trampoline_kernelINS0_14default_configENS1_27scan_by_key_config_selectorIllEEZZNS1_16scan_by_key_implILNS1_25lookback_scan_determinismE0ELb0ES3_PKlN6hipcub16HIPCUB_304000_NS21ConstantInputIteratorIllEEPllNSB_3SumENSB_8EqualityElEE10hipError_tPvRmT2_T3_T4_T5_mT6_T7_P12ihipStream_tbENKUlT_T0_E_clISt17integral_constantIbLb0EESW_IbLb1EEEEDaSS_ST_EUlSS_E_NS1_11comp_targetILNS1_3genE8ELNS1_11target_archE1030ELNS1_3gpuE2ELNS1_3repE0EEENS1_30default_config_static_selectorELNS0_4arch9wavefront6targetE1EEEvT1_
; %bb.0:
	.section	.rodata,"a",@progbits
	.p2align	6, 0x0
	.amdhsa_kernel _ZN7rocprim17ROCPRIM_400000_NS6detail17trampoline_kernelINS0_14default_configENS1_27scan_by_key_config_selectorIllEEZZNS1_16scan_by_key_implILNS1_25lookback_scan_determinismE0ELb0ES3_PKlN6hipcub16HIPCUB_304000_NS21ConstantInputIteratorIllEEPllNSB_3SumENSB_8EqualityElEE10hipError_tPvRmT2_T3_T4_T5_mT6_T7_P12ihipStream_tbENKUlT_T0_E_clISt17integral_constantIbLb0EESW_IbLb1EEEEDaSS_ST_EUlSS_E_NS1_11comp_targetILNS1_3genE8ELNS1_11target_archE1030ELNS1_3gpuE2ELNS1_3repE0EEENS1_30default_config_static_selectorELNS0_4arch9wavefront6targetE1EEEvT1_
		.amdhsa_group_segment_fixed_size 0
		.amdhsa_private_segment_fixed_size 0
		.amdhsa_kernarg_size 144
		.amdhsa_user_sgpr_count 2
		.amdhsa_user_sgpr_dispatch_ptr 0
		.amdhsa_user_sgpr_queue_ptr 0
		.amdhsa_user_sgpr_kernarg_segment_ptr 1
		.amdhsa_user_sgpr_dispatch_id 0
		.amdhsa_user_sgpr_kernarg_preload_length 0
		.amdhsa_user_sgpr_kernarg_preload_offset 0
		.amdhsa_user_sgpr_private_segment_size 0
		.amdhsa_uses_dynamic_stack 0
		.amdhsa_enable_private_segment 0
		.amdhsa_system_sgpr_workgroup_id_x 1
		.amdhsa_system_sgpr_workgroup_id_y 0
		.amdhsa_system_sgpr_workgroup_id_z 0
		.amdhsa_system_sgpr_workgroup_info 0
		.amdhsa_system_vgpr_workitem_id 0
		.amdhsa_next_free_vgpr 1
		.amdhsa_next_free_sgpr 0
		.amdhsa_accum_offset 4
		.amdhsa_reserve_vcc 0
		.amdhsa_float_round_mode_32 0
		.amdhsa_float_round_mode_16_64 0
		.amdhsa_float_denorm_mode_32 3
		.amdhsa_float_denorm_mode_16_64 3
		.amdhsa_dx10_clamp 1
		.amdhsa_ieee_mode 1
		.amdhsa_fp16_overflow 0
		.amdhsa_tg_split 0
		.amdhsa_exception_fp_ieee_invalid_op 0
		.amdhsa_exception_fp_denorm_src 0
		.amdhsa_exception_fp_ieee_div_zero 0
		.amdhsa_exception_fp_ieee_overflow 0
		.amdhsa_exception_fp_ieee_underflow 0
		.amdhsa_exception_fp_ieee_inexact 0
		.amdhsa_exception_int_div_zero 0
	.end_amdhsa_kernel
	.section	.text._ZN7rocprim17ROCPRIM_400000_NS6detail17trampoline_kernelINS0_14default_configENS1_27scan_by_key_config_selectorIllEEZZNS1_16scan_by_key_implILNS1_25lookback_scan_determinismE0ELb0ES3_PKlN6hipcub16HIPCUB_304000_NS21ConstantInputIteratorIllEEPllNSB_3SumENSB_8EqualityElEE10hipError_tPvRmT2_T3_T4_T5_mT6_T7_P12ihipStream_tbENKUlT_T0_E_clISt17integral_constantIbLb0EESW_IbLb1EEEEDaSS_ST_EUlSS_E_NS1_11comp_targetILNS1_3genE8ELNS1_11target_archE1030ELNS1_3gpuE2ELNS1_3repE0EEENS1_30default_config_static_selectorELNS0_4arch9wavefront6targetE1EEEvT1_,"axG",@progbits,_ZN7rocprim17ROCPRIM_400000_NS6detail17trampoline_kernelINS0_14default_configENS1_27scan_by_key_config_selectorIllEEZZNS1_16scan_by_key_implILNS1_25lookback_scan_determinismE0ELb0ES3_PKlN6hipcub16HIPCUB_304000_NS21ConstantInputIteratorIllEEPllNSB_3SumENSB_8EqualityElEE10hipError_tPvRmT2_T3_T4_T5_mT6_T7_P12ihipStream_tbENKUlT_T0_E_clISt17integral_constantIbLb0EESW_IbLb1EEEEDaSS_ST_EUlSS_E_NS1_11comp_targetILNS1_3genE8ELNS1_11target_archE1030ELNS1_3gpuE2ELNS1_3repE0EEENS1_30default_config_static_selectorELNS0_4arch9wavefront6targetE1EEEvT1_,comdat
.Lfunc_end135:
	.size	_ZN7rocprim17ROCPRIM_400000_NS6detail17trampoline_kernelINS0_14default_configENS1_27scan_by_key_config_selectorIllEEZZNS1_16scan_by_key_implILNS1_25lookback_scan_determinismE0ELb0ES3_PKlN6hipcub16HIPCUB_304000_NS21ConstantInputIteratorIllEEPllNSB_3SumENSB_8EqualityElEE10hipError_tPvRmT2_T3_T4_T5_mT6_T7_P12ihipStream_tbENKUlT_T0_E_clISt17integral_constantIbLb0EESW_IbLb1EEEEDaSS_ST_EUlSS_E_NS1_11comp_targetILNS1_3genE8ELNS1_11target_archE1030ELNS1_3gpuE2ELNS1_3repE0EEENS1_30default_config_static_selectorELNS0_4arch9wavefront6targetE1EEEvT1_, .Lfunc_end135-_ZN7rocprim17ROCPRIM_400000_NS6detail17trampoline_kernelINS0_14default_configENS1_27scan_by_key_config_selectorIllEEZZNS1_16scan_by_key_implILNS1_25lookback_scan_determinismE0ELb0ES3_PKlN6hipcub16HIPCUB_304000_NS21ConstantInputIteratorIllEEPllNSB_3SumENSB_8EqualityElEE10hipError_tPvRmT2_T3_T4_T5_mT6_T7_P12ihipStream_tbENKUlT_T0_E_clISt17integral_constantIbLb0EESW_IbLb1EEEEDaSS_ST_EUlSS_E_NS1_11comp_targetILNS1_3genE8ELNS1_11target_archE1030ELNS1_3gpuE2ELNS1_3repE0EEENS1_30default_config_static_selectorELNS0_4arch9wavefront6targetE1EEEvT1_
                                        ; -- End function
	.set _ZN7rocprim17ROCPRIM_400000_NS6detail17trampoline_kernelINS0_14default_configENS1_27scan_by_key_config_selectorIllEEZZNS1_16scan_by_key_implILNS1_25lookback_scan_determinismE0ELb0ES3_PKlN6hipcub16HIPCUB_304000_NS21ConstantInputIteratorIllEEPllNSB_3SumENSB_8EqualityElEE10hipError_tPvRmT2_T3_T4_T5_mT6_T7_P12ihipStream_tbENKUlT_T0_E_clISt17integral_constantIbLb0EESW_IbLb1EEEEDaSS_ST_EUlSS_E_NS1_11comp_targetILNS1_3genE8ELNS1_11target_archE1030ELNS1_3gpuE2ELNS1_3repE0EEENS1_30default_config_static_selectorELNS0_4arch9wavefront6targetE1EEEvT1_.num_vgpr, 0
	.set _ZN7rocprim17ROCPRIM_400000_NS6detail17trampoline_kernelINS0_14default_configENS1_27scan_by_key_config_selectorIllEEZZNS1_16scan_by_key_implILNS1_25lookback_scan_determinismE0ELb0ES3_PKlN6hipcub16HIPCUB_304000_NS21ConstantInputIteratorIllEEPllNSB_3SumENSB_8EqualityElEE10hipError_tPvRmT2_T3_T4_T5_mT6_T7_P12ihipStream_tbENKUlT_T0_E_clISt17integral_constantIbLb0EESW_IbLb1EEEEDaSS_ST_EUlSS_E_NS1_11comp_targetILNS1_3genE8ELNS1_11target_archE1030ELNS1_3gpuE2ELNS1_3repE0EEENS1_30default_config_static_selectorELNS0_4arch9wavefront6targetE1EEEvT1_.num_agpr, 0
	.set _ZN7rocprim17ROCPRIM_400000_NS6detail17trampoline_kernelINS0_14default_configENS1_27scan_by_key_config_selectorIllEEZZNS1_16scan_by_key_implILNS1_25lookback_scan_determinismE0ELb0ES3_PKlN6hipcub16HIPCUB_304000_NS21ConstantInputIteratorIllEEPllNSB_3SumENSB_8EqualityElEE10hipError_tPvRmT2_T3_T4_T5_mT6_T7_P12ihipStream_tbENKUlT_T0_E_clISt17integral_constantIbLb0EESW_IbLb1EEEEDaSS_ST_EUlSS_E_NS1_11comp_targetILNS1_3genE8ELNS1_11target_archE1030ELNS1_3gpuE2ELNS1_3repE0EEENS1_30default_config_static_selectorELNS0_4arch9wavefront6targetE1EEEvT1_.numbered_sgpr, 0
	.set _ZN7rocprim17ROCPRIM_400000_NS6detail17trampoline_kernelINS0_14default_configENS1_27scan_by_key_config_selectorIllEEZZNS1_16scan_by_key_implILNS1_25lookback_scan_determinismE0ELb0ES3_PKlN6hipcub16HIPCUB_304000_NS21ConstantInputIteratorIllEEPllNSB_3SumENSB_8EqualityElEE10hipError_tPvRmT2_T3_T4_T5_mT6_T7_P12ihipStream_tbENKUlT_T0_E_clISt17integral_constantIbLb0EESW_IbLb1EEEEDaSS_ST_EUlSS_E_NS1_11comp_targetILNS1_3genE8ELNS1_11target_archE1030ELNS1_3gpuE2ELNS1_3repE0EEENS1_30default_config_static_selectorELNS0_4arch9wavefront6targetE1EEEvT1_.num_named_barrier, 0
	.set _ZN7rocprim17ROCPRIM_400000_NS6detail17trampoline_kernelINS0_14default_configENS1_27scan_by_key_config_selectorIllEEZZNS1_16scan_by_key_implILNS1_25lookback_scan_determinismE0ELb0ES3_PKlN6hipcub16HIPCUB_304000_NS21ConstantInputIteratorIllEEPllNSB_3SumENSB_8EqualityElEE10hipError_tPvRmT2_T3_T4_T5_mT6_T7_P12ihipStream_tbENKUlT_T0_E_clISt17integral_constantIbLb0EESW_IbLb1EEEEDaSS_ST_EUlSS_E_NS1_11comp_targetILNS1_3genE8ELNS1_11target_archE1030ELNS1_3gpuE2ELNS1_3repE0EEENS1_30default_config_static_selectorELNS0_4arch9wavefront6targetE1EEEvT1_.private_seg_size, 0
	.set _ZN7rocprim17ROCPRIM_400000_NS6detail17trampoline_kernelINS0_14default_configENS1_27scan_by_key_config_selectorIllEEZZNS1_16scan_by_key_implILNS1_25lookback_scan_determinismE0ELb0ES3_PKlN6hipcub16HIPCUB_304000_NS21ConstantInputIteratorIllEEPllNSB_3SumENSB_8EqualityElEE10hipError_tPvRmT2_T3_T4_T5_mT6_T7_P12ihipStream_tbENKUlT_T0_E_clISt17integral_constantIbLb0EESW_IbLb1EEEEDaSS_ST_EUlSS_E_NS1_11comp_targetILNS1_3genE8ELNS1_11target_archE1030ELNS1_3gpuE2ELNS1_3repE0EEENS1_30default_config_static_selectorELNS0_4arch9wavefront6targetE1EEEvT1_.uses_vcc, 0
	.set _ZN7rocprim17ROCPRIM_400000_NS6detail17trampoline_kernelINS0_14default_configENS1_27scan_by_key_config_selectorIllEEZZNS1_16scan_by_key_implILNS1_25lookback_scan_determinismE0ELb0ES3_PKlN6hipcub16HIPCUB_304000_NS21ConstantInputIteratorIllEEPllNSB_3SumENSB_8EqualityElEE10hipError_tPvRmT2_T3_T4_T5_mT6_T7_P12ihipStream_tbENKUlT_T0_E_clISt17integral_constantIbLb0EESW_IbLb1EEEEDaSS_ST_EUlSS_E_NS1_11comp_targetILNS1_3genE8ELNS1_11target_archE1030ELNS1_3gpuE2ELNS1_3repE0EEENS1_30default_config_static_selectorELNS0_4arch9wavefront6targetE1EEEvT1_.uses_flat_scratch, 0
	.set _ZN7rocprim17ROCPRIM_400000_NS6detail17trampoline_kernelINS0_14default_configENS1_27scan_by_key_config_selectorIllEEZZNS1_16scan_by_key_implILNS1_25lookback_scan_determinismE0ELb0ES3_PKlN6hipcub16HIPCUB_304000_NS21ConstantInputIteratorIllEEPllNSB_3SumENSB_8EqualityElEE10hipError_tPvRmT2_T3_T4_T5_mT6_T7_P12ihipStream_tbENKUlT_T0_E_clISt17integral_constantIbLb0EESW_IbLb1EEEEDaSS_ST_EUlSS_E_NS1_11comp_targetILNS1_3genE8ELNS1_11target_archE1030ELNS1_3gpuE2ELNS1_3repE0EEENS1_30default_config_static_selectorELNS0_4arch9wavefront6targetE1EEEvT1_.has_dyn_sized_stack, 0
	.set _ZN7rocprim17ROCPRIM_400000_NS6detail17trampoline_kernelINS0_14default_configENS1_27scan_by_key_config_selectorIllEEZZNS1_16scan_by_key_implILNS1_25lookback_scan_determinismE0ELb0ES3_PKlN6hipcub16HIPCUB_304000_NS21ConstantInputIteratorIllEEPllNSB_3SumENSB_8EqualityElEE10hipError_tPvRmT2_T3_T4_T5_mT6_T7_P12ihipStream_tbENKUlT_T0_E_clISt17integral_constantIbLb0EESW_IbLb1EEEEDaSS_ST_EUlSS_E_NS1_11comp_targetILNS1_3genE8ELNS1_11target_archE1030ELNS1_3gpuE2ELNS1_3repE0EEENS1_30default_config_static_selectorELNS0_4arch9wavefront6targetE1EEEvT1_.has_recursion, 0
	.set _ZN7rocprim17ROCPRIM_400000_NS6detail17trampoline_kernelINS0_14default_configENS1_27scan_by_key_config_selectorIllEEZZNS1_16scan_by_key_implILNS1_25lookback_scan_determinismE0ELb0ES3_PKlN6hipcub16HIPCUB_304000_NS21ConstantInputIteratorIllEEPllNSB_3SumENSB_8EqualityElEE10hipError_tPvRmT2_T3_T4_T5_mT6_T7_P12ihipStream_tbENKUlT_T0_E_clISt17integral_constantIbLb0EESW_IbLb1EEEEDaSS_ST_EUlSS_E_NS1_11comp_targetILNS1_3genE8ELNS1_11target_archE1030ELNS1_3gpuE2ELNS1_3repE0EEENS1_30default_config_static_selectorELNS0_4arch9wavefront6targetE1EEEvT1_.has_indirect_call, 0
	.section	.AMDGPU.csdata,"",@progbits
; Kernel info:
; codeLenInByte = 0
; TotalNumSgprs: 6
; NumVgprs: 0
; NumAgprs: 0
; TotalNumVgprs: 0
; ScratchSize: 0
; MemoryBound: 0
; FloatMode: 240
; IeeeMode: 1
; LDSByteSize: 0 bytes/workgroup (compile time only)
; SGPRBlocks: 0
; VGPRBlocks: 0
; NumSGPRsForWavesPerEU: 6
; NumVGPRsForWavesPerEU: 1
; AccumOffset: 4
; Occupancy: 8
; WaveLimiterHint : 0
; COMPUTE_PGM_RSRC2:SCRATCH_EN: 0
; COMPUTE_PGM_RSRC2:USER_SGPR: 2
; COMPUTE_PGM_RSRC2:TRAP_HANDLER: 0
; COMPUTE_PGM_RSRC2:TGID_X_EN: 1
; COMPUTE_PGM_RSRC2:TGID_Y_EN: 0
; COMPUTE_PGM_RSRC2:TGID_Z_EN: 0
; COMPUTE_PGM_RSRC2:TIDIG_COMP_CNT: 0
; COMPUTE_PGM_RSRC3_GFX90A:ACCUM_OFFSET: 0
; COMPUTE_PGM_RSRC3_GFX90A:TG_SPLIT: 0
	.section	.text._ZN7rocprim17ROCPRIM_400000_NS6detail30init_device_scan_by_key_kernelINS1_19lookback_scan_stateINS0_5tupleIJlbEEELb0ELb0EEEN6thrust23THRUST_200600_302600_NS16reverse_iteratorIPKlEEjNS1_16block_id_wrapperIjLb0EEEEEvT_jjPNSF_10value_typeET0_PNSt15iterator_traitsISI_E10value_typeEmT1_T2_,"axG",@progbits,_ZN7rocprim17ROCPRIM_400000_NS6detail30init_device_scan_by_key_kernelINS1_19lookback_scan_stateINS0_5tupleIJlbEEELb0ELb0EEEN6thrust23THRUST_200600_302600_NS16reverse_iteratorIPKlEEjNS1_16block_id_wrapperIjLb0EEEEEvT_jjPNSF_10value_typeET0_PNSt15iterator_traitsISI_E10value_typeEmT1_T2_,comdat
	.protected	_ZN7rocprim17ROCPRIM_400000_NS6detail30init_device_scan_by_key_kernelINS1_19lookback_scan_stateINS0_5tupleIJlbEEELb0ELb0EEEN6thrust23THRUST_200600_302600_NS16reverse_iteratorIPKlEEjNS1_16block_id_wrapperIjLb0EEEEEvT_jjPNSF_10value_typeET0_PNSt15iterator_traitsISI_E10value_typeEmT1_T2_ ; -- Begin function _ZN7rocprim17ROCPRIM_400000_NS6detail30init_device_scan_by_key_kernelINS1_19lookback_scan_stateINS0_5tupleIJlbEEELb0ELb0EEEN6thrust23THRUST_200600_302600_NS16reverse_iteratorIPKlEEjNS1_16block_id_wrapperIjLb0EEEEEvT_jjPNSF_10value_typeET0_PNSt15iterator_traitsISI_E10value_typeEmT1_T2_
	.globl	_ZN7rocprim17ROCPRIM_400000_NS6detail30init_device_scan_by_key_kernelINS1_19lookback_scan_stateINS0_5tupleIJlbEEELb0ELb0EEEN6thrust23THRUST_200600_302600_NS16reverse_iteratorIPKlEEjNS1_16block_id_wrapperIjLb0EEEEEvT_jjPNSF_10value_typeET0_PNSt15iterator_traitsISI_E10value_typeEmT1_T2_
	.p2align	8
	.type	_ZN7rocprim17ROCPRIM_400000_NS6detail30init_device_scan_by_key_kernelINS1_19lookback_scan_stateINS0_5tupleIJlbEEELb0ELb0EEEN6thrust23THRUST_200600_302600_NS16reverse_iteratorIPKlEEjNS1_16block_id_wrapperIjLb0EEEEEvT_jjPNSF_10value_typeET0_PNSt15iterator_traitsISI_E10value_typeEmT1_T2_,@function
_ZN7rocprim17ROCPRIM_400000_NS6detail30init_device_scan_by_key_kernelINS1_19lookback_scan_stateINS0_5tupleIJlbEEELb0ELb0EEEN6thrust23THRUST_200600_302600_NS16reverse_iteratorIPKlEEjNS1_16block_id_wrapperIjLb0EEEEEvT_jjPNSF_10value_typeET0_PNSt15iterator_traitsISI_E10value_typeEmT1_T2_: ; @_ZN7rocprim17ROCPRIM_400000_NS6detail30init_device_scan_by_key_kernelINS1_19lookback_scan_stateINS0_5tupleIJlbEEELb0ELb0EEEN6thrust23THRUST_200600_302600_NS16reverse_iteratorIPKlEEjNS1_16block_id_wrapperIjLb0EEEEEvT_jjPNSF_10value_typeET0_PNSt15iterator_traitsISI_E10value_typeEmT1_T2_
; %bb.0:
	s_load_dword s3, s[0:1], 0x54
	s_load_dwordx8 s[4:11], s[0:1], 0x10
	s_load_dword s20, s[0:1], 0x48
	s_waitcnt lgkmcnt(0)
	s_and_b32 s21, s3, 0xffff
	s_mul_i32 s2, s2, s21
	s_cmp_eq_u64 s[8:9], 0
	v_add_u32_e32 v0, s2, v0
	s_cbranch_scc1 .LBB136_6
; %bb.1:
	s_cmp_lt_u32 s7, s6
	s_cselect_b32 s2, s7, 0
	s_mov_b32 s17, 0
	v_cmp_eq_u32_e32 vcc, s2, v0
	s_and_saveexec_b64 s[2:3], vcc
	s_cbranch_execz .LBB136_5
; %bb.2:
	s_add_i32 s16, s7, 64
	v_mov_b32_e32 v1, s16
	global_load_ubyte v2, v1, s[4:5] sc1
	s_load_dwordx4 s[12:15], s[0:1], 0x0
	v_mov_b32_e32 v1, 0
	s_add_u32 s18, s4, s16
	s_addc_u32 s19, s5, 0
	s_waitcnt vmcnt(0)
	v_cmp_ne_u32_sdwa s[22:23], v2, v1 src0_sel:WORD_0 src1_sel:DWORD
	s_and_b64 vcc, exec, s[22:23]
	v_readfirstlane_b32 s7, v2
	s_cbranch_vccnz .LBB136_4
.LBB136_3:                              ; =>This Inner Loop Header: Depth=1
	global_load_ubyte v2, v1, s[18:19] sc1
	s_waitcnt vmcnt(0)
	v_cmp_eq_u32_sdwa s[22:23], v2, v1 src0_sel:WORD_0 src1_sel:DWORD
	s_and_b64 vcc, exec, s[22:23]
	v_readfirstlane_b32 s7, v2
	s_cbranch_vccnz .LBB136_3
.LBB136_4:
	s_and_b32 s7, 0xffff, s7
	s_cmp_eq_u32 s7, 1
	s_waitcnt lgkmcnt(0)
	s_cselect_b32 s7, s13, s15
	s_cselect_b32 s14, s12, s14
	s_lshl_b64 s[12:13], s[16:17], 4
	s_add_u32 s12, s14, s12
	s_addc_u32 s13, s7, s13
	v_mov_b32_e32 v1, 0
	s_waitcnt vmcnt(0)
	global_load_dword v4, v1, s[12:13] sc1
	global_load_dword v5, v1, s[12:13] offset:4 sc1
	global_load_dword v2, v1, s[12:13] offset:8 sc1
	;; [unrolled: 1-line block ×3, first 2 shown]
	s_waitcnt vmcnt(2)
	global_store_dwordx2 v1, v[4:5], s[8:9]
	s_waitcnt vmcnt(2)
	global_store_byte v1, v2, s[8:9] offset:8
.LBB136_5:
	s_or_b64 exec, exec, s[2:3]
.LBB136_6:
	v_cmp_gt_u32_e32 vcc, s6, v0
	s_and_saveexec_b64 s[2:3], vcc
	s_cbranch_execz .LBB136_8
; %bb.7:
	v_add_u32_e32 v1, 64, v0
	v_mov_b32_e32 v2, 0
	global_store_byte v1, v2, s[4:5]
.LBB136_8:
	s_or_b64 exec, exec, s[2:3]
	v_cmp_gt_u32_e32 vcc, 64, v0
	v_mov_b32_e32 v1, 0
	s_and_saveexec_b64 s[2:3], vcc
	s_cbranch_execz .LBB136_10
; %bb.9:
	s_waitcnt vmcnt(2)
	v_lshl_add_u64 v[2:3], s[4:5], 0, v[0:1]
	v_mov_b32_e32 v4, 0xff
	global_store_byte v[2:3], v4, off
.LBB136_10:
	s_or_b64 exec, exec, s[2:3]
	s_load_dwordx2 s[2:3], s[0:1], 0x38
	s_waitcnt lgkmcnt(0)
	v_cmp_gt_u64_e32 vcc, s[2:3], v[0:1]
	s_and_saveexec_b64 s[4:5], vcc
	s_cbranch_execz .LBB136_13
; %bb.11:
	s_load_dword s6, s[0:1], 0x40
	s_load_dwordx2 s[8:9], s[0:1], 0x30
	v_mov_b32_e32 v5, 0
	s_mul_i32 s0, s20, s21
	v_mov_b32_e32 v2, s10
	s_waitcnt lgkmcnt(0)
	s_add_i32 s4, s6, -1
	v_mov_b32_e32 v4, s4
	v_mad_u64_u32 v[4:5], s[4:5], s6, v0, v[4:5]
	s_mul_hi_u32 s5, s6, s0
	s_mul_i32 s4, s6, s0
	s_lshl_b64 s[6:7], s[4:5], 3
	s_waitcnt vmcnt(2)
	v_mov_b32_e32 v3, s11
	s_mov_b32 s1, 0
	v_not_b32_e32 v5, v5
	v_not_b32_e32 v4, v4
	s_sub_u32 s6, 0, s6
	v_lshl_add_u64 v[2:3], v[4:5], 3, v[2:3]
	s_mov_b64 s[4:5], 0
	s_subb_u32 s7, 0, s7
	v_lshl_add_u64 v[4:5], v[0:1], 3, s[8:9]
	s_lshl_b64 s[8:9], s[0:1], 3
.LBB136_12:                             ; =>This Inner Loop Header: Depth=1
	global_load_dwordx2 v[6:7], v[2:3], off
	v_lshl_add_u64 v[0:1], v[0:1], 0, s[0:1]
	v_cmp_le_u64_e32 vcc, s[2:3], v[0:1]
	v_lshl_add_u64 v[2:3], v[2:3], 0, s[6:7]
	s_or_b64 s[4:5], vcc, s[4:5]
	s_waitcnt vmcnt(0)
	global_store_dwordx2 v[4:5], v[6:7], off
	v_lshl_add_u64 v[4:5], v[4:5], 0, s[8:9]
	s_andn2_b64 exec, exec, s[4:5]
	s_cbranch_execnz .LBB136_12
.LBB136_13:
	s_endpgm
	.section	.rodata,"a",@progbits
	.p2align	6, 0x0
	.amdhsa_kernel _ZN7rocprim17ROCPRIM_400000_NS6detail30init_device_scan_by_key_kernelINS1_19lookback_scan_stateINS0_5tupleIJlbEEELb0ELb0EEEN6thrust23THRUST_200600_302600_NS16reverse_iteratorIPKlEEjNS1_16block_id_wrapperIjLb0EEEEEvT_jjPNSF_10value_typeET0_PNSt15iterator_traitsISI_E10value_typeEmT1_T2_
		.amdhsa_group_segment_fixed_size 0
		.amdhsa_private_segment_fixed_size 0
		.amdhsa_kernarg_size 328
		.amdhsa_user_sgpr_count 2
		.amdhsa_user_sgpr_dispatch_ptr 0
		.amdhsa_user_sgpr_queue_ptr 0
		.amdhsa_user_sgpr_kernarg_segment_ptr 1
		.amdhsa_user_sgpr_dispatch_id 0
		.amdhsa_user_sgpr_kernarg_preload_length 0
		.amdhsa_user_sgpr_kernarg_preload_offset 0
		.amdhsa_user_sgpr_private_segment_size 0
		.amdhsa_uses_dynamic_stack 0
		.amdhsa_enable_private_segment 0
		.amdhsa_system_sgpr_workgroup_id_x 1
		.amdhsa_system_sgpr_workgroup_id_y 0
		.amdhsa_system_sgpr_workgroup_id_z 0
		.amdhsa_system_sgpr_workgroup_info 0
		.amdhsa_system_vgpr_workitem_id 0
		.amdhsa_next_free_vgpr 8
		.amdhsa_next_free_sgpr 24
		.amdhsa_accum_offset 8
		.amdhsa_reserve_vcc 1
		.amdhsa_float_round_mode_32 0
		.amdhsa_float_round_mode_16_64 0
		.amdhsa_float_denorm_mode_32 3
		.amdhsa_float_denorm_mode_16_64 3
		.amdhsa_dx10_clamp 1
		.amdhsa_ieee_mode 1
		.amdhsa_fp16_overflow 0
		.amdhsa_tg_split 0
		.amdhsa_exception_fp_ieee_invalid_op 0
		.amdhsa_exception_fp_denorm_src 0
		.amdhsa_exception_fp_ieee_div_zero 0
		.amdhsa_exception_fp_ieee_overflow 0
		.amdhsa_exception_fp_ieee_underflow 0
		.amdhsa_exception_fp_ieee_inexact 0
		.amdhsa_exception_int_div_zero 0
	.end_amdhsa_kernel
	.section	.text._ZN7rocprim17ROCPRIM_400000_NS6detail30init_device_scan_by_key_kernelINS1_19lookback_scan_stateINS0_5tupleIJlbEEELb0ELb0EEEN6thrust23THRUST_200600_302600_NS16reverse_iteratorIPKlEEjNS1_16block_id_wrapperIjLb0EEEEEvT_jjPNSF_10value_typeET0_PNSt15iterator_traitsISI_E10value_typeEmT1_T2_,"axG",@progbits,_ZN7rocprim17ROCPRIM_400000_NS6detail30init_device_scan_by_key_kernelINS1_19lookback_scan_stateINS0_5tupleIJlbEEELb0ELb0EEEN6thrust23THRUST_200600_302600_NS16reverse_iteratorIPKlEEjNS1_16block_id_wrapperIjLb0EEEEEvT_jjPNSF_10value_typeET0_PNSt15iterator_traitsISI_E10value_typeEmT1_T2_,comdat
.Lfunc_end136:
	.size	_ZN7rocprim17ROCPRIM_400000_NS6detail30init_device_scan_by_key_kernelINS1_19lookback_scan_stateINS0_5tupleIJlbEEELb0ELb0EEEN6thrust23THRUST_200600_302600_NS16reverse_iteratorIPKlEEjNS1_16block_id_wrapperIjLb0EEEEEvT_jjPNSF_10value_typeET0_PNSt15iterator_traitsISI_E10value_typeEmT1_T2_, .Lfunc_end136-_ZN7rocprim17ROCPRIM_400000_NS6detail30init_device_scan_by_key_kernelINS1_19lookback_scan_stateINS0_5tupleIJlbEEELb0ELb0EEEN6thrust23THRUST_200600_302600_NS16reverse_iteratorIPKlEEjNS1_16block_id_wrapperIjLb0EEEEEvT_jjPNSF_10value_typeET0_PNSt15iterator_traitsISI_E10value_typeEmT1_T2_
                                        ; -- End function
	.set _ZN7rocprim17ROCPRIM_400000_NS6detail30init_device_scan_by_key_kernelINS1_19lookback_scan_stateINS0_5tupleIJlbEEELb0ELb0EEEN6thrust23THRUST_200600_302600_NS16reverse_iteratorIPKlEEjNS1_16block_id_wrapperIjLb0EEEEEvT_jjPNSF_10value_typeET0_PNSt15iterator_traitsISI_E10value_typeEmT1_T2_.num_vgpr, 8
	.set _ZN7rocprim17ROCPRIM_400000_NS6detail30init_device_scan_by_key_kernelINS1_19lookback_scan_stateINS0_5tupleIJlbEEELb0ELb0EEEN6thrust23THRUST_200600_302600_NS16reverse_iteratorIPKlEEjNS1_16block_id_wrapperIjLb0EEEEEvT_jjPNSF_10value_typeET0_PNSt15iterator_traitsISI_E10value_typeEmT1_T2_.num_agpr, 0
	.set _ZN7rocprim17ROCPRIM_400000_NS6detail30init_device_scan_by_key_kernelINS1_19lookback_scan_stateINS0_5tupleIJlbEEELb0ELb0EEEN6thrust23THRUST_200600_302600_NS16reverse_iteratorIPKlEEjNS1_16block_id_wrapperIjLb0EEEEEvT_jjPNSF_10value_typeET0_PNSt15iterator_traitsISI_E10value_typeEmT1_T2_.numbered_sgpr, 24
	.set _ZN7rocprim17ROCPRIM_400000_NS6detail30init_device_scan_by_key_kernelINS1_19lookback_scan_stateINS0_5tupleIJlbEEELb0ELb0EEEN6thrust23THRUST_200600_302600_NS16reverse_iteratorIPKlEEjNS1_16block_id_wrapperIjLb0EEEEEvT_jjPNSF_10value_typeET0_PNSt15iterator_traitsISI_E10value_typeEmT1_T2_.num_named_barrier, 0
	.set _ZN7rocprim17ROCPRIM_400000_NS6detail30init_device_scan_by_key_kernelINS1_19lookback_scan_stateINS0_5tupleIJlbEEELb0ELb0EEEN6thrust23THRUST_200600_302600_NS16reverse_iteratorIPKlEEjNS1_16block_id_wrapperIjLb0EEEEEvT_jjPNSF_10value_typeET0_PNSt15iterator_traitsISI_E10value_typeEmT1_T2_.private_seg_size, 0
	.set _ZN7rocprim17ROCPRIM_400000_NS6detail30init_device_scan_by_key_kernelINS1_19lookback_scan_stateINS0_5tupleIJlbEEELb0ELb0EEEN6thrust23THRUST_200600_302600_NS16reverse_iteratorIPKlEEjNS1_16block_id_wrapperIjLb0EEEEEvT_jjPNSF_10value_typeET0_PNSt15iterator_traitsISI_E10value_typeEmT1_T2_.uses_vcc, 1
	.set _ZN7rocprim17ROCPRIM_400000_NS6detail30init_device_scan_by_key_kernelINS1_19lookback_scan_stateINS0_5tupleIJlbEEELb0ELb0EEEN6thrust23THRUST_200600_302600_NS16reverse_iteratorIPKlEEjNS1_16block_id_wrapperIjLb0EEEEEvT_jjPNSF_10value_typeET0_PNSt15iterator_traitsISI_E10value_typeEmT1_T2_.uses_flat_scratch, 0
	.set _ZN7rocprim17ROCPRIM_400000_NS6detail30init_device_scan_by_key_kernelINS1_19lookback_scan_stateINS0_5tupleIJlbEEELb0ELb0EEEN6thrust23THRUST_200600_302600_NS16reverse_iteratorIPKlEEjNS1_16block_id_wrapperIjLb0EEEEEvT_jjPNSF_10value_typeET0_PNSt15iterator_traitsISI_E10value_typeEmT1_T2_.has_dyn_sized_stack, 0
	.set _ZN7rocprim17ROCPRIM_400000_NS6detail30init_device_scan_by_key_kernelINS1_19lookback_scan_stateINS0_5tupleIJlbEEELb0ELb0EEEN6thrust23THRUST_200600_302600_NS16reverse_iteratorIPKlEEjNS1_16block_id_wrapperIjLb0EEEEEvT_jjPNSF_10value_typeET0_PNSt15iterator_traitsISI_E10value_typeEmT1_T2_.has_recursion, 0
	.set _ZN7rocprim17ROCPRIM_400000_NS6detail30init_device_scan_by_key_kernelINS1_19lookback_scan_stateINS0_5tupleIJlbEEELb0ELb0EEEN6thrust23THRUST_200600_302600_NS16reverse_iteratorIPKlEEjNS1_16block_id_wrapperIjLb0EEEEEvT_jjPNSF_10value_typeET0_PNSt15iterator_traitsISI_E10value_typeEmT1_T2_.has_indirect_call, 0
	.section	.AMDGPU.csdata,"",@progbits
; Kernel info:
; codeLenInByte = 552
; TotalNumSgprs: 30
; NumVgprs: 8
; NumAgprs: 0
; TotalNumVgprs: 8
; ScratchSize: 0
; MemoryBound: 0
; FloatMode: 240
; IeeeMode: 1
; LDSByteSize: 0 bytes/workgroup (compile time only)
; SGPRBlocks: 3
; VGPRBlocks: 0
; NumSGPRsForWavesPerEU: 30
; NumVGPRsForWavesPerEU: 8
; AccumOffset: 8
; Occupancy: 8
; WaveLimiterHint : 0
; COMPUTE_PGM_RSRC2:SCRATCH_EN: 0
; COMPUTE_PGM_RSRC2:USER_SGPR: 2
; COMPUTE_PGM_RSRC2:TRAP_HANDLER: 0
; COMPUTE_PGM_RSRC2:TGID_X_EN: 1
; COMPUTE_PGM_RSRC2:TGID_Y_EN: 0
; COMPUTE_PGM_RSRC2:TGID_Z_EN: 0
; COMPUTE_PGM_RSRC2:TIDIG_COMP_CNT: 0
; COMPUTE_PGM_RSRC3_GFX90A:ACCUM_OFFSET: 1
; COMPUTE_PGM_RSRC3_GFX90A:TG_SPLIT: 0
	.section	.text._ZN7rocprim17ROCPRIM_400000_NS6detail17trampoline_kernelINS0_14default_configENS1_27scan_by_key_config_selectorIllEEZZNS1_16scan_by_key_implILNS1_25lookback_scan_determinismE0ELb0ES3_N6thrust23THRUST_200600_302600_NS16reverse_iteratorIPKlEESD_NSA_IPlEElN6hipcub16HIPCUB_304000_NS3MaxENSH_8EqualityElEE10hipError_tPvRmT2_T3_T4_T5_mT6_T7_P12ihipStream_tbENKUlT_T0_E_clISt17integral_constantIbLb0EES10_EEDaSV_SW_EUlSV_E_NS1_11comp_targetILNS1_3genE0ELNS1_11target_archE4294967295ELNS1_3gpuE0ELNS1_3repE0EEENS1_30default_config_static_selectorELNS0_4arch9wavefront6targetE1EEEvT1_,"axG",@progbits,_ZN7rocprim17ROCPRIM_400000_NS6detail17trampoline_kernelINS0_14default_configENS1_27scan_by_key_config_selectorIllEEZZNS1_16scan_by_key_implILNS1_25lookback_scan_determinismE0ELb0ES3_N6thrust23THRUST_200600_302600_NS16reverse_iteratorIPKlEESD_NSA_IPlEElN6hipcub16HIPCUB_304000_NS3MaxENSH_8EqualityElEE10hipError_tPvRmT2_T3_T4_T5_mT6_T7_P12ihipStream_tbENKUlT_T0_E_clISt17integral_constantIbLb0EES10_EEDaSV_SW_EUlSV_E_NS1_11comp_targetILNS1_3genE0ELNS1_11target_archE4294967295ELNS1_3gpuE0ELNS1_3repE0EEENS1_30default_config_static_selectorELNS0_4arch9wavefront6targetE1EEEvT1_,comdat
	.protected	_ZN7rocprim17ROCPRIM_400000_NS6detail17trampoline_kernelINS0_14default_configENS1_27scan_by_key_config_selectorIllEEZZNS1_16scan_by_key_implILNS1_25lookback_scan_determinismE0ELb0ES3_N6thrust23THRUST_200600_302600_NS16reverse_iteratorIPKlEESD_NSA_IPlEElN6hipcub16HIPCUB_304000_NS3MaxENSH_8EqualityElEE10hipError_tPvRmT2_T3_T4_T5_mT6_T7_P12ihipStream_tbENKUlT_T0_E_clISt17integral_constantIbLb0EES10_EEDaSV_SW_EUlSV_E_NS1_11comp_targetILNS1_3genE0ELNS1_11target_archE4294967295ELNS1_3gpuE0ELNS1_3repE0EEENS1_30default_config_static_selectorELNS0_4arch9wavefront6targetE1EEEvT1_ ; -- Begin function _ZN7rocprim17ROCPRIM_400000_NS6detail17trampoline_kernelINS0_14default_configENS1_27scan_by_key_config_selectorIllEEZZNS1_16scan_by_key_implILNS1_25lookback_scan_determinismE0ELb0ES3_N6thrust23THRUST_200600_302600_NS16reverse_iteratorIPKlEESD_NSA_IPlEElN6hipcub16HIPCUB_304000_NS3MaxENSH_8EqualityElEE10hipError_tPvRmT2_T3_T4_T5_mT6_T7_P12ihipStream_tbENKUlT_T0_E_clISt17integral_constantIbLb0EES10_EEDaSV_SW_EUlSV_E_NS1_11comp_targetILNS1_3genE0ELNS1_11target_archE4294967295ELNS1_3gpuE0ELNS1_3repE0EEENS1_30default_config_static_selectorELNS0_4arch9wavefront6targetE1EEEvT1_
	.globl	_ZN7rocprim17ROCPRIM_400000_NS6detail17trampoline_kernelINS0_14default_configENS1_27scan_by_key_config_selectorIllEEZZNS1_16scan_by_key_implILNS1_25lookback_scan_determinismE0ELb0ES3_N6thrust23THRUST_200600_302600_NS16reverse_iteratorIPKlEESD_NSA_IPlEElN6hipcub16HIPCUB_304000_NS3MaxENSH_8EqualityElEE10hipError_tPvRmT2_T3_T4_T5_mT6_T7_P12ihipStream_tbENKUlT_T0_E_clISt17integral_constantIbLb0EES10_EEDaSV_SW_EUlSV_E_NS1_11comp_targetILNS1_3genE0ELNS1_11target_archE4294967295ELNS1_3gpuE0ELNS1_3repE0EEENS1_30default_config_static_selectorELNS0_4arch9wavefront6targetE1EEEvT1_
	.p2align	8
	.type	_ZN7rocprim17ROCPRIM_400000_NS6detail17trampoline_kernelINS0_14default_configENS1_27scan_by_key_config_selectorIllEEZZNS1_16scan_by_key_implILNS1_25lookback_scan_determinismE0ELb0ES3_N6thrust23THRUST_200600_302600_NS16reverse_iteratorIPKlEESD_NSA_IPlEElN6hipcub16HIPCUB_304000_NS3MaxENSH_8EqualityElEE10hipError_tPvRmT2_T3_T4_T5_mT6_T7_P12ihipStream_tbENKUlT_T0_E_clISt17integral_constantIbLb0EES10_EEDaSV_SW_EUlSV_E_NS1_11comp_targetILNS1_3genE0ELNS1_11target_archE4294967295ELNS1_3gpuE0ELNS1_3repE0EEENS1_30default_config_static_selectorELNS0_4arch9wavefront6targetE1EEEvT1_,@function
_ZN7rocprim17ROCPRIM_400000_NS6detail17trampoline_kernelINS0_14default_configENS1_27scan_by_key_config_selectorIllEEZZNS1_16scan_by_key_implILNS1_25lookback_scan_determinismE0ELb0ES3_N6thrust23THRUST_200600_302600_NS16reverse_iteratorIPKlEESD_NSA_IPlEElN6hipcub16HIPCUB_304000_NS3MaxENSH_8EqualityElEE10hipError_tPvRmT2_T3_T4_T5_mT6_T7_P12ihipStream_tbENKUlT_T0_E_clISt17integral_constantIbLb0EES10_EEDaSV_SW_EUlSV_E_NS1_11comp_targetILNS1_3genE0ELNS1_11target_archE4294967295ELNS1_3gpuE0ELNS1_3repE0EEENS1_30default_config_static_selectorELNS0_4arch9wavefront6targetE1EEEvT1_: ; @_ZN7rocprim17ROCPRIM_400000_NS6detail17trampoline_kernelINS0_14default_configENS1_27scan_by_key_config_selectorIllEEZZNS1_16scan_by_key_implILNS1_25lookback_scan_determinismE0ELb0ES3_N6thrust23THRUST_200600_302600_NS16reverse_iteratorIPKlEESD_NSA_IPlEElN6hipcub16HIPCUB_304000_NS3MaxENSH_8EqualityElEE10hipError_tPvRmT2_T3_T4_T5_mT6_T7_P12ihipStream_tbENKUlT_T0_E_clISt17integral_constantIbLb0EES10_EEDaSV_SW_EUlSV_E_NS1_11comp_targetILNS1_3genE0ELNS1_11target_archE4294967295ELNS1_3gpuE0ELNS1_3repE0EEENS1_30default_config_static_selectorELNS0_4arch9wavefront6targetE1EEEvT1_
; %bb.0:
	s_load_dwordx8 s[48:55], s[0:1], 0x0
	s_load_dwordx8 s[40:47], s[0:1], 0x30
	s_load_dwordx2 s[64:65], s[0:1], 0x50
	s_load_dword s3, s[0:1], 0x58
	s_load_dwordx8 s[56:63], s[0:1], 0x60
	s_waitcnt lgkmcnt(0)
	s_sub_u32 s38, 0, s50
	s_subb_u32 s39, 0, s51
	s_lshl_b64 s[0:1], s[50:51], 3
	s_sub_u32 s4, s48, s0
	s_subb_u32 s5, s49, s1
	s_sub_u32 s8, s52, s0
	s_subb_u32 s9, s53, s1
	s_mul_i32 s0, s65, s3
	s_mul_hi_u32 s1, s64, s3
	s_add_i32 s10, s1, s0
	s_cmp_eq_u64 s[60:61], 0
	s_mul_i32 s0, s2, 0xe00
	s_cselect_b64 s[36:37], -1, 0
	s_mov_b32 s1, 0
	s_sub_u32 s48, 0, s0
	s_subb_u32 s49, 0, 0
	s_lshl_b64 s[0:1], s[0:1], 3
	s_mul_i32 s11, s64, s3
	s_sub_u32 s3, s4, s0
	s_subb_u32 s47, s5, s1
	s_sub_u32 s34, s8, s0
	s_subb_u32 s35, s9, s1
	s_add_u32 s50, s11, s2
	s_addc_u32 s51, s10, 0
	s_add_u32 s4, s56, -1
	s_addc_u32 s5, s57, -1
	v_mov_b64_e32 v[2:3], s[4:5]
	v_cmp_ge_u64_e64 s[0:1], s[50:51], v[2:3]
	s_mov_b64 s[6:7], 0
	s_mov_b64 s[30:31], -1
	s_and_b64 vcc, exec, s[0:1]
	s_mul_i32 s33, s4, 0xfffff200
	s_barrier
	s_cbranch_vccz .LBB137_74
; %bb.1:
	v_mov_b32_e32 v1, s47
	v_add_co_u32_e64 v2, vcc, -8, s3
	s_add_i32 s88, s33, s46
	s_nop 0
	v_addc_co_u32_e32 v3, vcc, -1, v1, vcc
	flat_load_dwordx2 v[2:3], v[2:3]
	s_add_u32 s56, s3, -8
	s_addc_u32 s57, s47, -1
	v_cmp_gt_u32_e32 vcc, s88, v0
	s_waitcnt vmcnt(0) lgkmcnt(0)
	v_mov_b64_e32 v[4:5], v[2:3]
	s_and_saveexec_b64 s[6:7], vcc
	s_cbranch_execz .LBB137_3
; %bb.2:
	v_lshlrev_b32_e32 v1, 3, v0
	v_mov_b32_e32 v4, s47
	v_sub_co_u32_e64 v1, s[4:5], s3, v1
	s_nop 1
	v_subbrev_co_u32_e64 v5, s[4:5], 0, v4, s[4:5]
	v_add_co_u32_e64 v4, s[4:5], -8, v1
	s_nop 1
	v_addc_co_u32_e64 v5, s[4:5], -1, v5, s[4:5]
	flat_load_dwordx2 v[4:5], v[4:5]
.LBB137_3:
	s_or_b64 exec, exec, s[6:7]
	v_or_b32_e32 v1, 0x100, v0
	v_cmp_gt_u32_e64 s[28:29], s88, v1
	v_lshlrev_b32_e32 v30, 3, v1
	v_mov_b64_e32 v[6:7], v[2:3]
	s_and_saveexec_b64 s[6:7], s[28:29]
	s_cbranch_execz .LBB137_5
; %bb.4:
	v_mov_b32_e32 v1, s47
	v_sub_co_u32_e64 v6, s[4:5], s3, v30
	s_nop 1
	v_subbrev_co_u32_e64 v1, s[4:5], 0, v1, s[4:5]
	v_add_co_u32_e64 v6, s[4:5], -8, v6
	s_nop 1
	v_addc_co_u32_e64 v7, s[4:5], -1, v1, s[4:5]
	flat_load_dwordx2 v[6:7], v[6:7]
.LBB137_5:
	s_or_b64 exec, exec, s[6:7]
	v_or_b32_e32 v1, 0x200, v0
	v_cmp_gt_u32_e64 s[4:5], s88, v1
	v_lshlrev_b32_e32 v31, 3, v1
	v_mov_b64_e32 v[8:9], v[2:3]
	s_and_saveexec_b64 s[8:9], s[4:5]
	s_cbranch_execz .LBB137_7
; %bb.6:
	v_mov_b32_e32 v1, s47
	v_sub_co_u32_e64 v8, s[6:7], s3, v31
	s_nop 1
	v_subbrev_co_u32_e64 v1, s[6:7], 0, v1, s[6:7]
	v_add_co_u32_e64 v8, s[6:7], -8, v8
	s_nop 1
	v_addc_co_u32_e64 v9, s[6:7], -1, v1, s[6:7]
	flat_load_dwordx2 v[8:9], v[8:9]
.LBB137_7:
	;; [unrolled: 17-line block ×12, first 2 shown]
	s_or_b64 exec, exec, s[30:31]
	v_or_b32_e32 v1, 0xd00, v0
	v_cmp_gt_u32_e64 s[26:27], s88, v1
	v_lshlrev_b32_e32 v70, 3, v1
	s_and_saveexec_b64 s[52:53], s[26:27]
	s_cbranch_execz .LBB137_29
; %bb.28:
	v_mov_b32_e32 v1, s47
	v_sub_co_u32_e64 v2, s[30:31], s3, v70
	s_nop 1
	v_subbrev_co_u32_e64 v1, s[30:31], 0, v1, s[30:31]
	v_add_co_u32_e64 v2, s[30:31], -8, v2
	s_nop 1
	v_addc_co_u32_e64 v3, s[30:31], -1, v1, s[30:31]
	flat_load_dwordx2 v[2:3], v[2:3]
.LBB137_29:
	s_or_b64 exec, exec, s[52:53]
	s_lshl_b64 s[30:31], s[50:51], 3
	s_add_u32 s30, s62, s30
	s_addc_u32 s31, s63, s31
	s_add_u32 s52, s30, -8
	s_addc_u32 s53, s31, -1
	s_and_b64 s[30:31], s[36:37], exec
	s_cselect_b32 s30, s3, s52
	s_cselect_b32 s31, s47, s53
	s_cmp_eq_u64 s[50:51], 0
	v_lshlrev_b32_e32 v71, 3, v0
	s_cselect_b32 s31, s57, s31
	s_cselect_b32 s30, s56, s30
	s_waitcnt vmcnt(0) lgkmcnt(0)
	ds_write2st64_b64 v71, v[4:5], v[6:7] offset1:4
	ds_write2st64_b64 v71, v[8:9], v[10:11] offset0:8 offset1:12
	ds_write2st64_b64 v71, v[12:13], v[14:15] offset0:16 offset1:20
	;; [unrolled: 1-line block ×6, first 2 shown]
	v_mov_b32_e32 v2, s30
	v_mov_b32_e32 v3, s31
	s_waitcnt lgkmcnt(0)
	s_barrier
	flat_load_dwordx2 v[8:9], v[2:3]
	s_movk_i32 s30, 0x68
	v_mad_u32_u24 v1, v0, s30, v71
	ds_read_b128 v[58:61], v1
	ds_read_b128 v[54:57], v1 offset:16
	ds_read_b128 v[50:53], v1 offset:32
	;; [unrolled: 1-line block ×6, first 2 shown]
	s_movk_i32 s30, 0xff98
	v_mad_i32_i24 v2, v0, s30, v1
	v_cmp_ne_u32_e64 s[30:31], 0, v0
	s_waitcnt lgkmcnt(0)
	ds_write_b64 v2, v[36:37] offset:28672
	s_waitcnt lgkmcnt(0)
	s_barrier
	s_and_saveexec_b64 s[52:53], s[30:31]
	s_cbranch_execz .LBB137_31
; %bb.30:
	v_mul_i32_i24_e32 v2, 0xffffff98, v0
	v_add_u32_e32 v2, v1, v2
	s_waitcnt vmcnt(0)
	ds_read_b64 v[8:9], v2 offset:28664
.LBB137_31:
	s_or_b64 exec, exec, s[52:53]
	s_waitcnt lgkmcnt(0)
	s_barrier
                                        ; implicit-def: $vgpr2_vgpr3
	s_and_saveexec_b64 s[30:31], vcc
	s_cbranch_execz .LBB137_136
; %bb.32:
	v_mov_b32_e32 v2, s35
	v_sub_co_u32_e32 v3, vcc, s34, v71
	s_nop 1
	v_subbrev_co_u32_e32 v4, vcc, 0, v2, vcc
	v_add_co_u32_e32 v2, vcc, -8, v3
	s_nop 1
	v_addc_co_u32_e32 v3, vcc, -1, v4, vcc
	flat_load_dwordx2 v[2:3], v[2:3]
	s_or_b64 exec, exec, s[30:31]
                                        ; implicit-def: $vgpr4_vgpr5
	s_and_saveexec_b64 s[30:31], s[28:29]
	s_cbranch_execnz .LBB137_137
.LBB137_33:
	s_or_b64 exec, exec, s[30:31]
                                        ; implicit-def: $vgpr6_vgpr7
	s_and_saveexec_b64 s[28:29], s[4:5]
	s_cbranch_execz .LBB137_138
.LBB137_34:
	v_mov_b32_e32 v6, s35
	v_sub_co_u32_e32 v7, vcc, s34, v31
	s_nop 1
	v_subbrev_co_u32_e32 v10, vcc, 0, v6, vcc
	v_add_co_u32_e32 v6, vcc, -8, v7
	s_nop 1
	v_addc_co_u32_e32 v7, vcc, -1, v10, vcc
	flat_load_dwordx2 v[6:7], v[6:7]
	s_or_b64 exec, exec, s[28:29]
                                        ; implicit-def: $vgpr10_vgpr11
	s_and_saveexec_b64 s[4:5], s[6:7]
	s_cbranch_execnz .LBB137_139
.LBB137_35:
	s_or_b64 exec, exec, s[4:5]
                                        ; implicit-def: $vgpr12_vgpr13
	s_and_saveexec_b64 s[4:5], s[8:9]
	s_cbranch_execz .LBB137_140
.LBB137_36:
	v_mov_b32_e32 v12, s35
	v_sub_co_u32_e32 v13, vcc, s34, v33
	s_nop 1
	v_subbrev_co_u32_e32 v14, vcc, 0, v12, vcc
	v_add_co_u32_e32 v12, vcc, -8, v13
	s_nop 1
	v_addc_co_u32_e32 v13, vcc, -1, v14, vcc
	flat_load_dwordx2 v[12:13], v[12:13]
	s_or_b64 exec, exec, s[4:5]
                                        ; implicit-def: $vgpr14_vgpr15
	s_and_saveexec_b64 s[4:5], s[10:11]
	s_cbranch_execnz .LBB137_141
.LBB137_37:
	s_or_b64 exec, exec, s[4:5]
                                        ; implicit-def: $vgpr16_vgpr17
	s_and_saveexec_b64 s[4:5], s[12:13]
	s_cbranch_execz .LBB137_142
.LBB137_38:
	v_mov_b32_e32 v16, s35
	v_sub_co_u32_e32 v17, vcc, s34, v63
	s_nop 1
	v_subbrev_co_u32_e32 v18, vcc, 0, v16, vcc
	v_add_co_u32_e32 v16, vcc, -8, v17
	s_nop 1
	v_addc_co_u32_e32 v17, vcc, -1, v18, vcc
	flat_load_dwordx2 v[16:17], v[16:17]
	s_or_b64 exec, exec, s[4:5]
                                        ; implicit-def: $vgpr18_vgpr19
	s_and_saveexec_b64 s[4:5], s[14:15]
	s_cbranch_execnz .LBB137_143
.LBB137_39:
	s_or_b64 exec, exec, s[4:5]
                                        ; implicit-def: $vgpr20_vgpr21
	s_and_saveexec_b64 s[4:5], s[16:17]
	s_cbranch_execz .LBB137_144
.LBB137_40:
	v_mov_b32_e32 v20, s35
	v_sub_co_u32_e32 v21, vcc, s34, v65
	s_nop 1
	v_subbrev_co_u32_e32 v22, vcc, 0, v20, vcc
	v_add_co_u32_e32 v20, vcc, -8, v21
	s_nop 1
	v_addc_co_u32_e32 v21, vcc, -1, v22, vcc
	flat_load_dwordx2 v[20:21], v[20:21]
	s_or_b64 exec, exec, s[4:5]
                                        ; implicit-def: $vgpr22_vgpr23
	s_and_saveexec_b64 s[4:5], s[18:19]
	s_cbranch_execnz .LBB137_145
.LBB137_41:
	s_or_b64 exec, exec, s[4:5]
                                        ; implicit-def: $vgpr24_vgpr25
	s_and_saveexec_b64 s[4:5], s[20:21]
	s_cbranch_execz .LBB137_146
.LBB137_42:
	v_mov_b32_e32 v24, s35
	v_sub_co_u32_e32 v25, vcc, s34, v67
	s_nop 1
	v_subbrev_co_u32_e32 v26, vcc, 0, v24, vcc
	v_add_co_u32_e32 v24, vcc, -8, v25
	s_nop 1
	v_addc_co_u32_e32 v25, vcc, -1, v26, vcc
	flat_load_dwordx2 v[24:25], v[24:25]
	s_or_b64 exec, exec, s[4:5]
                                        ; implicit-def: $vgpr26_vgpr27
	s_and_saveexec_b64 s[4:5], s[22:23]
	s_cbranch_execnz .LBB137_147
.LBB137_43:
	s_or_b64 exec, exec, s[4:5]
                                        ; implicit-def: $vgpr28_vgpr29
	s_and_saveexec_b64 s[4:5], s[24:25]
	s_cbranch_execz .LBB137_45
.LBB137_44:
	v_mov_b32_e32 v28, s35
	v_sub_co_u32_e32 v29, vcc, s34, v69
	s_nop 1
	v_subbrev_co_u32_e32 v30, vcc, 0, v28, vcc
	v_add_co_u32_e32 v28, vcc, -8, v29
	s_nop 1
	v_addc_co_u32_e32 v29, vcc, -1, v30, vcc
	flat_load_dwordx2 v[28:29], v[28:29]
.LBB137_45:
	s_or_b64 exec, exec, s[4:5]
	v_mul_u32_u24_e32 v86, 14, v0
                                        ; implicit-def: $vgpr30_vgpr31
	s_and_saveexec_b64 s[4:5], s[26:27]
	s_cbranch_execz .LBB137_47
; %bb.46:
	v_mov_b32_e32 v30, s35
	v_sub_co_u32_e32 v31, vcc, s34, v70
	s_nop 1
	v_subbrev_co_u32_e32 v32, vcc, 0, v30, vcc
	v_add_co_u32_e32 v30, vcc, -8, v31
	s_nop 1
	v_addc_co_u32_e32 v31, vcc, -1, v32, vcc
	flat_load_dwordx2 v[30:31], v[30:31]
.LBB137_47:
	s_or_b64 exec, exec, s[4:5]
	s_waitcnt vmcnt(0) lgkmcnt(0)
	ds_write2st64_b64 v71, v[2:3], v[4:5] offset1:4
	ds_write2st64_b64 v71, v[6:7], v[10:11] offset0:8 offset1:12
	ds_write2st64_b64 v71, v[12:13], v[14:15] offset0:16 offset1:20
	;; [unrolled: 1-line block ×6, first 2 shown]
	v_cmp_gt_u32_e32 vcc, s88, v86
	s_mov_b64 s[30:31], 0
	v_mov_b64_e32 v[90:91], 0
	v_mov_b32_e32 v77, 0
	s_mov_b64 s[6:7], 0
	v_mov_b32_e32 v78, 0
	v_mov_b64_e32 v[88:89], 0
	v_mov_b32_e32 v32, 0
	v_mov_b64_e32 v[94:95], 0
	;; [unrolled: 2-line block ×23, first 2 shown]
	v_mov_b32_e32 v71, 0
	s_waitcnt lgkmcnt(0)
	s_barrier
                                        ; implicit-def: $sgpr28_sgpr29
	s_and_saveexec_b64 s[52:53], vcc
	s_cbranch_execz .LBB137_73
; %bb.48:
	ds_read_b64 v[2:3], v1
	v_or_b32_e32 v4, 1, v86
	v_cmp_ne_u64_e32 vcc, v[8:9], v[58:59]
	v_cmp_gt_u32_e64 s[4:5], s88, v4
	v_mov_b64_e32 v[90:91], 0
	v_mov_b32_e32 v77, 0
	v_mov_b32_e32 v78, 0
	v_mov_b64_e32 v[88:89], 0
	v_mov_b32_e32 v32, 0
	v_mov_b64_e32 v[94:95], 0
	;; [unrolled: 2-line block ×22, first 2 shown]
                                        ; implicit-def: $sgpr28_sgpr29
	s_and_saveexec_b64 s[56:57], s[4:5]
	s_cbranch_execz .LBB137_72
; %bb.49:
	ds_read2_b64 v[6:9], v1 offset0:1 offset1:2
	v_add_u32_e32 v4, 2, v86
	v_cmp_ne_u64_e64 s[24:25], v[58:59], v[60:61]
	v_cmp_gt_u32_e64 s[4:5], s88, v4
	v_mov_b64_e32 v[90:91], 0
	v_mov_b32_e32 v77, 0
	v_mov_b32_e32 v78, 0
	v_mov_b64_e32 v[88:89], 0
	v_mov_b32_e32 v32, 0
	v_mov_b64_e32 v[94:95], 0
	;; [unrolled: 2-line block ×20, first 2 shown]
                                        ; implicit-def: $sgpr28_sgpr29
	s_and_saveexec_b64 s[60:61], s[4:5]
	s_cbranch_execz .LBB137_71
; %bb.50:
	v_add_u32_e32 v4, 3, v86
	v_cmp_ne_u64_e64 s[4:5], v[60:61], v[54:55]
	v_cmp_gt_u32_e64 s[6:7], s88, v4
	s_mov_b64 s[8:9], 0
	v_mov_b64_e32 v[90:91], 0
	v_mov_b32_e32 v77, 0
	v_mov_b32_e32 v78, 0
	v_mov_b64_e32 v[88:89], 0
	v_mov_b32_e32 v32, 0
	v_mov_b64_e32 v[94:95], 0
	;; [unrolled: 2-line block ×18, first 2 shown]
                                        ; implicit-def: $sgpr28_sgpr29
	s_and_saveexec_b64 s[66:67], s[6:7]
	s_cbranch_execz .LBB137_70
; %bb.51:
	ds_read2_b64 v[14:17], v1 offset0:3 offset1:4
	v_add_u32_e32 v4, 4, v86
	v_cmp_ne_u64_e64 s[6:7], v[54:55], v[56:57]
	v_cmp_gt_u32_e64 s[8:9], s88, v4
	s_mov_b64 s[10:11], 0
	v_mov_b64_e32 v[90:91], 0
	v_mov_b32_e32 v77, 0
	v_mov_b32_e32 v78, 0
	v_mov_b64_e32 v[88:89], 0
	v_mov_b32_e32 v32, 0
	v_mov_b64_e32 v[94:95], 0
	;; [unrolled: 2-line block ×16, first 2 shown]
                                        ; implicit-def: $sgpr28_sgpr29
	s_and_saveexec_b64 s[68:69], s[8:9]
	s_cbranch_execz .LBB137_69
; %bb.52:
	v_add_u32_e32 v4, 5, v86
	v_cmp_ne_u64_e64 s[8:9], v[56:57], v[50:51]
	v_cmp_gt_u32_e64 s[10:11], s88, v4
	s_mov_b64 s[12:13], 0
	v_mov_b64_e32 v[90:91], 0
	v_mov_b32_e32 v77, 0
	v_mov_b32_e32 v78, 0
	v_mov_b64_e32 v[88:89], 0
	v_mov_b32_e32 v32, 0
	v_mov_b64_e32 v[94:95], 0
	v_mov_b32_e32 v33, 0
	v_mov_b64_e32 v[92:93], 0
	v_mov_b32_e32 v79, 0
	v_mov_b64_e32 v[98:99], 0
	v_mov_b32_e32 v80, 0
	v_mov_b64_e32 v[96:97], 0
	v_mov_b32_e32 v81, 0
	v_mov_b64_e32 v[102:103], 0
	v_mov_b32_e32 v64, 0
	v_mov_b64_e32 v[10:11], 0
	v_mov_b32_e32 v66, 0
	v_mov_b64_e32 v[18:19], 0
	v_mov_b32_e32 v65, 0
	v_mov_b64_e32 v[20:21], 0
	v_mov_b32_e32 v67, 0
	v_mov_b64_e32 v[30:31], 0
	v_mov_b32_e32 v68, 0
	v_mov_b64_e32 v[62:63], 0
	v_mov_b32_e32 v69, 0
	v_mov_b64_e32 v[26:27], 0
	v_mov_b32_e32 v70, 0
	v_mov_b64_e32 v[28:29], 0
	v_mov_b32_e32 v72, 0
	v_mov_b64_e32 v[22:23], 0
                                        ; implicit-def: $sgpr28_sgpr29
	s_and_saveexec_b64 s[70:71], s[10:11]
	s_cbranch_execz .LBB137_68
; %bb.53:
	ds_read2_b64 v[22:25], v1 offset0:5 offset1:6
	v_add_u32_e32 v4, 6, v86
	v_cmp_ne_u64_e64 s[10:11], v[50:51], v[52:53]
	v_cmp_gt_u32_e64 s[12:13], s88, v4
	s_mov_b64 s[14:15], 0
	v_mov_b64_e32 v[90:91], 0
	v_mov_b32_e32 v77, 0
	v_mov_b32_e32 v78, 0
	v_mov_b64_e32 v[88:89], 0
	v_mov_b32_e32 v32, 0
	v_mov_b64_e32 v[94:95], 0
	;; [unrolled: 2-line block ×12, first 2 shown]
                                        ; implicit-def: $sgpr28_sgpr29
	s_and_saveexec_b64 s[72:73], s[12:13]
	s_cbranch_execz .LBB137_67
; %bb.54:
	v_add_u32_e32 v4, 7, v86
	v_cmp_ne_u64_e64 s[12:13], v[52:53], v[46:47]
	v_cmp_gt_u32_e64 s[14:15], s88, v4
	s_mov_b64 s[16:17], 0
	v_mov_b64_e32 v[90:91], 0
	v_mov_b32_e32 v77, 0
	v_mov_b32_e32 v78, 0
	v_mov_b64_e32 v[88:89], 0
	v_mov_b32_e32 v32, 0
	v_mov_b64_e32 v[94:95], 0
	;; [unrolled: 2-line block ×10, first 2 shown]
                                        ; implicit-def: $sgpr28_sgpr29
	s_and_saveexec_b64 s[74:75], s[14:15]
	s_cbranch_execz .LBB137_66
; %bb.55:
	ds_read2_b64 v[26:29], v1 offset0:7 offset1:8
	v_add_u32_e32 v4, 8, v86
	v_cmp_ne_u64_e64 s[14:15], v[46:47], v[48:49]
	v_cmp_gt_u32_e64 s[16:17], s88, v4
	s_mov_b64 s[18:19], 0
	v_mov_b64_e32 v[90:91], 0
	v_mov_b32_e32 v77, 0
	v_mov_b32_e32 v78, 0
	v_mov_b64_e32 v[88:89], 0
	v_mov_b32_e32 v32, 0
	v_mov_b64_e32 v[94:95], 0
	;; [unrolled: 2-line block ×8, first 2 shown]
                                        ; implicit-def: $sgpr28_sgpr29
	s_and_saveexec_b64 s[76:77], s[16:17]
	s_cbranch_execz .LBB137_65
; %bb.56:
	v_add_u32_e32 v4, 9, v86
	v_cmp_ne_u64_e64 s[16:17], v[48:49], v[42:43]
	v_cmp_gt_u32_e64 s[18:19], s88, v4
	s_mov_b64 s[20:21], 0
	v_mov_b64_e32 v[90:91], 0
	v_mov_b32_e32 v77, 0
	v_mov_b32_e32 v78, 0
	v_mov_b64_e32 v[88:89], 0
	v_mov_b32_e32 v32, 0
	v_mov_b64_e32 v[94:95], 0
	;; [unrolled: 2-line block ×6, first 2 shown]
                                        ; implicit-def: $sgpr28_sgpr29
	s_and_saveexec_b64 s[78:79], s[18:19]
	s_cbranch_execz .LBB137_64
; %bb.57:
	ds_read2_b64 v[30:33], v1 offset0:9 offset1:10
	v_add_u32_e32 v4, 10, v86
	v_cmp_ne_u64_e64 s[18:19], v[42:43], v[44:45]
	v_cmp_gt_u32_e64 s[20:21], s88, v4
	s_mov_b64 s[22:23], 0
	v_mov_b64_e32 v[90:91], 0
	v_mov_b32_e32 v77, 0
	v_mov_b32_e32 v78, 0
	v_mov_b64_e32 v[88:89], 0
	v_mov_b32_e32 v64, 0
	v_mov_b64_e32 v[10:11], 0
	v_mov_b64_e32 v[18:19], 0
	v_mov_b32_e32 v65, 0
	v_mov_b64_e32 v[20:21], 0
                                        ; implicit-def: $sgpr28_sgpr29
	s_and_saveexec_b64 s[80:81], s[20:21]
	s_cbranch_execz .LBB137_63
; %bb.58:
	v_add_u32_e32 v4, 11, v86
	v_cmp_ne_u64_e64 s[20:21], v[44:45], v[38:39]
	v_cmp_gt_u32_e64 s[22:23], s88, v4
	s_mov_b64 s[26:27], 0
	v_mov_b64_e32 v[18:19], 0
	v_mov_b32_e32 v77, 0
	v_mov_b32_e32 v64, 0
	v_mov_b64_e32 v[10:11], 0
                                        ; implicit-def: $sgpr28_sgpr29
	s_and_saveexec_b64 s[82:83], s[22:23]
	s_cbranch_execz .LBB137_62
; %bb.59:
	ds_read2_b64 v[18:21], v1 offset0:11 offset1:12
	v_add_u32_e32 v4, 12, v86
	v_cmp_ne_u64_e64 s[22:23], v[38:39], v[40:41]
	v_cmp_gt_u32_e64 s[26:27], s88, v4
	s_mov_b64 s[84:85], 0
	v_mov_b64_e32 v[10:11], 0
	v_mov_b32_e32 v64, 0
                                        ; implicit-def: $sgpr28_sgpr29
	s_and_saveexec_b64 s[86:87], s[26:27]
	s_xor_b64 s[86:87], exec, s[86:87]
	s_cbranch_execz .LBB137_61
; %bb.60:
	ds_read_b64 v[12:13], v1 offset:104
	v_cmp_ne_u64_e64 s[26:27], v[40:41], v[34:35]
	v_add_u32_e32 v1, 13, v86
	v_cmp_ne_u64_e64 s[28:29], v[34:35], v[36:37]
	v_cndmask_b32_e64 v64, 0, 1, s[26:27]
	v_cmp_gt_u32_e64 s[26:27], s88, v1
	s_and_b64 s[84:85], s[26:27], exec
	s_waitcnt lgkmcnt(1)
	v_mov_b64_e32 v[10:11], v[20:21]
.LBB137_61:
	s_or_b64 exec, exec, s[86:87]
	v_cndmask_b32_e64 v77, 0, 1, s[22:23]
	s_and_b64 s[26:27], s[84:85], exec
.LBB137_62:
	s_or_b64 exec, exec, s[82:83]
	v_cndmask_b32_e64 v78, 0, 1, s[20:21]
	s_and_b64 s[22:23], s[26:27], exec
	s_waitcnt lgkmcnt(0)
	v_mov_b64_e32 v[90:91], v[18:19]
	v_mov_b64_e32 v[88:89], v[32:33]
	v_mov_b32_e32 v65, v78
	v_mov_b64_e32 v[20:21], v[32:33]
.LBB137_63:
	s_or_b64 exec, exec, s[80:81]
	s_waitcnt lgkmcnt(0)
	v_cndmask_b32_e64 v32, 0, 1, s[18:19]
	s_and_b64 s[20:21], s[22:23], exec
	v_mov_b64_e32 v[94:95], v[30:31]
	v_mov_b32_e32 v66, v77
	v_mov_b32_e32 v67, v32
.LBB137_64:
	s_or_b64 exec, exec, s[78:79]
	v_cndmask_b32_e64 v33, 0, 1, s[16:17]
	s_and_b64 s[18:19], s[20:21], exec
	s_waitcnt lgkmcnt(0)
	v_mov_b64_e32 v[92:93], v[28:29]
	v_mov_b32_e32 v68, v33
	v_mov_b64_e32 v[62:63], v[28:29]
.LBB137_65:
	s_or_b64 exec, exec, s[76:77]
	v_cndmask_b32_e64 v79, 0, 1, s[14:15]
	s_and_b64 s[16:17], s[18:19], exec
	s_waitcnt lgkmcnt(0)
	v_mov_b64_e32 v[98:99], v[26:27]
	v_mov_b32_e32 v69, v79
.LBB137_66:
	s_or_b64 exec, exec, s[74:75]
	v_cndmask_b32_e64 v80, 0, 1, s[12:13]
	s_and_b64 s[14:15], s[16:17], exec
	s_waitcnt lgkmcnt(0)
	v_mov_b64_e32 v[96:97], v[24:25]
	v_mov_b32_e32 v70, v80
	v_mov_b64_e32 v[28:29], v[24:25]
.LBB137_67:
	s_or_b64 exec, exec, s[72:73]
	v_cndmask_b32_e64 v81, 0, 1, s[10:11]
	s_and_b64 s[12:13], s[14:15], exec
	s_waitcnt lgkmcnt(0)
	v_mov_b64_e32 v[102:103], v[22:23]
	v_mov_b32_e32 v72, v81
.LBB137_68:
	s_or_b64 exec, exec, s[70:71]
	v_cndmask_b32_e64 v82, 0, 1, s[8:9]
	s_and_b64 s[10:11], s[12:13], exec
	s_waitcnt lgkmcnt(0)
	v_mov_b64_e32 v[100:101], v[16:17]
	v_mov_b32_e32 v73, v82
	v_mov_b64_e32 v[24:25], v[16:17]
.LBB137_69:
	s_or_b64 exec, exec, s[68:69]
	v_cndmask_b32_e64 v83, 0, 1, s[6:7]
	s_and_b64 s[8:9], s[10:11], exec
	s_waitcnt lgkmcnt(0)
	v_mov_b64_e32 v[106:107], v[14:15]
	v_mov_b32_e32 v74, v83
.LBB137_70:
	s_or_b64 exec, exec, s[66:67]
	v_cndmask_b32_e64 v84, 0, 1, s[4:5]
	s_and_b64 s[6:7], s[8:9], exec
	s_waitcnt lgkmcnt(0)
	v_mov_b64_e32 v[104:105], v[8:9]
	v_mov_b32_e32 v75, v84
	v_mov_b64_e32 v[16:17], v[8:9]
.LBB137_71:
	s_or_b64 exec, exec, s[60:61]
	v_cndmask_b32_e64 v85, 0, 1, s[24:25]
	s_and_b64 s[6:7], s[6:7], exec
	s_waitcnt lgkmcnt(0)
	v_mov_b64_e32 v[4:5], v[6:7]
	v_mov_b32_e32 v76, v85
.LBB137_72:
	s_or_b64 exec, exec, s[56:57]
	v_cndmask_b32_e64 v87, 0, 1, vcc
	s_and_b64 s[6:7], s[6:7], exec
	v_mov_b32_e32 v71, v87
.LBB137_73:
	s_or_b64 exec, exec, s[52:53]
	s_and_b64 vcc, exec, s[30:31]
	v_lshlrev_b32_e32 v1, 3, v0
	v_cmp_ne_u32_e64 s[4:5], 0, v0
	s_cbranch_vccnz .LBB137_75
	s_branch .LBB137_78
.LBB137_74:
                                        ; implicit-def: $sgpr28_sgpr29
                                        ; implicit-def: $vgpr12_vgpr13
                                        ; implicit-def: $vgpr77
                                        ; implicit-def: $vgpr90_vgpr91
                                        ; implicit-def: $vgpr78
                                        ; implicit-def: $vgpr32
                                        ; implicit-def: $vgpr94_vgpr95
                                        ; implicit-def: $vgpr33
                                        ; implicit-def: $vgpr79
                                        ; implicit-def: $vgpr98_vgpr99
                                        ; implicit-def: $vgpr80
                                        ; implicit-def: $vgpr81
                                        ; implicit-def: $vgpr102_vgpr103
                                        ; implicit-def: $vgpr82
                                        ; implicit-def: $vgpr83
                                        ; implicit-def: $vgpr106_vgpr107
                                        ; implicit-def: $vgpr84
                                        ; implicit-def: $vgpr85
                                        ; implicit-def: $vgpr4_vgpr5
                                        ; implicit-def: $vgpr87
                                        ; implicit-def: $vgpr64
                                        ; implicit-def: $vgpr66
                                        ; implicit-def: $vgpr18_vgpr19
                                        ; implicit-def: $vgpr65
                                        ; implicit-def: $vgpr20_vgpr21
                                        ; implicit-def: $vgpr67
                                        ; implicit-def: $vgpr30_vgpr31
                                        ; implicit-def: $vgpr68
                                        ; implicit-def: $vgpr62_vgpr63
                                        ; implicit-def: $vgpr69
                                        ; implicit-def: $vgpr26_vgpr27
                                        ; implicit-def: $vgpr70
                                        ; implicit-def: $vgpr28_vgpr29
                                        ; implicit-def: $vgpr72
                                        ; implicit-def: $vgpr22_vgpr23
                                        ; implicit-def: $vgpr73
                                        ; implicit-def: $vgpr24_vgpr25
                                        ; implicit-def: $vgpr74
                                        ; implicit-def: $vgpr14_vgpr15
                                        ; implicit-def: $vgpr75
                                        ; implicit-def: $vgpr16_vgpr17
                                        ; implicit-def: $vgpr76
                                        ; implicit-def: $vgpr6_vgpr7
                                        ; implicit-def: $vgpr71
	s_and_b64 vcc, exec, s[30:31]
	v_lshlrev_b32_e32 v1, 3, v0
	v_cmp_ne_u32_e64 s[4:5], 0, v0
	s_cbranch_vccz .LBB137_78
.LBB137_75:
	s_waitcnt lgkmcnt(0)
	v_mov_b32_e32 v2, s47
	v_sub_co_u32_e32 v34, vcc, s3, v1
	s_add_u32 s8, s3, -8
	s_nop 0
	v_subbrev_co_u32_e32 v35, vcc, 0, v2, vcc
	v_add_co_u32_e32 v2, vcc, -8, v34
	s_addc_u32 s9, s47, -1
	s_nop 0
	v_addc_co_u32_e32 v3, vcc, -1, v35, vcc
	v_add_co_u32_e32 v4, vcc, 0xfffff7f8, v34
	s_lshl_b64 s[6:7], s[50:51], 3
	s_nop 0
	v_addc_co_u32_e32 v5, vcc, -1, v35, vcc
	v_add_co_u32_e32 v6, vcc, 0xffffeff8, v34
	s_add_u32 s6, s62, s6
	s_nop 0
	v_addc_co_u32_e32 v7, vcc, -1, v35, vcc
	v_add_co_u32_e32 v8, vcc, 0xffffe7f8, v34
	s_addc_u32 s7, s63, s7
	s_nop 0
	v_addc_co_u32_e32 v9, vcc, -1, v35, vcc
	flat_load_dwordx2 v[10:11], v[2:3]
	flat_load_dwordx2 v[12:13], v[4:5]
	;; [unrolled: 1-line block ×4, first 2 shown]
	v_add_co_u32_e32 v2, vcc, 0xffffdff8, v34
	s_add_u32 s10, s6, -8
	s_nop 0
	v_addc_co_u32_e32 v3, vcc, -1, v35, vcc
	v_add_co_u32_e32 v4, vcc, 0xffffd7f8, v34
	s_addc_u32 s11, s7, -1
	s_nop 0
	v_addc_co_u32_e32 v5, vcc, -1, v35, vcc
	v_add_co_u32_e32 v6, vcc, 0xffffcff8, v34
	s_and_b64 s[6:7], s[36:37], exec
	s_nop 0
	v_addc_co_u32_e32 v7, vcc, -1, v35, vcc
	v_add_co_u32_e32 v8, vcc, 0xffffc7f8, v34
	s_cselect_b32 s3, s3, s10
	s_nop 0
	v_addc_co_u32_e32 v9, vcc, -1, v35, vcc
	flat_load_dwordx2 v[18:19], v[2:3]
	flat_load_dwordx2 v[20:21], v[4:5]
	;; [unrolled: 1-line block ×4, first 2 shown]
	v_add_co_u32_e32 v2, vcc, 0xffffbff8, v34
	s_cselect_b32 s6, s47, s11
	s_nop 0
	v_addc_co_u32_e32 v3, vcc, -1, v35, vcc
	v_add_co_u32_e32 v4, vcc, 0xffffb7f8, v34
	s_cmp_eq_u64 s[50:51], 0
	s_nop 0
	v_addc_co_u32_e32 v5, vcc, -1, v35, vcc
	v_add_co_u32_e32 v6, vcc, 0xffffaff8, v34
	s_cselect_b32 s6, s9, s6
	s_nop 0
	v_addc_co_u32_e32 v7, vcc, -1, v35, vcc
	v_add_co_u32_e32 v8, vcc, 0xffffa7f8, v34
	s_cselect_b32 s3, s8, s3
	s_nop 0
	v_addc_co_u32_e32 v9, vcc, -1, v35, vcc
	flat_load_dwordx2 v[26:27], v[2:3]
	flat_load_dwordx2 v[28:29], v[4:5]
	;; [unrolled: 1-line block ×4, first 2 shown]
	v_add_co_u32_e32 v2, vcc, 0xffff9ff8, v34
	s_movk_i32 s13, 0xf7f8
	s_nop 0
	v_addc_co_u32_e32 v3, vcc, -1, v35, vcc
	v_add_co_u32_e32 v4, vcc, 0xffff97f8, v34
	s_movk_i32 s12, 0xe7f8
	s_nop 0
	v_addc_co_u32_e32 v5, vcc, -1, v35, vcc
	flat_load_dwordx2 v[6:7], v[2:3]
	flat_load_dwordx2 v[8:9], v[4:5]
	v_mov_b32_e32 v2, s3
	v_mov_b32_e32 v3, s6
	s_movk_i32 s11, 0xd7f8
	s_movk_i32 s10, 0xc7f8
	;; [unrolled: 1-line block ×5, first 2 shown]
	s_waitcnt vmcnt(0) lgkmcnt(0)
	ds_write2st64_b64 v1, v[10:11], v[12:13] offset1:4
	ds_write2st64_b64 v1, v[14:15], v[16:17] offset0:8 offset1:12
	ds_write2st64_b64 v1, v[18:19], v[20:21] offset0:16 offset1:20
	;; [unrolled: 1-line block ×6, first 2 shown]
	s_waitcnt lgkmcnt(0)
	s_barrier
	flat_load_dwordx2 v[30:31], v[2:3]
	v_sub_co_u32_e32 v32, vcc, 0, v0
	s_nop 1
	v_subb_co_u32_e64 v33, s[6:7], 0, 0, vcc
	s_movk_i32 s6, 0x68
	s_nop 0
	v_mad_u32_u24 v34, v0, s6, v1
	ds_read_b128 v[2:5], v34
	ds_read_b128 v[6:9], v34 offset:16
	ds_read_b128 v[10:13], v34 offset:32
	;; [unrolled: 1-line block ×6, first 2 shown]
	s_movk_i32 s6, 0xff98
	v_mad_i32_i24 v35, v0, s6, v34
	s_waitcnt lgkmcnt(0)
	ds_write_b64 v35, v[28:29] offset:28672
	s_waitcnt lgkmcnt(0)
	s_barrier
	s_and_saveexec_b64 s[6:7], s[4:5]
	s_cbranch_execz .LBB137_77
; %bb.76:
	s_waitcnt vmcnt(0)
	v_mul_i32_i24_e32 v30, 0xffffff98, v0
	v_add_u32_e32 v30, v34, v30
	ds_read_b64 v[30:31], v30 offset:28664
.LBB137_77:
	s_or_b64 exec, exec, s[6:7]
	v_lshl_add_u64 v[32:33], v[32:33], 3, s[34:35]
	v_add_co_u32_e32 v36, vcc, s13, v32
	s_waitcnt lgkmcnt(0)
	s_nop 0
	v_addc_co_u32_e32 v37, vcc, -1, v33, vcc
	v_add_co_u32_e32 v38, vcc, s12, v32
	s_barrier
	s_nop 0
	v_addc_co_u32_e32 v39, vcc, -1, v33, vcc
	flat_load_dwordx2 v[40:41], v[36:37] offset:2048
	flat_load_dwordx2 v[42:43], v[38:39] offset:2048
	flat_load_dwordx2 v[44:45], v[38:39]
	flat_load_dwordx2 v[46:47], v[36:37]
	v_add_co_u32_e32 v36, vcc, s11, v32
	v_cmp_ne_u64_e64 s[28:29], v[26:27], v[28:29]
	s_nop 0
	v_addc_co_u32_e32 v37, vcc, -1, v33, vcc
	v_add_co_u32_e32 v38, vcc, s10, v32
	s_mov_b64 s[6:7], -1
	s_nop 0
	v_addc_co_u32_e32 v39, vcc, -1, v33, vcc
	flat_load_dwordx2 v[48:49], v[36:37] offset:2048
	flat_load_dwordx2 v[50:51], v[38:39] offset:2048
	flat_load_dwordx2 v[52:53], v[38:39]
	flat_load_dwordx2 v[54:55], v[36:37]
	v_add_co_u32_e32 v36, vcc, s9, v32
	s_nop 1
	v_addc_co_u32_e32 v37, vcc, -1, v33, vcc
	v_add_co_u32_e32 v38, vcc, s8, v32
	s_nop 1
	v_addc_co_u32_e32 v39, vcc, -1, v33, vcc
	v_add_co_u32_e32 v32, vcc, s3, v32
	flat_load_dwordx2 v[56:57], v[36:37] offset:2048
	flat_load_dwordx2 v[58:59], v[38:39] offset:2048
	flat_load_dwordx2 v[60:61], v[38:39]
	flat_load_dwordx2 v[62:63], v[36:37]
	v_addc_co_u32_e32 v33, vcc, -1, v33, vcc
	flat_load_dwordx2 v[36:37], v[32:33] offset:2048
	flat_load_dwordx2 v[38:39], v[32:33]
	v_cmp_ne_u64_e32 vcc, v[24:25], v[26:27]
	s_waitcnt vmcnt(0) lgkmcnt(0)
	ds_write2st64_b64 v1, v[40:41], v[46:47] offset1:4
	ds_write2st64_b64 v1, v[42:43], v[44:45] offset0:8 offset1:12
	ds_write2st64_b64 v1, v[48:49], v[54:55] offset0:16 offset1:20
	;; [unrolled: 1-line block ×6, first 2 shown]
	v_cndmask_b32_e64 v64, 0, 1, vcc
	v_cmp_ne_u64_e32 vcc, v[22:23], v[24:25]
	s_waitcnt lgkmcnt(0)
	s_barrier
	v_cndmask_b32_e64 v77, 0, 1, vcc
	v_cmp_ne_u64_e32 vcc, v[20:21], v[22:23]
	v_mov_b32_e32 v66, v77
	s_nop 0
	v_cndmask_b32_e64 v78, 0, 1, vcc
	v_cmp_ne_u64_e32 vcc, v[18:19], v[20:21]
	v_mov_b32_e32 v65, v78
	s_nop 0
	;; [unrolled: 4-line block ×10, first 2 shown]
	v_cndmask_b32_e64 v85, 0, 1, vcc
	v_cmp_ne_u64_e32 vcc, v[30:31], v[2:3]
	ds_read_b128 v[2:5], v34
	ds_read_b128 v[104:107], v34 offset:16
	ds_read_b128 v[92:95], v34 offset:64
	ds_read_b128 v[88:91], v34 offset:80
	ds_read_b128 v[100:103], v34 offset:32
	ds_read_b128 v[96:99], v34 offset:48
	ds_read_b128 v[10:13], v34 offset:96
	v_cndmask_b32_e64 v87, 0, 1, vcc
	s_waitcnt lgkmcnt(3)
	v_mov_b64_e32 v[18:19], v[90:91]
	v_mov_b64_e32 v[20:21], v[88:89]
	v_mov_b64_e32 v[30:31], v[94:95]
	v_mov_b64_e32 v[62:63], v[92:93]
	s_waitcnt lgkmcnt(1)
	v_mov_b64_e32 v[26:27], v[98:99]
	v_mov_b64_e32 v[28:29], v[96:97]
	;; [unrolled: 1-line block ×6, first 2 shown]
	v_mov_b32_e32 v76, v85
	v_mov_b64_e32 v[6:7], v[4:5]
	v_mov_b32_e32 v71, v87
.LBB137_78:
	v_mov_b32_e32 v60, 0
	v_mov_b64_e32 v[8:9], 0
	s_and_saveexec_b64 s[4:5], s[6:7]
	s_cbranch_execz .LBB137_80
; %bb.79:
	v_cndmask_b32_e64 v60, 0, 1, s[28:29]
	v_mov_b32_e32 v71, v87
	v_mov_b64_e32 v[6:7], v[4:5]
	v_mov_b32_e32 v76, v85
	v_mov_b64_e32 v[16:17], v[104:105]
	;; [unrolled: 2-line block ×11, first 2 shown]
	v_mov_b32_e32 v66, v77
	s_waitcnt lgkmcnt(0)
	v_mov_b64_e32 v[8:9], v[12:13]
.LBB137_80:
	s_or_b64 exec, exec, s[4:5]
	v_and_b32_e32 v80, 1, v75
	v_and_b32_e32 v79, 1, v72
	;; [unrolled: 1-line block ×4, first 2 shown]
	s_cmp_lg_u32 s2, 0
	v_cmp_eq_u32_e64 s[8:9], 1, v80
	v_cmp_eq_u32_e64 s[14:15], 1, v79
	;; [unrolled: 1-line block ×4, first 2 shown]
	v_cmp_eq_u16_e64 s[34:35], 0, v60
	v_lshrrev_b32_e32 v61, 1, v0
	v_cmp_gt_u32_e32 vcc, 64, v0
	s_waitcnt lgkmcnt(0)
	s_barrier
	s_cbranch_scc0 .LBB137_148
; %bb.81:
	v_mov_b32_e32 v12, 0
	v_cmp_gt_i64_e64 s[4:5], v[6:7], v[2:3]
	s_movk_i32 s3, 0xff
	v_bitop3_b16 v13, v76, s3, v71 bitop3:0xc8
	v_cndmask_b32_e64 v4, v2, v6, s[4:5]
	v_cndmask_b32_e64 v5, v3, v7, s[4:5]
	v_cmp_eq_u16_sdwa s[4:5], v76, v12 src0_sel:BYTE_0 src1_sel:DWORD
	v_cmp_ne_u16_e64 s[10:11], 0, v13
	s_or_b64 s[30:31], s[10:11], s[8:9]
	v_cndmask_b32_e64 v5, v7, v5, s[4:5]
	v_cndmask_b32_e64 v4, v6, v4, s[4:5]
	v_cmp_gt_i64_e64 s[6:7], v[16:17], v[4:5]
	v_bitop3_b16 v13, v73, s3, v74 bitop3:0xc8
	v_cmp_ne_u16_e64 s[16:17], 0, v13
	v_cndmask_b32_e64 v4, v4, v16, s[6:7]
	v_cndmask_b32_e64 v5, v5, v17, s[6:7]
	v_cmp_eq_u16_sdwa s[6:7], v75, v12 src0_sel:BYTE_0 src1_sel:DWORD
	s_or_b64 s[36:37], s[16:17], s[14:15]
	v_bitop3_b16 v13, v69, s3, v70 bitop3:0xc8
	v_cndmask_b32_e64 v5, v17, v5, s[6:7]
	v_cndmask_b32_e64 v4, v16, v4, s[6:7]
	v_cmp_gt_i64_e64 s[8:9], v[14:15], v[4:5]
	v_cmp_ne_u16_e64 s[22:23], 0, v13
	s_or_b64 s[50:51], s[22:23], s[20:21]
	v_cndmask_b32_e64 v4, v4, v14, s[8:9]
	v_cndmask_b32_e64 v5, v5, v15, s[8:9]
	v_cmp_eq_u16_sdwa s[8:9], v74, v12 src0_sel:BYTE_0 src1_sel:DWORD
	v_bitop3_b16 v13, v65, s3, v67 bitop3:0xc8
	v_cmp_ne_u16_e64 s[28:29], 0, v13
	v_cndmask_b32_e64 v5, v15, v5, s[8:9]
	v_cndmask_b32_e64 v4, v14, v4, s[8:9]
	v_cmp_gt_i64_e64 s[10:11], v[24:25], v[4:5]
	s_or_b64 s[52:53], s[28:29], s[26:27]
	s_nop 0
	v_cndmask_b32_e64 v4, v4, v24, s[10:11]
	v_cndmask_b32_e64 v5, v5, v25, s[10:11]
	v_cmp_eq_u16_sdwa s[10:11], v73, v12 src0_sel:BYTE_0 src1_sel:DWORD
	s_nop 1
	v_cndmask_b32_e64 v5, v25, v5, s[10:11]
	v_cndmask_b32_e64 v4, v24, v4, s[10:11]
	v_cmp_gt_i64_e64 s[12:13], v[22:23], v[4:5]
	s_nop 1
	v_cndmask_b32_e64 v4, v4, v22, s[12:13]
	v_cndmask_b32_e64 v5, v5, v23, s[12:13]
	v_cmp_eq_u16_sdwa s[12:13], v72, v12 src0_sel:BYTE_0 src1_sel:DWORD
	s_nop 1
	v_cndmask_b32_e64 v5, v23, v5, s[12:13]
	v_cndmask_b32_e64 v4, v22, v4, s[12:13]
	v_cmp_gt_i64_e64 s[14:15], v[28:29], v[4:5]
	;; [unrolled: 8-line block ×8, first 2 shown]
	s_nop 1
	v_cndmask_b32_e64 v4, v4, v10, s[26:27]
	v_cndmask_b32_e64 v5, v5, v11, s[26:27]
	v_cmp_eq_u16_sdwa s[26:27], v64, v12 src0_sel:BYTE_0 src1_sel:DWORD
	v_bitop3_b16 v12, v60, s3, v64 bitop3:0xc8
	s_nop 0
	v_cndmask_b32_e64 v5, v11, v5, s[26:27]
	v_cndmask_b32_e64 v4, v10, v4, s[26:27]
	v_cmp_gt_i64_e64 s[28:29], v[8:9], v[4:5]
	s_nop 1
	v_cndmask_b32_e64 v4, v4, v8, s[28:29]
	v_cndmask_b32_e64 v5, v5, v9, s[28:29]
	v_cmp_ne_u16_e64 s[28:29], 0, v12
	s_or_b64 s[28:29], s[28:29], s[52:53]
	s_or_b64 s[28:29], s[28:29], s[50:51]
	;; [unrolled: 1-line block ×4, first 2 shown]
	v_and_b32_e32 v12, 0x70, v61
	v_cndmask_b32_e64 v5, v9, v5, s[34:35]
	v_cndmask_b32_e64 v4, v8, v4, s[34:35]
	;; [unrolled: 1-line block ×3, first 2 shown]
	v_lshl_add_u32 v12, v0, 4, v12
	ds_write_b64 v12, v[4:5]
	ds_write_b8 v12, v38 offset:8
	s_waitcnt lgkmcnt(0)
	s_barrier
	s_and_saveexec_b64 s[36:37], vcc
	s_cbranch_execz .LBB137_95
; %bb.82:
	v_lshlrev_b32_e32 v12, 1, v0
	v_and_b32_e32 v12, 0x1f0, v12
	v_lshlrev_b32_e32 v13, 6, v0
	v_add_u32_e32 v37, v12, v13
	ds_read2_b64 v[32:35], v37 offset0:2 offset1:4
	ds_read_b64 v[12:13], v37
	ds_read_b32 v39, v37 offset:8
	ds_read_u8 v36, v37 offset:24
	ds_read_u8 v42, v37 offset:40
	ds_read_b64 v[40:41], v37 offset:48
	ds_read_u8 v43, v37 offset:56
	s_waitcnt lgkmcnt(4)
	v_and_b32_e32 v44, 1, v39
	v_cmp_gt_i64_e64 s[30:31], v[32:33], v[12:13]
	v_cmp_eq_u32_e64 s[28:29], 1, v44
	s_nop 0
	v_cndmask_b32_e64 v44, v12, v32, s[30:31]
	v_cndmask_b32_e64 v45, v13, v33, s[30:31]
	s_waitcnt lgkmcnt(3)
	v_cmp_eq_u16_e64 s[30:31], 0, v36
	s_nop 1
	v_cndmask_b32_e64 v33, v33, v45, s[30:31]
	v_cndmask_b32_e64 v32, v32, v44, s[30:31]
	v_cmp_gt_i64_e64 s[30:31], v[34:35], v[32:33]
	s_nop 1
	v_cndmask_b32_e64 v32, v32, v34, s[30:31]
	v_cndmask_b32_e64 v33, v33, v35, s[30:31]
	s_waitcnt lgkmcnt(2)
	v_cmp_eq_u16_e64 s[30:31], 0, v42
	s_nop 1
	v_cndmask_b32_e64 v33, v35, v33, s[30:31]
	v_cndmask_b32_e64 v32, v34, v32, s[30:31]
	s_waitcnt lgkmcnt(1)
	v_cmp_gt_i64_e64 s[30:31], v[40:41], v[32:33]
	s_waitcnt lgkmcnt(0)
	v_bitop3_b16 v34, v42, v43, v36 bitop3:0xfe
	v_and_b32_e32 v34, 1, v34
	v_cndmask_b32_e64 v32, v32, v40, s[30:31]
	v_cndmask_b32_e64 v33, v33, v41, s[30:31]
	v_cmp_eq_u16_e64 s[30:31], 0, v43
	s_nop 1
	v_cndmask_b32_e64 v33, v41, v33, s[30:31]
	v_cndmask_b32_e64 v32, v40, v32, s[30:31]
	v_cmp_eq_u32_e64 s[30:31], 1, v34
	s_or_b64 s[30:31], s[30:31], s[28:29]
	v_mbcnt_lo_u32_b32 v34, -1, 0
	v_mbcnt_hi_u32_b32 v41, -1, v34
	v_and_b32_e32 v40, 0xffffff00, v39
	v_cndmask_b32_e64 v35, 0, 1, s[30:31]
	v_and_b32_e32 v43, 15, v41
	v_or_b32_e32 v35, v40, v35
	v_cndmask_b32_e64 v42, 0, 1, s[30:31]
	v_mov_b32_dpp v34, v32 row_shr:1 row_mask:0xf bank_mask:0xf
	v_mov_b32_dpp v36, v33 row_shr:1 row_mask:0xf bank_mask:0xf
	;; [unrolled: 1-line block ×3, first 2 shown]
	v_cmp_ne_u32_e64 s[28:29], 0, v43
	s_and_saveexec_b64 s[52:53], s[28:29]
; %bb.83:
	v_mov_b32_e32 v35, v36
	v_cmp_gt_i64_e64 s[28:29], v[32:33], v[34:35]
	s_or_b64 s[28:29], s[30:31], s[28:29]
	v_bitop3_b16 v42, v44, v42, 1 bitop3:0xec
	v_cndmask_b32_e64 v33, v36, v33, s[28:29]
	v_cndmask_b32_e64 v32, v34, v32, s[28:29]
	v_or_b32_sdwa v35, v40, v42 dst_sel:DWORD dst_unused:UNUSED_PAD src0_sel:DWORD src1_sel:WORD_0
; %bb.84:
	s_or_b64 exec, exec, s[52:53]
	v_mov_b32_dpp v34, v32 row_shr:2 row_mask:0xf bank_mask:0xf
	v_mov_b32_dpp v36, v33 row_shr:2 row_mask:0xf bank_mask:0xf
	v_mov_b32_dpp v44, v35 row_shr:2 row_mask:0xf bank_mask:0xf
	v_cmp_lt_u32_e64 s[28:29], 1, v43
	s_and_saveexec_b64 s[52:53], s[28:29]
	s_cbranch_execz .LBB137_86
; %bb.85:
	v_mov_b32_e32 v35, v36
	v_cmp_gt_i64_e64 s[28:29], v[32:33], v[34:35]
	s_nop 1
	v_cndmask_b32_e64 v35, v36, v33, s[28:29]
	v_cndmask_b32_e64 v34, v34, v32, s[28:29]
	v_cmp_eq_u16_e64 s[28:29], 0, v42
	s_nop 1
	v_cndmask_b32_e64 v32, v32, v34, s[28:29]
	v_and_b32_e32 v34, 1, v42
	v_cndmask_b32_e64 v33, v33, v35, s[28:29]
	v_cmp_eq_u32_e64 s[28:29], 1, v34
	v_and_b32_e32 v34, 1, v44
	v_cmp_eq_u32_e64 s[30:31], 1, v34
	s_or_b64 s[28:29], s[28:29], s[30:31]
	v_cndmask_b32_e64 v34, 0, 1, s[28:29]
	v_cndmask_b32_e64 v42, 0, 1, s[28:29]
	v_or_b32_e32 v35, v40, v34
.LBB137_86:
	s_or_b64 exec, exec, s[52:53]
	v_mov_b32_dpp v34, v32 row_shr:4 row_mask:0xf bank_mask:0xf
	v_mov_b32_dpp v36, v33 row_shr:4 row_mask:0xf bank_mask:0xf
	v_mov_b32_dpp v44, v35 row_shr:4 row_mask:0xf bank_mask:0xf
	v_cmp_lt_u32_e64 s[28:29], 3, v43
	s_and_saveexec_b64 s[52:53], s[28:29]
	s_cbranch_execz .LBB137_88
; %bb.87:
	v_mov_b32_e32 v35, v36
	v_cmp_gt_i64_e64 s[28:29], v[32:33], v[34:35]
	s_nop 1
	v_cndmask_b32_e64 v35, v36, v33, s[28:29]
	v_cndmask_b32_e64 v34, v34, v32, s[28:29]
	v_cmp_eq_u16_e64 s[28:29], 0, v42
	s_nop 1
	v_cndmask_b32_e64 v32, v32, v34, s[28:29]
	v_and_b32_e32 v34, 1, v42
	v_cndmask_b32_e64 v33, v33, v35, s[28:29]
	v_cmp_eq_u32_e64 s[28:29], 1, v34
	v_and_b32_e32 v34, 1, v44
	v_cmp_eq_u32_e64 s[30:31], 1, v34
	s_or_b64 s[28:29], s[28:29], s[30:31]
	v_cndmask_b32_e64 v34, 0, 1, s[28:29]
	v_cndmask_b32_e64 v42, 0, 1, s[28:29]
	v_or_b32_e32 v35, v40, v34
.LBB137_88:
	;; [unrolled: 26-line block ×3, first 2 shown]
	s_or_b64 exec, exec, s[52:53]
	v_and_b32_e32 v44, 16, v41
	v_mov_b32_dpp v34, v32 row_bcast:15 row_mask:0xf bank_mask:0xf
	v_mov_b32_dpp v36, v33 row_bcast:15 row_mask:0xf bank_mask:0xf
	;; [unrolled: 1-line block ×3, first 2 shown]
	v_cmp_ne_u32_e64 s[28:29], 0, v44
	s_and_saveexec_b64 s[52:53], s[28:29]
	s_cbranch_execz .LBB137_92
; %bb.91:
	v_mov_b32_e32 v35, v36
	v_cmp_gt_i64_e64 s[28:29], v[32:33], v[34:35]
	s_nop 1
	v_cndmask_b32_e64 v35, v36, v33, s[28:29]
	v_cndmask_b32_e64 v34, v34, v32, s[28:29]
	v_cmp_eq_u16_e64 s[28:29], 0, v42
	s_nop 1
	v_cndmask_b32_e64 v32, v32, v34, s[28:29]
	v_and_b32_e32 v34, 1, v42
	v_cndmask_b32_e64 v33, v33, v35, s[28:29]
	v_cmp_eq_u32_e64 s[28:29], 1, v34
	v_and_b32_e32 v34, 1, v43
	v_cmp_eq_u32_e64 s[30:31], 1, v34
	s_or_b64 s[28:29], s[28:29], s[30:31]
	v_cndmask_b32_e64 v34, 0, 1, s[28:29]
	v_cndmask_b32_e64 v42, 0, 1, s[28:29]
	v_or_b32_e32 v35, v40, v34
.LBB137_92:
	s_or_b64 exec, exec, s[52:53]
	v_mov_b32_dpp v34, v32 row_bcast:31 row_mask:0xf bank_mask:0xf
	v_mov_b32_dpp v36, v33 row_bcast:31 row_mask:0xf bank_mask:0xf
	;; [unrolled: 1-line block ×3, first 2 shown]
	v_cmp_lt_u32_e64 s[28:29], 31, v41
	s_and_saveexec_b64 s[52:53], s[28:29]
	s_cbranch_execz .LBB137_94
; %bb.93:
	v_mov_b32_e32 v35, v36
	v_cmp_gt_i64_e64 s[28:29], v[32:33], v[34:35]
	s_nop 1
	v_cndmask_b32_e64 v35, v36, v33, s[28:29]
	v_cndmask_b32_e64 v34, v34, v32, s[28:29]
	v_cmp_eq_u16_e64 s[28:29], 0, v42
	s_nop 1
	v_cndmask_b32_e64 v32, v32, v34, s[28:29]
	v_and_b32_e32 v34, 1, v42
	v_cndmask_b32_e64 v33, v33, v35, s[28:29]
	v_cmp_eq_u32_e64 s[28:29], 1, v34
	v_and_b32_e32 v34, 1, v43
	v_cmp_eq_u32_e64 s[30:31], 1, v34
	s_or_b64 s[28:29], s[28:29], s[30:31]
	v_cndmask_b32_e64 v42, 0, 1, s[28:29]
.LBB137_94:
	s_or_b64 exec, exec, s[52:53]
	v_add_u32_e32 v34, -1, v41
	v_and_b32_e32 v35, 64, v41
	v_cmp_lt_i32_e64 s[28:29], v34, v35
	v_mov_b32_e32 v36, 0
	s_nop 0
	v_cndmask_b32_e64 v34, v34, v41, s[28:29]
	v_lshlrev_b32_e32 v35, 2, v34
	ds_bpermute_b32 v34, v35, v33
	ds_bpermute_b32 v32, v35, v32
	v_or_b32_sdwa v33, v40, v42 dst_sel:DWORD dst_unused:UNUSED_PAD src0_sel:DWORD src1_sel:WORD_0
	ds_bpermute_b32 v35, v35, v33
	; wave barrier
	s_waitcnt lgkmcnt(2)
	v_mov_b32_e32 v33, v34
	s_waitcnt lgkmcnt(1)
	v_cmp_gt_i64_e64 s[28:29], v[12:13], v[32:33]
	s_nop 1
	v_cndmask_b32_e64 v33, v34, v13, s[28:29]
	v_cndmask_b32_e64 v32, v32, v12, s[28:29]
	v_cmp_eq_u32_sdwa s[28:29], v39, v36 src0_sel:BYTE_0 src1_sel:DWORD
	s_nop 1
	v_cndmask_b32_e64 v12, v12, v32, s[28:29]
	v_cndmask_b32_e64 v13, v13, v33, s[28:29]
	s_waitcnt lgkmcnt(0)
	v_or_b32_e32 v32, v35, v39
	v_cmp_eq_u32_e64 s[28:29], 0, v0
	v_and_b32_e32 v32, 1, v32
	s_nop 0
	v_cndmask_b32_e64 v13, v13, v5, s[28:29]
	v_cndmask_b32_e64 v12, v12, v4, s[28:29]
	;; [unrolled: 1-line block ×3, first 2 shown]
	ds_write_b64 v37, v[12:13]
	ds_write_b8 v37, v40 offset:8
	; wave barrier
	ds_read2_b64 v[32:35], v37 offset0:2 offset1:4
	ds_read_u8 v41, v37 offset:24
	ds_read_u8 v42, v37 offset:40
	ds_read_b64 v[38:39], v37 offset:48
	ds_read_u8 v43, v37 offset:56
	s_waitcnt lgkmcnt(4)
	v_cmp_gt_i64_e64 s[28:29], v[32:33], v[12:13]
	s_waitcnt lgkmcnt(3)
	v_or_b32_e32 v44, v41, v40
	v_cndmask_b32_e64 v12, v12, v32, s[28:29]
	v_cndmask_b32_e64 v13, v13, v33, s[28:29]
	v_cmp_eq_u16_sdwa s[28:29], v41, v36 src0_sel:BYTE_0 src1_sel:DWORD
	s_nop 1
	v_cndmask_b32_e64 v13, v33, v13, s[28:29]
	v_cndmask_b32_e64 v12, v32, v12, s[28:29]
	v_bitop3_b16 v32, v41, 1, v40 bitop3:0xc8
	v_cmp_gt_i64_e64 s[28:29], v[34:35], v[12:13]
	ds_write_b8 v37, v32 offset:24
	s_nop 0
	v_cndmask_b32_e64 v32, v12, v34, s[28:29]
	v_cndmask_b32_e64 v33, v13, v35, s[28:29]
	s_waitcnt lgkmcnt(3)
	v_cmp_eq_u16_sdwa s[28:29], v42, v36 src0_sel:BYTE_0 src1_sel:DWORD
	s_nop 1
	v_cndmask_b32_e64 v33, v35, v33, s[28:29]
	v_cndmask_b32_e64 v32, v34, v32, s[28:29]
	s_waitcnt lgkmcnt(2)
	v_cmp_gt_i64_e64 s[28:29], v[38:39], v[32:33]
	v_bitop3_b16 v35, v42, 1, v44 bitop3:0xc8
	ds_write2_b64 v37, v[12:13], v[32:33] offset0:2 offset1:4
	ds_write_b8 v37, v35 offset:40
	v_cndmask_b32_e64 v12, v32, v38, s[28:29]
	v_cndmask_b32_e64 v13, v33, v39, s[28:29]
	s_waitcnt lgkmcnt(3)
	v_cmp_eq_u16_e64 s[28:29], 0, v43
	v_bitop3_b16 v34, v42, v41, v40 bitop3:0xfe
	v_bitop3_b16 v32, v43, 1, v34 bitop3:0xc8
	v_cndmask_b32_e64 v13, v39, v13, s[28:29]
	v_cndmask_b32_e64 v12, v38, v12, s[28:29]
	ds_write_b64 v37, v[12:13] offset:48
	ds_write_b8 v37, v32 offset:56
.LBB137_95:
	s_or_b64 exec, exec, s[36:37]
	v_cmp_eq_u32_e64 s[28:29], 0, v0
	v_cmp_ne_u32_e64 s[30:31], 0, v0
	s_waitcnt lgkmcnt(0)
	s_barrier
	s_and_saveexec_b64 s[36:37], s[30:31]
	s_cbranch_execz .LBB137_97
; %bb.96:
	v_add_u32_e32 v4, -1, v0
	v_lshrrev_b32_e32 v5, 1, v4
	v_and_b32_e32 v5, 0x7ffffff0, v5
	v_lshl_add_u32 v4, v4, 4, v5
	ds_read_u8 v12, v4 offset:8
	ds_read_b64 v[4:5], v4
	s_andn2_b64 s[50:51], s[50:51], exec
	s_waitcnt lgkmcnt(1)
	v_and_b32_e32 v12, 1, v12
	v_cmp_eq_u32_e64 s[30:31], 1, v12
	s_and_b64 s[30:31], s[30:31], exec
	s_or_b64 s[50:51], s[50:51], s[30:31]
.LBB137_97:
	s_or_b64 exec, exec, s[36:37]
	s_and_saveexec_b64 s[52:53], vcc
	s_cbranch_execz .LBB137_153
; %bb.98:
	s_movk_i32 s3, 0x1000
	v_add_u32_e64 v12, s3, 0
	ds_read2_b64 v[32:35], v12 offset0:12 offset1:13
	v_mbcnt_lo_u32_b32 v12, -1, 0
	v_mbcnt_hi_u32_b32 v13, -1, v12
	v_mov_b32_e32 v37, 0
	s_mov_b32 s57, 0
	v_cmp_eq_u32_e64 s[30:31], 0, v13
	s_and_saveexec_b64 s[36:37], s[30:31]
	s_cbranch_execz .LBB137_100
; %bb.99:
	s_add_i32 s56, s2, 64
	s_lshl_b64 s[60:61], s[56:57], 4
	s_add_u32 s60, s40, s60
	s_addc_u32 s61, s41, s61
	s_waitcnt lgkmcnt(0)
	global_store_dword v37, v32, s[60:61] sc1
	global_store_dword v37, v33, s[60:61] offset:4 sc1
	global_store_dword v37, v34, s[60:61] offset:8 sc1
	;; [unrolled: 1-line block ×3, first 2 shown]
	v_mov_b32_e32 v12, 1
	v_mov_b32_e32 v35, s56
	s_waitcnt vmcnt(0)
	global_store_byte v35, v12, s[44:45] sc1
.LBB137_100:
	s_or_b64 exec, exec, s[36:37]
	v_xad_u32 v12, v13, -1, s2
	v_add_u32_e32 v36, 64, v12
	s_waitcnt lgkmcnt(0)
	global_load_ubyte v35, v36, s[44:45] sc1
	s_waitcnt vmcnt(0)
	v_cmp_eq_u16_e32 vcc, 0, v35
	s_and_saveexec_b64 s[36:37], vcc
	s_cbranch_execz .LBB137_104
; %bb.101:
	v_lshl_add_u64 v[38:39], s[44:45], 0, v[36:37]
	s_mov_b64 s[56:57], 0
.LBB137_102:                            ; =>This Inner Loop Header: Depth=1
	global_load_ubyte v35, v[38:39], off sc1
	s_waitcnt vmcnt(0)
	v_cmp_ne_u16_e32 vcc, 0, v35
	s_or_b64 s[56:57], vcc, s[56:57]
	s_andn2_b64 exec, exec, s[56:57]
	s_cbranch_execnz .LBB137_102
; %bb.103:
	s_or_b64 exec, exec, s[56:57]
.LBB137_104:
	s_or_b64 exec, exec, s[36:37]
	v_mov_b32_e32 v38, s43
	v_mov_b32_e32 v39, s41
	v_cmp_eq_u16_e32 vcc, 1, v35
	v_mov_b32_e32 v40, s40
	s_waitcnt vmcnt(0)
	v_cndmask_b32_e32 v39, v38, v39, vcc
	v_mov_b32_e32 v38, s42
	v_cndmask_b32_e32 v38, v38, v40, vcc
	v_lshl_add_u64 v[36:37], v[36:37], 4, v[38:39]
	global_load_dword v40, v[36:37], off sc1
	global_load_dword v41, v[36:37], off offset:4 sc1
	global_load_dword v43, v[36:37], off offset:8 sc1
	s_nop 0
	global_load_dword v36, v[36:37], off offset:12 sc1
	v_cmp_eq_u16_e32 vcc, 2, v35
	s_waitcnt vmcnt(0)
	v_lshlrev_b64 v[36:37], v13, -1
	v_and_b32_e32 v45, 63, v13
	v_and_b32_e32 v38, vcc_hi, v37
	v_and_b32_e32 v44, vcc_lo, v36
	v_cmp_ne_u32_e32 vcc, 63, v45
	v_or_b32_e32 v38, 0x80000000, v38
	v_ffbl_b32_e32 v48, v38
	v_addc_co_u32_e32 v39, vcc, 0, v13, vcc
	v_lshlrev_b32_e32 v46, 2, v39
	v_add_u32_e32 v48, 32, v48
	v_ffbl_b32_e32 v44, v44
	v_min_u32_e32 v44, v44, v48
	v_cmp_lt_u32_e32 vcc, v45, v44
	ds_bpermute_b32 v38, v46, v40
	ds_bpermute_b32 v42, v46, v41
	v_and_b32_e32 v39, 0xff, v43
	ds_bpermute_b32 v47, v46, v39
	s_and_saveexec_b64 s[36:37], vcc
	s_cbranch_execz .LBB137_106
; %bb.105:
	s_waitcnt lgkmcnt(1)
	v_mov_b32_e32 v39, v42
	v_mov_b32_e32 v48, 0
	v_cmp_gt_i64_e32 vcc, v[40:41], v[38:39]
	s_nop 1
	v_cndmask_b32_e32 v39, v42, v41, vcc
	v_cndmask_b32_e32 v38, v38, v40, vcc
	v_cmp_eq_u16_sdwa vcc, v43, v48 src0_sel:BYTE_0 src1_sel:DWORD
	s_nop 1
	v_cndmask_b32_e32 v40, v40, v38, vcc
	s_waitcnt lgkmcnt(0)
	v_or_b32_e32 v38, v47, v43
	v_and_b32_e32 v38, 1, v38
	v_cndmask_b32_e32 v41, v41, v39, vcc
	v_bitop3_b32 v39, v47, 1, v43 bitop3:0xc8
	v_mov_b32_e32 v43, v38
.LBB137_106:
	s_or_b64 exec, exec, s[36:37]
	v_cmp_gt_u32_e32 vcc, 62, v45
	v_add_u32_e32 v48, 2, v45
	s_waitcnt lgkmcnt(2)
	v_cndmask_b32_e64 v38, 0, 2, vcc
	s_waitcnt lgkmcnt(0)
	v_add_lshl_u32 v47, v38, v13, 2
	ds_bpermute_b32 v38, v47, v40
	ds_bpermute_b32 v42, v47, v41
	ds_bpermute_b32 v49, v47, v39
	v_cmp_le_u32_e32 vcc, v48, v44
	s_and_saveexec_b64 s[56:57], vcc
	s_cbranch_execz .LBB137_108
; %bb.107:
	s_waitcnt lgkmcnt(1)
	v_mov_b32_e32 v39, v42
	v_mov_b32_e32 v50, 0
	v_cmp_gt_i64_e32 vcc, v[40:41], v[38:39]
	s_nop 1
	v_cndmask_b32_e32 v39, v42, v41, vcc
	v_cndmask_b32_e32 v38, v38, v40, vcc
	v_cmp_eq_u16_sdwa vcc, v43, v50 src0_sel:BYTE_0 src1_sel:DWORD
	s_nop 1
	v_cndmask_b32_e32 v40, v40, v38, vcc
	v_and_b32_e32 v38, 1, v43
	v_cndmask_b32_e32 v41, v41, v39, vcc
	v_cmp_eq_u32_e32 vcc, 1, v38
	s_waitcnt lgkmcnt(0)
	v_and_b32_e32 v38, 1, v49
	v_cmp_eq_u32_e64 s[36:37], 1, v38
	s_or_b64 s[36:37], vcc, s[36:37]
	s_nop 0
	v_cndmask_b32_e64 v43, 0, 1, s[36:37]
	v_cndmask_b32_e64 v39, 0, 1, s[36:37]
.LBB137_108:
	s_or_b64 exec, exec, s[56:57]
	v_cmp_gt_u32_e32 vcc, 60, v45
	v_add_u32_e32 v50, 4, v45
	s_waitcnt lgkmcnt(2)
	v_cndmask_b32_e64 v38, 0, 4, vcc
	s_waitcnt lgkmcnt(0)
	v_add_lshl_u32 v49, v38, v13, 2
	ds_bpermute_b32 v38, v49, v40
	ds_bpermute_b32 v42, v49, v41
	ds_bpermute_b32 v51, v49, v39
	v_cmp_le_u32_e32 vcc, v50, v44
	s_and_saveexec_b64 s[56:57], vcc
	s_cbranch_execz .LBB137_110
; %bb.109:
	s_waitcnt lgkmcnt(1)
	v_mov_b32_e32 v39, v42
	v_mov_b32_e32 v52, 0
	v_cmp_gt_i64_e32 vcc, v[40:41], v[38:39]
	s_nop 1
	v_cndmask_b32_e32 v39, v42, v41, vcc
	v_cndmask_b32_e32 v38, v38, v40, vcc
	v_cmp_eq_u16_sdwa vcc, v43, v52 src0_sel:BYTE_0 src1_sel:DWORD
	s_nop 1
	v_cndmask_b32_e32 v40, v40, v38, vcc
	v_and_b32_e32 v38, 1, v43
	v_cndmask_b32_e32 v41, v41, v39, vcc
	v_cmp_eq_u32_e32 vcc, 1, v38
	s_waitcnt lgkmcnt(0)
	v_and_b32_e32 v38, 1, v51
	v_cmp_eq_u32_e64 s[36:37], 1, v38
	s_or_b64 s[36:37], vcc, s[36:37]
	s_nop 0
	v_cndmask_b32_e64 v43, 0, 1, s[36:37]
	v_cndmask_b32_e64 v39, 0, 1, s[36:37]
.LBB137_110:
	s_or_b64 exec, exec, s[56:57]
	v_cmp_gt_u32_e32 vcc, 56, v45
	v_add_u32_e32 v52, 8, v45
	s_waitcnt lgkmcnt(2)
	v_cndmask_b32_e64 v38, 0, 8, vcc
	s_waitcnt lgkmcnt(0)
	v_add_lshl_u32 v51, v38, v13, 2
	ds_bpermute_b32 v38, v51, v40
	ds_bpermute_b32 v42, v51, v41
	ds_bpermute_b32 v53, v51, v39
	v_cmp_le_u32_e32 vcc, v52, v44
	s_and_saveexec_b64 s[56:57], vcc
	s_cbranch_execz .LBB137_112
; %bb.111:
	s_waitcnt lgkmcnt(1)
	v_mov_b32_e32 v39, v42
	v_mov_b32_e32 v54, 0
	v_cmp_gt_i64_e32 vcc, v[40:41], v[38:39]
	s_nop 1
	v_cndmask_b32_e32 v39, v42, v41, vcc
	v_cndmask_b32_e32 v38, v38, v40, vcc
	v_cmp_eq_u16_sdwa vcc, v43, v54 src0_sel:BYTE_0 src1_sel:DWORD
	s_nop 1
	v_cndmask_b32_e32 v40, v40, v38, vcc
	v_and_b32_e32 v38, 1, v43
	v_cndmask_b32_e32 v41, v41, v39, vcc
	v_cmp_eq_u32_e32 vcc, 1, v38
	s_waitcnt lgkmcnt(0)
	v_and_b32_e32 v38, 1, v53
	v_cmp_eq_u32_e64 s[36:37], 1, v38
	s_or_b64 s[36:37], vcc, s[36:37]
	s_nop 0
	v_cndmask_b32_e64 v43, 0, 1, s[36:37]
	v_cndmask_b32_e64 v39, 0, 1, s[36:37]
.LBB137_112:
	s_or_b64 exec, exec, s[56:57]
	v_cmp_gt_u32_e32 vcc, 48, v45
	v_add_u32_e32 v54, 16, v45
	s_waitcnt lgkmcnt(2)
	v_cndmask_b32_e64 v38, 0, 16, vcc
	s_waitcnt lgkmcnt(0)
	v_add_lshl_u32 v53, v38, v13, 2
	ds_bpermute_b32 v38, v53, v40
	ds_bpermute_b32 v42, v53, v41
	ds_bpermute_b32 v55, v53, v39
	v_cmp_le_u32_e32 vcc, v54, v44
	s_and_saveexec_b64 s[56:57], vcc
	s_cbranch_execz .LBB137_114
; %bb.113:
	s_waitcnt lgkmcnt(1)
	v_mov_b32_e32 v39, v42
	v_mov_b32_e32 v56, 0
	v_cmp_gt_i64_e32 vcc, v[40:41], v[38:39]
	s_nop 1
	v_cndmask_b32_e32 v39, v42, v41, vcc
	v_cndmask_b32_e32 v38, v38, v40, vcc
	v_cmp_eq_u16_sdwa vcc, v43, v56 src0_sel:BYTE_0 src1_sel:DWORD
	s_nop 1
	v_cndmask_b32_e32 v40, v40, v38, vcc
	v_and_b32_e32 v38, 1, v43
	v_cndmask_b32_e32 v41, v41, v39, vcc
	v_cmp_eq_u32_e32 vcc, 1, v38
	s_waitcnt lgkmcnt(0)
	v_and_b32_e32 v38, 1, v55
	v_cmp_eq_u32_e64 s[36:37], 1, v38
	s_or_b64 s[36:37], vcc, s[36:37]
	s_nop 0
	v_cndmask_b32_e64 v43, 0, 1, s[36:37]
	v_cndmask_b32_e64 v39, 0, 1, s[36:37]
.LBB137_114:
	s_or_b64 exec, exec, s[56:57]
	s_waitcnt lgkmcnt(2)
	v_mov_b32_e32 v38, 0x80
	v_lshl_or_b32 v56, v13, 2, v38
	ds_bpermute_b32 v38, v56, v40
	s_waitcnt lgkmcnt(2)
	ds_bpermute_b32 v42, v56, v41
	ds_bpermute_b32 v13, v56, v39
	v_add_u32_e32 v57, 32, v45
	v_cmp_le_u32_e32 vcc, v57, v44
	s_and_saveexec_b64 s[56:57], vcc
	s_cbranch_execz .LBB137_116
; %bb.115:
	s_waitcnt lgkmcnt(1)
	v_mov_b32_e32 v39, v42
	v_mov_b32_e32 v44, 0
	v_cmp_gt_i64_e32 vcc, v[40:41], v[38:39]
	s_waitcnt lgkmcnt(0)
	v_and_b32_e32 v13, 1, v13
	v_cmp_eq_u32_e64 s[36:37], 1, v13
	v_cndmask_b32_e32 v39, v42, v41, vcc
	v_cndmask_b32_e32 v38, v38, v40, vcc
	v_cmp_eq_u16_sdwa vcc, v43, v44 src0_sel:BYTE_0 src1_sel:DWORD
	s_nop 1
	v_cndmask_b32_e32 v40, v40, v38, vcc
	v_and_b32_e32 v38, 1, v43
	v_cndmask_b32_e32 v41, v41, v39, vcc
	v_cmp_eq_u32_e32 vcc, 1, v38
	s_or_b64 s[36:37], vcc, s[36:37]
	v_cndmask_b32_e64 v43, 0, 1, s[36:37]
.LBB137_116:
	s_or_b64 exec, exec, s[56:57]
	s_waitcnt lgkmcnt(0)
	v_mov_b32_e32 v13, 0
	v_mov_b32_e32 v58, 2
	s_branch .LBB137_119
.LBB137_117:                            ;   in Loop: Header=BB137_119 Depth=1
	s_or_b64 exec, exec, s[60:61]
	v_cmp_gt_i64_e32 vcc, v[38:39], v[40:41]
	s_waitcnt lgkmcnt(2)
	v_and_b32_e32 v42, 1, v55
	v_subrev_u32_e32 v12, 64, v12
	v_cndmask_b32_e32 v40, v40, v38, vcc
	v_cndmask_b32_e32 v41, v41, v39, vcc
	v_cmp_eq_u16_sdwa vcc, v55, v13 src0_sel:BYTE_0 src1_sel:DWORD
	s_nop 1
	v_cndmask_b32_e32 v41, v39, v41, vcc
	v_cndmask_b32_e32 v40, v38, v40, vcc
	v_cmp_eq_u32_e32 vcc, 1, v42
	s_or_b64 s[36:37], vcc, s[56:57]
	v_cndmask_b32_e64 v43, 0, 1, s[36:37]
	s_mov_b64 s[36:37], 0
.LBB137_118:                            ;   in Loop: Header=BB137_119 Depth=1
	s_and_b64 vcc, exec, s[36:37]
	s_cbranch_vccnz .LBB137_149
.LBB137_119:                            ; =>This Loop Header: Depth=1
                                        ;     Child Loop BB137_122 Depth 2
	v_cmp_ne_u16_sdwa s[36:37], v35, v58 src0_sel:BYTE_0 src1_sel:DWORD
	v_mov_b32_e32 v55, v43
	v_mov_b64_e32 v[38:39], v[40:41]
	s_cmp_lg_u64 s[36:37], exec
	s_mov_b64 s[36:37], -1
                                        ; implicit-def: $vgpr43
                                        ; implicit-def: $vgpr40_vgpr41
                                        ; implicit-def: $vgpr35
	s_cbranch_scc1 .LBB137_118
; %bb.120:                              ;   in Loop: Header=BB137_119 Depth=1
	global_load_ubyte v35, v12, s[44:45] sc1
	s_waitcnt vmcnt(0)
	v_cmp_eq_u16_e32 vcc, 0, v35
	s_and_saveexec_b64 s[36:37], vcc
	s_cbranch_execz .LBB137_124
; %bb.121:                              ;   in Loop: Header=BB137_119 Depth=1
	v_lshl_add_u64 v[40:41], s[44:45], 0, v[12:13]
	s_mov_b64 s[56:57], 0
.LBB137_122:                            ;   Parent Loop BB137_119 Depth=1
                                        ; =>  This Inner Loop Header: Depth=2
	global_load_ubyte v35, v[40:41], off sc1
	s_waitcnt vmcnt(0)
	v_cmp_ne_u16_e32 vcc, 0, v35
	s_or_b64 s[56:57], vcc, s[56:57]
	s_andn2_b64 exec, exec, s[56:57]
	s_cbranch_execnz .LBB137_122
; %bb.123:                              ;   in Loop: Header=BB137_119 Depth=1
	s_or_b64 exec, exec, s[56:57]
.LBB137_124:                            ;   in Loop: Header=BB137_119 Depth=1
	s_or_b64 exec, exec, s[36:37]
	v_mov_b32_e32 v40, s43
	v_mov_b32_e32 v41, s41
	v_cmp_eq_u16_e32 vcc, 1, v35
	v_mov_b32_e32 v42, s40
	s_waitcnt vmcnt(0)
	v_cndmask_b32_e32 v41, v40, v41, vcc
	v_mov_b32_e32 v40, s42
	v_cndmask_b32_e32 v40, v40, v42, vcc
	v_lshl_add_u64 v[42:43], v[12:13], 4, v[40:41]
	global_load_dword v40, v[42:43], off sc1
	global_load_dword v41, v[42:43], off offset:4 sc1
	global_load_dword v59, v[42:43], off offset:8 sc1
	s_nop 0
	global_load_dword v42, v[42:43], off offset:12 sc1
	v_cmp_eq_u16_e32 vcc, 2, v35
	s_waitcnt vmcnt(2) lgkmcnt(1)
	ds_bpermute_b32 v44, v46, v41
	s_waitcnt vmcnt(0)
	v_and_b32_e32 v42, vcc_hi, v37
	v_or_b32_e32 v42, 0x80000000, v42
	v_and_b32_e32 v43, 0xff, v59
	v_ffbl_b32_e32 v83, v42
	ds_bpermute_b32 v42, v46, v40
	s_waitcnt lgkmcnt(2)
	ds_bpermute_b32 v82, v46, v43
	v_and_b32_e32 v81, vcc_lo, v36
	v_add_u32_e32 v83, 32, v83
	v_ffbl_b32_e32 v81, v81
	v_min_u32_e32 v81, v81, v83
	v_cmp_lt_u32_e32 vcc, v45, v81
	s_and_saveexec_b64 s[36:37], vcc
	s_cbranch_execz .LBB137_126
; %bb.125:                              ;   in Loop: Header=BB137_119 Depth=1
	s_waitcnt lgkmcnt(2)
	v_mov_b32_e32 v43, v44
	s_waitcnt lgkmcnt(1)
	v_cmp_gt_i64_e32 vcc, v[40:41], v[42:43]
	s_nop 1
	v_cndmask_b32_e32 v43, v44, v41, vcc
	v_cndmask_b32_e32 v42, v42, v40, vcc
	v_cmp_eq_u16_sdwa vcc, v59, v13 src0_sel:BYTE_0 src1_sel:DWORD
	s_nop 1
	v_cndmask_b32_e32 v40, v40, v42, vcc
	s_waitcnt lgkmcnt(0)
	v_or_b32_e32 v42, v82, v59
	v_and_b32_e32 v42, 1, v42
	v_cndmask_b32_e32 v41, v41, v43, vcc
	v_bitop3_b32 v43, v82, 1, v59 bitop3:0xc8
	v_mov_b32_e32 v59, v42
.LBB137_126:                            ;   in Loop: Header=BB137_119 Depth=1
	s_or_b64 exec, exec, s[36:37]
	s_waitcnt lgkmcnt(1)
	ds_bpermute_b32 v42, v47, v40
	ds_bpermute_b32 v44, v47, v41
	s_waitcnt lgkmcnt(2)
	ds_bpermute_b32 v82, v47, v43
	v_and_b32_e32 v83, 1, v59
	v_cmp_le_u32_e32 vcc, v48, v81
	v_cmp_eq_u32_e64 s[56:57], 1, v83
	s_and_saveexec_b64 s[36:37], vcc
	s_cbranch_execz .LBB137_128
; %bb.127:                              ;   in Loop: Header=BB137_119 Depth=1
	s_waitcnt lgkmcnt(1)
	v_mov_b32_e32 v43, v44
	v_cmp_gt_i64_e32 vcc, v[40:41], v[42:43]
	s_nop 1
	v_cndmask_b32_e32 v43, v44, v41, vcc
	v_cndmask_b32_e32 v42, v42, v40, vcc
	v_cmp_eq_u16_sdwa vcc, v59, v13 src0_sel:BYTE_0 src1_sel:DWORD
	s_nop 1
	v_cndmask_b32_e32 v40, v40, v42, vcc
	s_waitcnt lgkmcnt(0)
	v_and_b32_e32 v42, 1, v82
	v_cndmask_b32_e32 v41, v41, v43, vcc
	v_cmp_eq_u32_e32 vcc, 1, v42
	s_or_b64 s[60:61], s[56:57], vcc
	v_cndmask_b32_e64 v59, 0, 1, s[60:61]
	v_cndmask_b32_e64 v43, 0, 1, s[60:61]
	s_andn2_b64 s[56:57], s[56:57], exec
	s_and_b64 s[60:61], s[60:61], exec
	s_or_b64 s[56:57], s[56:57], s[60:61]
.LBB137_128:                            ;   in Loop: Header=BB137_119 Depth=1
	s_or_b64 exec, exec, s[36:37]
	s_waitcnt lgkmcnt(2)
	ds_bpermute_b32 v42, v49, v40
	s_waitcnt lgkmcnt(2)
	ds_bpermute_b32 v44, v49, v41
	s_waitcnt lgkmcnt(2)
	ds_bpermute_b32 v82, v49, v43
	v_cmp_le_u32_e32 vcc, v50, v81
	s_and_saveexec_b64 s[60:61], vcc
	s_cbranch_execz .LBB137_130
; %bb.129:                              ;   in Loop: Header=BB137_119 Depth=1
	s_waitcnt lgkmcnt(1)
	v_mov_b32_e32 v43, v44
	v_cmp_gt_i64_e32 vcc, v[40:41], v[42:43]
	s_andn2_b64 s[56:57], s[56:57], exec
	s_nop 0
	v_cndmask_b32_e32 v43, v44, v41, vcc
	v_cndmask_b32_e32 v42, v42, v40, vcc
	v_cmp_eq_u16_sdwa vcc, v59, v13 src0_sel:BYTE_0 src1_sel:DWORD
	s_nop 1
	v_cndmask_b32_e32 v40, v40, v42, vcc
	v_and_b32_e32 v42, 1, v59
	v_cndmask_b32_e32 v41, v41, v43, vcc
	v_cmp_eq_u32_e32 vcc, 1, v42
	s_waitcnt lgkmcnt(0)
	v_and_b32_e32 v42, 1, v82
	v_cmp_eq_u32_e64 s[36:37], 1, v42
	s_or_b64 s[36:37], vcc, s[36:37]
	s_nop 0
	v_cndmask_b32_e64 v59, 0, 1, s[36:37]
	v_cndmask_b32_e64 v43, 0, 1, s[36:37]
	s_and_b64 s[36:37], s[36:37], exec
	s_or_b64 s[56:57], s[56:57], s[36:37]
.LBB137_130:                            ;   in Loop: Header=BB137_119 Depth=1
	s_or_b64 exec, exec, s[60:61]
	s_waitcnt lgkmcnt(2)
	ds_bpermute_b32 v42, v51, v40
	s_waitcnt lgkmcnt(2)
	ds_bpermute_b32 v44, v51, v41
	s_waitcnt lgkmcnt(2)
	ds_bpermute_b32 v82, v51, v43
	v_cmp_le_u32_e32 vcc, v52, v81
	s_and_saveexec_b64 s[60:61], vcc
	s_cbranch_execz .LBB137_132
; %bb.131:                              ;   in Loop: Header=BB137_119 Depth=1
	s_waitcnt lgkmcnt(1)
	v_mov_b32_e32 v43, v44
	v_cmp_gt_i64_e32 vcc, v[40:41], v[42:43]
	s_andn2_b64 s[56:57], s[56:57], exec
	s_nop 0
	v_cndmask_b32_e32 v43, v44, v41, vcc
	v_cndmask_b32_e32 v42, v42, v40, vcc
	v_cmp_eq_u16_sdwa vcc, v59, v13 src0_sel:BYTE_0 src1_sel:DWORD
	s_nop 1
	v_cndmask_b32_e32 v40, v40, v42, vcc
	v_and_b32_e32 v42, 1, v59
	v_cndmask_b32_e32 v41, v41, v43, vcc
	v_cmp_eq_u32_e32 vcc, 1, v42
	s_waitcnt lgkmcnt(0)
	v_and_b32_e32 v42, 1, v82
	v_cmp_eq_u32_e64 s[36:37], 1, v42
	s_or_b64 s[36:37], vcc, s[36:37]
	s_nop 0
	v_cndmask_b32_e64 v59, 0, 1, s[36:37]
	v_cndmask_b32_e64 v43, 0, 1, s[36:37]
	s_and_b64 s[36:37], s[36:37], exec
	s_or_b64 s[56:57], s[56:57], s[36:37]
.LBB137_132:                            ;   in Loop: Header=BB137_119 Depth=1
	;; [unrolled: 34-line block ×3, first 2 shown]
	s_or_b64 exec, exec, s[60:61]
	s_waitcnt lgkmcnt(2)
	ds_bpermute_b32 v42, v56, v40
	s_waitcnt lgkmcnt(2)
	ds_bpermute_b32 v44, v56, v41
	;; [unrolled: 2-line block ×3, first 2 shown]
	v_cmp_le_u32_e32 vcc, v57, v81
	s_and_saveexec_b64 s[60:61], vcc
	s_cbranch_execz .LBB137_117
; %bb.135:                              ;   in Loop: Header=BB137_119 Depth=1
	s_waitcnt lgkmcnt(1)
	v_mov_b32_e32 v43, v44
	v_cmp_gt_i64_e32 vcc, v[40:41], v[42:43]
	s_andn2_b64 s[56:57], s[56:57], exec
	s_nop 0
	v_cndmask_b32_e32 v43, v44, v41, vcc
	v_cndmask_b32_e32 v42, v42, v40, vcc
	v_cmp_eq_u16_sdwa vcc, v59, v13 src0_sel:BYTE_0 src1_sel:DWORD
	s_nop 1
	v_cndmask_b32_e32 v40, v40, v42, vcc
	v_and_b32_e32 v42, 1, v59
	v_cndmask_b32_e32 v41, v41, v43, vcc
	v_cmp_eq_u32_e32 vcc, 1, v42
	s_waitcnt lgkmcnt(0)
	v_and_b32_e32 v42, 1, v82
	v_cmp_eq_u32_e64 s[36:37], 1, v42
	s_or_b64 s[36:37], vcc, s[36:37]
	s_and_b64 s[36:37], s[36:37], exec
	s_or_b64 s[56:57], s[56:57], s[36:37]
	s_branch .LBB137_117
.LBB137_136:
	s_or_b64 exec, exec, s[30:31]
                                        ; implicit-def: $vgpr4_vgpr5
	s_and_saveexec_b64 s[30:31], s[28:29]
	s_cbranch_execz .LBB137_33
.LBB137_137:
	v_mov_b32_e32 v4, s35
	v_sub_co_u32_e32 v5, vcc, s34, v30
	s_nop 1
	v_subbrev_co_u32_e32 v6, vcc, 0, v4, vcc
	v_add_co_u32_e32 v4, vcc, -8, v5
	s_nop 1
	v_addc_co_u32_e32 v5, vcc, -1, v6, vcc
	flat_load_dwordx2 v[4:5], v[4:5]
	s_or_b64 exec, exec, s[30:31]
                                        ; implicit-def: $vgpr6_vgpr7
	s_and_saveexec_b64 s[28:29], s[4:5]
	s_cbranch_execnz .LBB137_34
.LBB137_138:
	s_or_b64 exec, exec, s[28:29]
                                        ; implicit-def: $vgpr10_vgpr11
	s_and_saveexec_b64 s[4:5], s[6:7]
	s_cbranch_execz .LBB137_35
.LBB137_139:
	v_mov_b32_e32 v10, s35
	v_sub_co_u32_e32 v11, vcc, s34, v32
	s_nop 1
	v_subbrev_co_u32_e32 v12, vcc, 0, v10, vcc
	v_add_co_u32_e32 v10, vcc, -8, v11
	s_nop 1
	v_addc_co_u32_e32 v11, vcc, -1, v12, vcc
	flat_load_dwordx2 v[10:11], v[10:11]
	s_or_b64 exec, exec, s[4:5]
                                        ; implicit-def: $vgpr12_vgpr13
	s_and_saveexec_b64 s[4:5], s[8:9]
	s_cbranch_execnz .LBB137_36
.LBB137_140:
	s_or_b64 exec, exec, s[4:5]
                                        ; implicit-def: $vgpr14_vgpr15
	s_and_saveexec_b64 s[4:5], s[10:11]
	s_cbranch_execz .LBB137_37
.LBB137_141:
	v_mov_b32_e32 v14, s35
	v_sub_co_u32_e32 v15, vcc, s34, v62
	s_nop 1
	v_subbrev_co_u32_e32 v16, vcc, 0, v14, vcc
	v_add_co_u32_e32 v14, vcc, -8, v15
	s_nop 1
	v_addc_co_u32_e32 v15, vcc, -1, v16, vcc
	flat_load_dwordx2 v[14:15], v[14:15]
	s_or_b64 exec, exec, s[4:5]
                                        ; implicit-def: $vgpr16_vgpr17
	s_and_saveexec_b64 s[4:5], s[12:13]
	s_cbranch_execnz .LBB137_38
.LBB137_142:
	s_or_b64 exec, exec, s[4:5]
                                        ; implicit-def: $vgpr18_vgpr19
	s_and_saveexec_b64 s[4:5], s[14:15]
	s_cbranch_execz .LBB137_39
.LBB137_143:
	v_mov_b32_e32 v18, s35
	v_sub_co_u32_e32 v19, vcc, s34, v64
	s_nop 1
	v_subbrev_co_u32_e32 v20, vcc, 0, v18, vcc
	v_add_co_u32_e32 v18, vcc, -8, v19
	s_nop 1
	v_addc_co_u32_e32 v19, vcc, -1, v20, vcc
	flat_load_dwordx2 v[18:19], v[18:19]
	s_or_b64 exec, exec, s[4:5]
                                        ; implicit-def: $vgpr20_vgpr21
	s_and_saveexec_b64 s[4:5], s[16:17]
	s_cbranch_execnz .LBB137_40
.LBB137_144:
	s_or_b64 exec, exec, s[4:5]
                                        ; implicit-def: $vgpr22_vgpr23
	s_and_saveexec_b64 s[4:5], s[18:19]
	s_cbranch_execz .LBB137_41
.LBB137_145:
	v_mov_b32_e32 v22, s35
	v_sub_co_u32_e32 v23, vcc, s34, v66
	s_nop 1
	v_subbrev_co_u32_e32 v24, vcc, 0, v22, vcc
	v_add_co_u32_e32 v22, vcc, -8, v23
	s_nop 1
	v_addc_co_u32_e32 v23, vcc, -1, v24, vcc
	flat_load_dwordx2 v[22:23], v[22:23]
	s_or_b64 exec, exec, s[4:5]
                                        ; implicit-def: $vgpr24_vgpr25
	s_and_saveexec_b64 s[4:5], s[20:21]
	s_cbranch_execnz .LBB137_42
.LBB137_146:
	s_or_b64 exec, exec, s[4:5]
                                        ; implicit-def: $vgpr26_vgpr27
	s_and_saveexec_b64 s[4:5], s[22:23]
	s_cbranch_execz .LBB137_43
.LBB137_147:
	v_mov_b32_e32 v26, s35
	v_sub_co_u32_e32 v27, vcc, s34, v68
	s_nop 1
	v_subbrev_co_u32_e32 v28, vcc, 0, v26, vcc
	v_add_co_u32_e32 v26, vcc, -8, v27
	s_nop 1
	v_addc_co_u32_e32 v27, vcc, -1, v28, vcc
	flat_load_dwordx2 v[26:27], v[26:27]
	s_or_b64 exec, exec, s[4:5]
                                        ; implicit-def: $vgpr28_vgpr29
	s_and_saveexec_b64 s[4:5], s[24:25]
	s_cbranch_execz .LBB137_45
	s_branch .LBB137_44
.LBB137_148:
                                        ; implicit-def: $vgpr58_vgpr59
                                        ; implicit-def: $vgpr54_vgpr55
                                        ; implicit-def: $vgpr50_vgpr51
                                        ; implicit-def: $vgpr46_vgpr47
                                        ; implicit-def: $vgpr42_vgpr43
                                        ; implicit-def: $vgpr38_vgpr39
                                        ; implicit-def: $vgpr34_vgpr35
	s_cbranch_execnz .LBB137_154
	s_branch .LBB137_175
.LBB137_149:
	s_and_saveexec_b64 s[36:37], s[30:31]
	s_cbranch_execz .LBB137_151
; %bb.150:
	s_mov_b32 s3, 0
	v_mov_b32_e32 v12, 0
	v_cmp_gt_i64_e32 vcc, v[32:33], v[38:39]
	s_add_i32 s2, s2, 64
	s_lshl_b64 s[30:31], s[2:3], 4
	v_cndmask_b32_e32 v13, v38, v32, vcc
	v_cndmask_b32_e32 v35, v39, v33, vcc
	v_cmp_eq_u32_sdwa vcc, v34, v12 src0_sel:BYTE_0 src1_sel:DWORD
	s_add_u32 s30, s42, s30
	s_addc_u32 s31, s43, s31
	v_cndmask_b32_e32 v13, v32, v13, vcc
	v_and_b32_e32 v32, 1, v34
	v_cndmask_b32_e32 v33, v33, v35, vcc
	v_and_b32_e32 v34, 1, v55
	v_cmp_eq_u32_e32 vcc, 1, v32
	s_nop 1
	v_cndmask_b32_e64 v32, v34, 1, vcc
	global_store_dword v12, v13, s[30:31] sc1
	global_store_dword v12, v33, s[30:31] offset:4 sc1
	global_store_dword v12, v32, s[30:31] offset:8 sc1
	;; [unrolled: 1-line block ×3, first 2 shown]
	v_mov_b32_e32 v12, 2
	v_mov_b32_e32 v13, s2
	s_waitcnt vmcnt(0) lgkmcnt(0)
	global_store_byte v13, v12, s[44:45] sc1
.LBB137_151:
	s_or_b64 exec, exec, s[36:37]
	s_and_b64 exec, exec, s[28:29]
	s_cbranch_execz .LBB137_153
; %bb.152:
	v_mov_b32_e32 v12, 0
	ds_write_b64 v12, v[38:39]
	ds_write_b8 v12, v55 offset:8
.LBB137_153:
	s_or_b64 exec, exec, s[52:53]
	v_mov_b32_e32 v32, 0
	v_and_b32_e32 v33, 1, v71
	s_waitcnt lgkmcnt(0)
	s_barrier
	ds_read_b64 v[12:13], v32
	v_cmp_eq_u32_e32 vcc, 1, v33
	s_or_b64 s[2:3], vcc, s[50:51]
	v_cmp_gt_i64_e32 vcc, v[2:3], v[4:5]
	v_cndmask_b32_e64 v33, 0, 1, s[2:3]
	v_cndmask_b32_e64 v33, v33, v71, s[28:29]
	v_cndmask_b32_e32 v5, v5, v3, vcc
	v_cndmask_b32_e32 v4, v4, v2, vcc
	v_cmp_eq_u16_sdwa vcc, v71, v32 src0_sel:BYTE_0 src1_sel:DWORD
	s_nop 1
	v_cndmask_b32_e32 v4, v2, v4, vcc
	v_cndmask_b32_e32 v5, v3, v5, vcc
	v_cndmask_b32_e64 v5, v5, v3, s[28:29]
	v_cndmask_b32_e64 v4, v4, v2, s[28:29]
	s_waitcnt lgkmcnt(0)
	v_cmp_gt_i64_e32 vcc, v[4:5], v[12:13]
	s_nop 1
	v_cndmask_b32_e32 v12, v12, v4, vcc
	v_cndmask_b32_e32 v13, v13, v5, vcc
	v_cmp_eq_u16_sdwa vcc, v33, v32 src0_sel:BYTE_0 src1_sel:DWORD
	s_nop 1
	v_cndmask_b32_e32 v33, v5, v13, vcc
	v_cndmask_b32_e32 v32, v4, v12, vcc
	v_cmp_gt_i64_e32 vcc, v[6:7], v[32:33]
	s_nop 1
	v_cndmask_b32_e32 v4, v32, v6, vcc
	v_cndmask_b32_e32 v5, v33, v7, vcc
	v_cndmask_b32_e64 v35, v7, v5, s[4:5]
	v_cndmask_b32_e64 v34, v6, v4, s[4:5]
	v_cmp_gt_i64_e32 vcc, v[16:17], v[34:35]
	s_nop 1
	v_cndmask_b32_e32 v4, v34, v16, vcc
	v_cndmask_b32_e32 v5, v35, v17, vcc
	v_cndmask_b32_e64 v37, v17, v5, s[6:7]
	v_cndmask_b32_e64 v36, v16, v4, s[6:7]
	v_cmp_gt_i64_e32 vcc, v[14:15], v[36:37]
	s_nop 1
	v_cndmask_b32_e32 v4, v36, v14, vcc
	v_cndmask_b32_e32 v5, v37, v15, vcc
	v_cndmask_b32_e64 v39, v15, v5, s[8:9]
	v_cndmask_b32_e64 v38, v14, v4, s[8:9]
	v_cmp_gt_i64_e32 vcc, v[24:25], v[38:39]
	s_nop 1
	v_cndmask_b32_e32 v4, v38, v24, vcc
	v_cndmask_b32_e32 v5, v39, v25, vcc
	v_cndmask_b32_e64 v41, v25, v5, s[10:11]
	v_cndmask_b32_e64 v40, v24, v4, s[10:11]
	v_cmp_gt_i64_e32 vcc, v[22:23], v[40:41]
	s_nop 1
	v_cndmask_b32_e32 v4, v40, v22, vcc
	v_cndmask_b32_e32 v5, v41, v23, vcc
	v_cndmask_b32_e64 v43, v23, v5, s[12:13]
	v_cndmask_b32_e64 v42, v22, v4, s[12:13]
	v_cmp_gt_i64_e32 vcc, v[28:29], v[42:43]
	s_nop 1
	v_cndmask_b32_e32 v4, v42, v28, vcc
	v_cndmask_b32_e32 v5, v43, v29, vcc
	v_cndmask_b32_e64 v45, v29, v5, s[14:15]
	v_cndmask_b32_e64 v44, v28, v4, s[14:15]
	v_cmp_gt_i64_e32 vcc, v[26:27], v[44:45]
	s_nop 1
	v_cndmask_b32_e32 v4, v44, v26, vcc
	v_cndmask_b32_e32 v5, v45, v27, vcc
	v_cndmask_b32_e64 v47, v27, v5, s[16:17]
	v_cndmask_b32_e64 v46, v26, v4, s[16:17]
	v_cmp_gt_i64_e32 vcc, v[62:63], v[46:47]
	s_nop 1
	v_cndmask_b32_e32 v4, v46, v62, vcc
	v_cndmask_b32_e32 v5, v47, v63, vcc
	v_cndmask_b32_e64 v49, v63, v5, s[18:19]
	v_cndmask_b32_e64 v48, v62, v4, s[18:19]
	v_cmp_gt_i64_e32 vcc, v[30:31], v[48:49]
	s_nop 1
	v_cndmask_b32_e32 v4, v48, v30, vcc
	v_cndmask_b32_e32 v5, v49, v31, vcc
	v_cndmask_b32_e64 v51, v31, v5, s[20:21]
	v_cndmask_b32_e64 v50, v30, v4, s[20:21]
	v_cmp_gt_i64_e32 vcc, v[20:21], v[50:51]
	s_nop 1
	v_cndmask_b32_e32 v4, v50, v20, vcc
	v_cndmask_b32_e32 v5, v51, v21, vcc
	v_cndmask_b32_e64 v53, v21, v5, s[22:23]
	v_cndmask_b32_e64 v52, v20, v4, s[22:23]
	v_cmp_gt_i64_e32 vcc, v[18:19], v[52:53]
	s_nop 1
	v_cndmask_b32_e32 v4, v52, v18, vcc
	v_cndmask_b32_e32 v5, v53, v19, vcc
	v_cndmask_b32_e64 v55, v19, v5, s[24:25]
	v_cndmask_b32_e64 v54, v18, v4, s[24:25]
	v_cmp_gt_i64_e32 vcc, v[10:11], v[54:55]
	s_nop 1
	v_cndmask_b32_e32 v4, v54, v10, vcc
	v_cndmask_b32_e32 v5, v55, v11, vcc
	v_cndmask_b32_e64 v57, v11, v5, s[26:27]
	v_cndmask_b32_e64 v56, v10, v4, s[26:27]
	v_cmp_gt_i64_e32 vcc, v[8:9], v[56:57]
	s_nop 1
	v_cndmask_b32_e32 v4, v56, v8, vcc
	v_cndmask_b32_e32 v5, v57, v9, vcc
	v_cndmask_b32_e64 v59, v9, v5, s[34:35]
	v_cndmask_b32_e64 v58, v8, v4, s[34:35]
	s_branch .LBB137_175
.LBB137_154:
	s_cmp_lg_u64 s[64:65], 0
	s_cselect_b64 s[2:3], -1, 0
	s_cmp_lg_u64 s[58:59], 0
	s_cselect_b64 s[4:5], -1, 0
	s_and_b64 s[4:5], s[2:3], s[4:5]
	v_cmp_eq_u32_e32 vcc, 0, v0
	v_cmp_ne_u32_e64 s[2:3], 0, v0
	s_and_b64 s[4:5], vcc, s[4:5]
	s_and_saveexec_b64 s[6:7], s[4:5]
	s_cbranch_execz .LBB137_156
; %bb.155:
	v_mov_b32_e32 v12, 0
	global_load_dwordx2 v[4:5], v12, s[58:59]
	global_load_ubyte v13, v12, s[58:59] offset:8
	s_waitcnt vmcnt(1)
	v_cmp_gt_i64_e64 s[4:5], v[2:3], v[4:5]
	s_nop 1
	v_cndmask_b32_e64 v4, v4, v2, s[4:5]
	v_cndmask_b32_e64 v5, v5, v3, s[4:5]
	v_cmp_eq_u16_sdwa s[4:5], v71, v12 src0_sel:BYTE_0 src1_sel:DWORD
	s_waitcnt vmcnt(0)
	v_bitop3_b16 v71, v71, 1, v13 bitop3:0xc8
	v_cndmask_b32_e64 v3, v3, v5, s[4:5]
	v_cndmask_b32_e64 v2, v2, v4, s[4:5]
.LBB137_156:
	s_or_b64 exec, exec, s[6:7]
	v_mov_b32_e32 v4, 0
	v_cmp_gt_i64_e64 s[4:5], v[6:7], v[2:3]
	s_movk_i32 s30, 0xff
	v_cmp_eq_u32_e64 s[10:11], 1, v80
	v_cndmask_b32_e64 v5, v2, v6, s[4:5]
	v_cndmask_b32_e64 v12, v3, v7, s[4:5]
	v_cmp_eq_u16_sdwa s[4:5], v76, v4 src0_sel:BYTE_0 src1_sel:DWORD
	v_cmp_eq_u32_e64 s[16:17], 1, v79
	v_cmp_eq_u32_e64 s[22:23], 1, v78
	v_cndmask_b32_e64 v35, v7, v12, s[4:5]
	v_cndmask_b32_e64 v34, v6, v5, s[4:5]
	v_bitop3_b16 v5, v71, s30, v76 bitop3:0xc8
	v_cmp_gt_i64_e64 s[6:7], v[16:17], v[34:35]
	v_cmp_ne_u16_e64 s[8:9], 0, v5
	s_or_b64 s[34:35], s[8:9], s[10:11]
	v_cndmask_b32_e64 v5, v34, v16, s[6:7]
	v_cndmask_b32_e64 v12, v35, v17, s[6:7]
	v_cmp_eq_u16_sdwa s[6:7], v75, v4 src0_sel:BYTE_0 src1_sel:DWORD
	v_cmp_eq_u32_e64 s[28:29], 1, v77
	s_nop 0
	v_cndmask_b32_e64 v37, v17, v12, s[6:7]
	v_cndmask_b32_e64 v36, v16, v5, s[6:7]
	v_cmp_gt_i64_e64 s[8:9], v[14:15], v[36:37]
	s_nop 1
	v_cndmask_b32_e64 v5, v36, v14, s[8:9]
	v_cndmask_b32_e64 v12, v37, v15, s[8:9]
	v_cmp_eq_u16_sdwa s[8:9], v74, v4 src0_sel:BYTE_0 src1_sel:DWORD
	s_nop 1
	v_cndmask_b32_e64 v39, v15, v12, s[8:9]
	v_cndmask_b32_e64 v38, v14, v5, s[8:9]
	v_cmp_gt_i64_e64 s[10:11], v[24:25], v[38:39]
	s_nop 1
	v_cndmask_b32_e64 v5, v38, v24, s[10:11]
	v_cndmask_b32_e64 v12, v39, v25, s[10:11]
	v_cmp_eq_u16_sdwa s[10:11], v73, v4 src0_sel:BYTE_0 src1_sel:DWORD
	s_nop 1
	v_cndmask_b32_e64 v41, v25, v12, s[10:11]
	v_cndmask_b32_e64 v40, v24, v5, s[10:11]
	v_bitop3_b16 v5, v73, s30, v74 bitop3:0xc8
	v_cmp_gt_i64_e64 s[12:13], v[22:23], v[40:41]
	v_cmp_ne_u16_e64 s[14:15], 0, v5
	s_or_b64 s[36:37], s[14:15], s[16:17]
	v_cndmask_b32_e64 v5, v40, v22, s[12:13]
	v_cndmask_b32_e64 v12, v41, v23, s[12:13]
	v_cmp_eq_u16_sdwa s[12:13], v72, v4 src0_sel:BYTE_0 src1_sel:DWORD
	s_nop 1
	v_cndmask_b32_e64 v43, v23, v12, s[12:13]
	v_cndmask_b32_e64 v42, v22, v5, s[12:13]
	v_cmp_gt_i64_e64 s[14:15], v[28:29], v[42:43]
	s_nop 1
	v_cndmask_b32_e64 v5, v42, v28, s[14:15]
	v_cndmask_b32_e64 v12, v43, v29, s[14:15]
	v_cmp_eq_u16_sdwa s[14:15], v70, v4 src0_sel:BYTE_0 src1_sel:DWORD
	s_nop 1
	v_cndmask_b32_e64 v45, v29, v12, s[14:15]
	v_cndmask_b32_e64 v44, v28, v5, s[14:15]
	v_cmp_gt_i64_e64 s[16:17], v[26:27], v[44:45]
	s_nop 1
	v_cndmask_b32_e64 v5, v44, v26, s[16:17]
	v_cndmask_b32_e64 v12, v45, v27, s[16:17]
	v_cmp_eq_u16_sdwa s[16:17], v69, v4 src0_sel:BYTE_0 src1_sel:DWORD
	s_nop 1
	v_cndmask_b32_e64 v47, v27, v12, s[16:17]
	v_cndmask_b32_e64 v46, v26, v5, s[16:17]
	v_bitop3_b16 v5, v69, s30, v70 bitop3:0xc8
	v_cmp_gt_i64_e64 s[18:19], v[62:63], v[46:47]
	v_cmp_ne_u16_e64 s[20:21], 0, v5
	s_or_b64 s[40:41], s[20:21], s[22:23]
	v_cndmask_b32_e64 v5, v46, v62, s[18:19]
	v_cndmask_b32_e64 v12, v47, v63, s[18:19]
	v_cmp_eq_u16_sdwa s[18:19], v68, v4 src0_sel:BYTE_0 src1_sel:DWORD
	;; [unrolled: 26-line block ×3, first 2 shown]
	s_nop 1
	v_cndmask_b32_e64 v55, v19, v12, s[24:25]
	v_cndmask_b32_e64 v54, v18, v5, s[24:25]
	v_cmp_gt_i64_e64 s[26:27], v[10:11], v[54:55]
	s_nop 1
	v_cndmask_b32_e64 v5, v54, v10, s[26:27]
	v_cndmask_b32_e64 v12, v55, v11, s[26:27]
	v_cmp_eq_u16_sdwa s[26:27], v64, v4 src0_sel:BYTE_0 src1_sel:DWORD
	s_nop 1
	v_cndmask_b32_e64 v57, v11, v12, s[26:27]
	v_cndmask_b32_e64 v56, v10, v5, s[26:27]
	v_cmp_gt_i64_e64 s[28:29], v[8:9], v[56:57]
	s_nop 1
	v_cndmask_b32_e64 v4, v56, v8, s[28:29]
	v_cndmask_b32_e64 v5, v57, v9, s[28:29]
	v_cmp_eq_u16_e64 s[28:29], 0, v60
	s_nop 1
	v_cndmask_b32_e64 v58, v8, v4, s[28:29]
	v_bitop3_b16 v4, v60, s30, v64 bitop3:0xc8
	v_cmp_ne_u16_e64 s[30:31], 0, v4
	s_or_b64 s[30:31], s[30:31], s[50:51]
	s_or_b64 s[30:31], s[30:31], s[40:41]
	s_or_b64 s[30:31], s[30:31], s[36:37]
	s_or_b64 s[30:31], s[30:31], s[34:35]
	v_and_b32_e32 v4, 0x70, v61
	v_cndmask_b32_e64 v59, v9, v5, s[28:29]
	v_cndmask_b32_e64 v64, 0, 1, s[30:31]
	v_lshl_add_u32 v4, v0, 4, v4
	v_cmp_gt_u32_e64 s[30:31], 64, v0
	ds_write_b64 v4, v[58:59]
	ds_write_b8 v4, v64 offset:8
	s_waitcnt lgkmcnt(0)
	s_barrier
	s_and_saveexec_b64 s[36:37], s[30:31]
	s_cbranch_execz .LBB137_170
; %bb.157:
	v_lshlrev_b32_e32 v4, 1, v0
	v_and_b32_e32 v4, 0x1f0, v4
	v_lshlrev_b32_e32 v5, 6, v0
	v_add_u32_e32 v61, v4, v5
	ds_read2_b64 v[66:69], v61 offset0:2 offset1:4
	ds_read_b64 v[4:5], v61
	ds_read_b32 v65, v61 offset:8
	ds_read_u8 v60, v61 offset:24
	ds_read_u8 v70, v61 offset:40
	ds_read_b64 v[12:13], v61 offset:48
	ds_read_u8 v72, v61 offset:56
	s_waitcnt lgkmcnt(4)
	v_and_b32_e32 v32, 1, v65
	v_cmp_gt_i64_e64 s[34:35], v[66:67], v[4:5]
	v_cmp_eq_u32_e64 s[30:31], 1, v32
	s_nop 0
	v_cndmask_b32_e64 v32, v4, v66, s[34:35]
	v_cndmask_b32_e64 v33, v5, v67, s[34:35]
	s_waitcnt lgkmcnt(3)
	v_cmp_eq_u16_e64 s[34:35], 0, v60
	s_nop 1
	v_cndmask_b32_e64 v33, v67, v33, s[34:35]
	v_cndmask_b32_e64 v32, v66, v32, s[34:35]
	v_cmp_gt_i64_e64 s[34:35], v[68:69], v[32:33]
	v_and_b32_e32 v66, 0xffffff00, v65
	s_nop 0
	v_cndmask_b32_e64 v32, v32, v68, s[34:35]
	v_cndmask_b32_e64 v33, v33, v69, s[34:35]
	s_waitcnt lgkmcnt(2)
	v_cmp_eq_u16_e64 s[34:35], 0, v70
	s_nop 1
	v_cndmask_b32_e64 v33, v69, v33, s[34:35]
	v_cndmask_b32_e64 v32, v68, v32, s[34:35]
	s_waitcnt lgkmcnt(1)
	v_cmp_gt_i64_e64 s[34:35], v[12:13], v[32:33]
	s_nop 1
	v_cndmask_b32_e64 v32, v32, v12, s[34:35]
	v_cndmask_b32_e64 v33, v33, v13, s[34:35]
	s_waitcnt lgkmcnt(0)
	v_cmp_eq_u16_e64 s[34:35], 0, v72
	s_nop 1
	v_cndmask_b32_e64 v12, v12, v32, s[34:35]
	v_bitop3_b16 v32, v70, v72, v60 bitop3:0xfe
	v_and_b32_e32 v32, 1, v32
	v_cndmask_b32_e64 v13, v13, v33, s[34:35]
	v_cmp_eq_u32_e64 s[34:35], 1, v32
	s_or_b64 s[34:35], s[34:35], s[30:31]
	v_mbcnt_lo_u32_b32 v32, -1, 0
	v_mbcnt_hi_u32_b32 v67, -1, v32
	v_cndmask_b32_e64 v33, 0, 1, s[34:35]
	v_and_b32_e32 v69, 15, v67
	v_or_b32_e32 v33, v66, v33
	v_cndmask_b32_e64 v68, 0, 1, s[34:35]
	v_mov_b32_dpp v32, v12 row_shr:1 row_mask:0xf bank_mask:0xf
	v_mov_b32_dpp v60, v13 row_shr:1 row_mask:0xf bank_mask:0xf
	;; [unrolled: 1-line block ×3, first 2 shown]
	v_cmp_ne_u32_e64 s[30:31], 0, v69
	s_and_saveexec_b64 s[40:41], s[30:31]
; %bb.158:
	v_mov_b32_e32 v33, v60
	v_cmp_gt_i64_e64 s[30:31], v[12:13], v[32:33]
	s_or_b64 s[30:31], s[34:35], s[30:31]
	v_bitop3_b16 v68, v70, v68, 1 bitop3:0xec
	v_cndmask_b32_e64 v13, v60, v13, s[30:31]
	v_cndmask_b32_e64 v12, v32, v12, s[30:31]
	v_or_b32_sdwa v33, v66, v68 dst_sel:DWORD dst_unused:UNUSED_PAD src0_sel:DWORD src1_sel:WORD_0
; %bb.159:
	s_or_b64 exec, exec, s[40:41]
	v_mov_b32_dpp v32, v12 row_shr:2 row_mask:0xf bank_mask:0xf
	v_mov_b32_dpp v60, v13 row_shr:2 row_mask:0xf bank_mask:0xf
	v_mov_b32_dpp v70, v33 row_shr:2 row_mask:0xf bank_mask:0xf
	v_cmp_lt_u32_e64 s[30:31], 1, v69
	s_and_saveexec_b64 s[40:41], s[30:31]
	s_cbranch_execz .LBB137_161
; %bb.160:
	v_mov_b32_e32 v33, v60
	v_cmp_gt_i64_e64 s[30:31], v[12:13], v[32:33]
	s_nop 1
	v_cndmask_b32_e64 v33, v60, v13, s[30:31]
	v_cndmask_b32_e64 v32, v32, v12, s[30:31]
	v_cmp_eq_u16_e64 s[30:31], 0, v68
	s_nop 1
	v_cndmask_b32_e64 v12, v12, v32, s[30:31]
	v_and_b32_e32 v32, 1, v68
	v_cndmask_b32_e64 v13, v13, v33, s[30:31]
	v_cmp_eq_u32_e64 s[30:31], 1, v32
	v_and_b32_e32 v32, 1, v70
	v_cmp_eq_u32_e64 s[34:35], 1, v32
	s_or_b64 s[30:31], s[30:31], s[34:35]
	v_cndmask_b32_e64 v32, 0, 1, s[30:31]
	v_cndmask_b32_e64 v68, 0, 1, s[30:31]
	v_or_b32_e32 v33, v66, v32
.LBB137_161:
	s_or_b64 exec, exec, s[40:41]
	v_mov_b32_dpp v32, v12 row_shr:4 row_mask:0xf bank_mask:0xf
	v_mov_b32_dpp v60, v13 row_shr:4 row_mask:0xf bank_mask:0xf
	v_mov_b32_dpp v70, v33 row_shr:4 row_mask:0xf bank_mask:0xf
	v_cmp_lt_u32_e64 s[30:31], 3, v69
	s_and_saveexec_b64 s[40:41], s[30:31]
	s_cbranch_execz .LBB137_163
; %bb.162:
	v_mov_b32_e32 v33, v60
	v_cmp_gt_i64_e64 s[30:31], v[12:13], v[32:33]
	s_nop 1
	v_cndmask_b32_e64 v33, v60, v13, s[30:31]
	v_cndmask_b32_e64 v32, v32, v12, s[30:31]
	v_cmp_eq_u16_e64 s[30:31], 0, v68
	s_nop 1
	v_cndmask_b32_e64 v12, v12, v32, s[30:31]
	v_and_b32_e32 v32, 1, v68
	v_cndmask_b32_e64 v13, v13, v33, s[30:31]
	v_cmp_eq_u32_e64 s[30:31], 1, v32
	v_and_b32_e32 v32, 1, v70
	v_cmp_eq_u32_e64 s[34:35], 1, v32
	s_or_b64 s[30:31], s[30:31], s[34:35]
	v_cndmask_b32_e64 v32, 0, 1, s[30:31]
	v_cndmask_b32_e64 v68, 0, 1, s[30:31]
	v_or_b32_e32 v33, v66, v32
.LBB137_163:
	;; [unrolled: 26-line block ×3, first 2 shown]
	s_or_b64 exec, exec, s[40:41]
	v_and_b32_e32 v70, 16, v67
	v_mov_b32_dpp v32, v12 row_bcast:15 row_mask:0xf bank_mask:0xf
	v_mov_b32_dpp v60, v13 row_bcast:15 row_mask:0xf bank_mask:0xf
	;; [unrolled: 1-line block ×3, first 2 shown]
	v_cmp_ne_u32_e64 s[30:31], 0, v70
	s_and_saveexec_b64 s[40:41], s[30:31]
	s_cbranch_execz .LBB137_167
; %bb.166:
	v_mov_b32_e32 v33, v60
	v_cmp_gt_i64_e64 s[30:31], v[12:13], v[32:33]
	s_nop 1
	v_cndmask_b32_e64 v33, v60, v13, s[30:31]
	v_cndmask_b32_e64 v32, v32, v12, s[30:31]
	v_cmp_eq_u16_e64 s[30:31], 0, v68
	s_nop 1
	v_cndmask_b32_e64 v12, v12, v32, s[30:31]
	v_and_b32_e32 v32, 1, v68
	v_cndmask_b32_e64 v13, v13, v33, s[30:31]
	v_cmp_eq_u32_e64 s[30:31], 1, v32
	v_and_b32_e32 v32, 1, v69
	v_cmp_eq_u32_e64 s[34:35], 1, v32
	s_or_b64 s[30:31], s[30:31], s[34:35]
	v_cndmask_b32_e64 v32, 0, 1, s[30:31]
	v_cndmask_b32_e64 v68, 0, 1, s[30:31]
	v_or_b32_e32 v33, v66, v32
.LBB137_167:
	s_or_b64 exec, exec, s[40:41]
	v_mov_b32_dpp v32, v12 row_bcast:31 row_mask:0xf bank_mask:0xf
	v_mov_b32_dpp v60, v13 row_bcast:31 row_mask:0xf bank_mask:0xf
	;; [unrolled: 1-line block ×3, first 2 shown]
	v_cmp_lt_u32_e64 s[30:31], 31, v67
	s_and_saveexec_b64 s[40:41], s[30:31]
	s_cbranch_execz .LBB137_169
; %bb.168:
	v_mov_b32_e32 v33, v60
	v_cmp_gt_i64_e64 s[30:31], v[12:13], v[32:33]
	s_nop 1
	v_cndmask_b32_e64 v33, v60, v13, s[30:31]
	v_cndmask_b32_e64 v32, v32, v12, s[30:31]
	v_cmp_eq_u16_e64 s[30:31], 0, v68
	s_nop 1
	v_cndmask_b32_e64 v12, v12, v32, s[30:31]
	v_and_b32_e32 v32, 1, v68
	v_cndmask_b32_e64 v13, v13, v33, s[30:31]
	v_cmp_eq_u32_e64 s[30:31], 1, v32
	v_and_b32_e32 v32, 1, v69
	v_cmp_eq_u32_e64 s[34:35], 1, v32
	s_or_b64 s[30:31], s[30:31], s[34:35]
	v_cndmask_b32_e64 v68, 0, 1, s[30:31]
.LBB137_169:
	s_or_b64 exec, exec, s[40:41]
	v_add_u32_e32 v32, -1, v67
	v_and_b32_e32 v33, 64, v67
	v_cmp_lt_i32_e64 s[30:31], v32, v33
	v_mov_b32_e32 v60, 0
	s_nop 0
	v_cndmask_b32_e64 v32, v32, v67, s[30:31]
	v_lshlrev_b32_e32 v33, 2, v32
	ds_bpermute_b32 v32, v33, v13
	ds_bpermute_b32 v12, v33, v12
	v_or_b32_sdwa v13, v66, v68 dst_sel:DWORD dst_unused:UNUSED_PAD src0_sel:DWORD src1_sel:WORD_0
	ds_bpermute_b32 v33, v33, v13
	; wave barrier
	s_waitcnt lgkmcnt(2)
	v_mov_b32_e32 v13, v32
	s_waitcnt lgkmcnt(1)
	v_cmp_gt_i64_e64 s[30:31], v[4:5], v[12:13]
	s_nop 1
	v_cndmask_b32_e64 v13, v32, v5, s[30:31]
	v_cndmask_b32_e64 v12, v12, v4, s[30:31]
	v_cmp_eq_u32_sdwa s[30:31], v65, v60 src0_sel:BYTE_0 src1_sel:DWORD
	s_nop 1
	v_cndmask_b32_e64 v4, v4, v12, s[30:31]
	v_cndmask_b32_e64 v5, v5, v13, s[30:31]
	s_waitcnt lgkmcnt(0)
	v_or_b32_e32 v12, v33, v65
	v_and_b32_e32 v12, 1, v12
	v_cndmask_b32_e32 v5, v5, v59, vcc
	v_cndmask_b32_e32 v4, v4, v58, vcc
	;; [unrolled: 1-line block ×3, first 2 shown]
	ds_write_b64 v61, v[4:5]
	ds_write_b8 v61, v68 offset:8
	; wave barrier
	ds_read2_b64 v[64:67], v61 offset0:2 offset1:4
	ds_read_u8 v69, v61 offset:24
	ds_read_u8 v70, v61 offset:40
	ds_read_b64 v[12:13], v61 offset:48
	ds_read_u8 v72, v61 offset:56
	s_waitcnt lgkmcnt(4)
	v_cmp_gt_i64_e64 s[30:31], v[64:65], v[4:5]
	s_waitcnt lgkmcnt(3)
	v_bitop3_b16 v32, v69, 1, v68 bitop3:0xc8
	ds_write_b8 v61, v32 offset:24
	v_cndmask_b32_e64 v4, v4, v64, s[30:31]
	v_cndmask_b32_e64 v5, v5, v65, s[30:31]
	v_cmp_eq_u16_sdwa s[30:31], v69, v60 src0_sel:BYTE_0 src1_sel:DWORD
	s_nop 1
	v_cndmask_b32_e64 v5, v65, v5, s[30:31]
	v_cndmask_b32_e64 v4, v64, v4, s[30:31]
	v_cmp_gt_i64_e64 s[30:31], v[66:67], v[4:5]
	v_or_b32_e32 v64, v69, v68
	s_waitcnt lgkmcnt(3)
	v_bitop3_b16 v64, v70, 1, v64 bitop3:0xc8
	v_cndmask_b32_e64 v32, v4, v66, s[30:31]
	v_cndmask_b32_e64 v33, v5, v67, s[30:31]
	v_cmp_eq_u16_sdwa s[30:31], v70, v60 src0_sel:BYTE_0 src1_sel:DWORD
	v_bitop3_b16 v60, v70, v69, v68 bitop3:0xfe
	s_nop 0
	v_cndmask_b32_e64 v33, v67, v33, s[30:31]
	v_cndmask_b32_e64 v32, v66, v32, s[30:31]
	s_waitcnt lgkmcnt(2)
	v_cmp_gt_i64_e64 s[30:31], v[12:13], v[32:33]
	ds_write2_b64 v61, v[4:5], v[32:33] offset0:2 offset1:4
	ds_write_b8 v61, v64 offset:40
	v_cndmask_b32_e64 v4, v32, v12, s[30:31]
	v_cndmask_b32_e64 v5, v33, v13, s[30:31]
	s_waitcnt lgkmcnt(3)
	v_cmp_eq_u16_e64 s[30:31], 0, v72
	s_nop 1
	v_cndmask_b32_e64 v5, v13, v5, s[30:31]
	v_cndmask_b32_e64 v4, v12, v4, s[30:31]
	v_bitop3_b16 v12, v72, 1, v60 bitop3:0xc8
	ds_write_b64 v61, v[4:5] offset:48
	ds_write_b8 v61, v12 offset:56
.LBB137_170:
	s_or_b64 exec, exec, s[36:37]
	s_waitcnt lgkmcnt(0)
	s_barrier
	s_and_saveexec_b64 s[30:31], s[2:3]
	s_cbranch_execz .LBB137_172
; %bb.171:
	v_add_u32_e32 v4, -1, v0
	v_lshrrev_b32_e32 v5, 1, v4
	v_and_b32_e32 v5, 0x7ffffff0, v5
	v_lshl_add_u32 v4, v4, 4, v5
	ds_read_b64 v[4:5], v4
	v_mov_b32_e32 v12, 0
	;;#ASMSTART
	;;#ASMEND
	s_waitcnt lgkmcnt(0)
	v_cmp_gt_i64_e64 s[2:3], v[2:3], v[4:5]
	s_nop 1
	v_cndmask_b32_e64 v4, v4, v2, s[2:3]
	v_cndmask_b32_e64 v5, v5, v3, s[2:3]
	v_cmp_eq_u16_sdwa s[2:3], v71, v12 src0_sel:BYTE_0 src1_sel:DWORD
	s_nop 1
	v_cndmask_b32_e64 v3, v3, v5, s[2:3]
	v_cndmask_b32_e64 v2, v2, v4, s[2:3]
	v_cmp_gt_i64_e64 s[2:3], v[6:7], v[2:3]
	s_nop 1
	v_cndmask_b32_e64 v4, v2, v6, s[2:3]
	v_cndmask_b32_e64 v5, v3, v7, s[2:3]
	v_cndmask_b32_e64 v35, v7, v5, s[4:5]
	v_cndmask_b32_e64 v34, v6, v4, s[4:5]
	v_cmp_gt_i64_e64 s[2:3], v[16:17], v[34:35]
	s_nop 1
	v_cndmask_b32_e64 v4, v34, v16, s[2:3]
	v_cndmask_b32_e64 v5, v35, v17, s[2:3]
	;; [unrolled: 6-line block ×13, first 2 shown]
	v_cndmask_b32_e64 v59, v9, v5, s[28:29]
	v_cndmask_b32_e64 v58, v8, v4, s[28:29]
.LBB137_172:
	s_or_b64 exec, exec, s[30:31]
	s_and_saveexec_b64 s[2:3], vcc
	s_cbranch_execz .LBB137_174
; %bb.173:
	v_mov_b32_e32 v6, 0
	ds_read_b64 v[4:5], v6 offset:4192
	ds_read_u8 v7, v6 offset:4200
	s_waitcnt lgkmcnt(1)
	global_store_dword v6, v4, s[42:43] offset:1024 sc1
	global_store_dword v6, v5, s[42:43] offset:1028 sc1
	s_waitcnt lgkmcnt(0)
	global_store_dword v6, v7, s[42:43] offset:1032 sc1
	global_store_dword v6, v6, s[42:43] offset:1036 sc1
	v_mov_b32_e32 v4, 2
	s_waitcnt vmcnt(0)
	global_store_byte v6, v4, s[44:45] offset:64 sc1
.LBB137_174:
	s_or_b64 exec, exec, s[2:3]
	v_mov_b64_e32 v[32:33], v[2:3]
.LBB137_175:
	s_lshl_b64 s[2:3], s[38:39], 3
	s_add_u32 s4, s54, s2
	s_addc_u32 s5, s55, s3
	s_lshl_b64 s[2:3], s[48:49], 3
	s_add_u32 s2, s4, s2
	s_addc_u32 s3, s5, s3
	s_and_b64 vcc, exec, s[0:1]
	s_cbranch_vccz .LBB137_223
; %bb.176:
	s_add_i32 s33, s33, s46
	v_mul_u32_u24_e32 v2, 14, v0
	v_cmp_gt_u32_e32 vcc, s33, v2
	s_and_saveexec_b64 s[0:1], vcc
	s_cbranch_execz .LBB137_196
; %bb.177:
	v_or_b32_e32 v3, 1, v2
	v_cmp_gt_u32_e32 vcc, s33, v3
	s_and_saveexec_b64 s[4:5], vcc
	s_cbranch_execz .LBB137_195
; %bb.178:
	v_add_u32_e32 v3, 2, v2
	v_cmp_gt_u32_e32 vcc, s33, v3
	s_and_saveexec_b64 s[6:7], vcc
	s_cbranch_execz .LBB137_194
; %bb.179:
	v_add_u32_e32 v3, 3, v2
	;; [unrolled: 5-line block ×8, first 2 shown]
	v_cmp_gt_u32_e32 vcc, s33, v3
	s_and_saveexec_b64 s[20:21], vcc
; %bb.186:
	v_add_u32_e32 v3, 10, v2
	v_cmp_gt_u32_e32 vcc, s33, v3
	s_and_saveexec_b64 s[22:23], vcc
	s_or_b64 exec, exec, s[22:23]
; %bb.187:
	s_or_b64 exec, exec, s[20:21]
.LBB137_188:
	s_or_b64 exec, exec, s[18:19]
.LBB137_189:
	s_or_b64 exec, exec, s[16:17]
.LBB137_190:
	s_or_b64 exec, exec, s[14:15]
.LBB137_191:
	s_or_b64 exec, exec, s[12:13]
.LBB137_192:
	s_or_b64 exec, exec, s[10:11]
.LBB137_193:
	s_or_b64 exec, exec, s[8:9]
.LBB137_194:
	s_or_b64 exec, exec, s[6:7]
.LBB137_195:
	s_or_b64 exec, exec, s[4:5]
.LBB137_196:
	s_or_b64 exec, exec, s[0:1]
	v_lshlrev_b32_e32 v28, 3, v2
	s_movk_i32 s0, 0xff98
	v_mad_i32_i24 v26, v0, s0, v28
	s_barrier
	ds_write_b128 v28, v[32:35]
	ds_write_b128 v28, v[36:39] offset:16
	ds_write_b128 v28, v[40:43] offset:32
	ds_write_b128 v28, v[44:47] offset:48
	ds_write_b128 v28, v[48:51] offset:64
	ds_write_b128 v28, v[52:55] offset:80
	ds_write_b128 v28, v[56:59] offset:96
	s_waitcnt lgkmcnt(0)
	s_barrier
	ds_read2st64_b64 v[22:25], v26 offset0:4 offset1:8
	ds_read2st64_b64 v[18:21], v26 offset0:12 offset1:16
	;; [unrolled: 1-line block ×6, first 2 shown]
	ds_read_b64 v[30:31], v26 offset:26624
	v_mov_b32_e32 v26, s3
	v_sub_co_u32_e32 v27, vcc, s2, v1
	s_nop 1
	v_subbrev_co_u32_e32 v26, vcc, 0, v26, vcc
	v_cmp_gt_u32_e32 vcc, s33, v0
	s_and_saveexec_b64 s[0:1], vcc
	s_cbranch_execz .LBB137_198
; %bb.197:
	v_mul_i32_i24_e32 v29, 0xffffff98, v0
	v_add_u32_e32 v28, v28, v29
	ds_read_b64 v[28:29], v28
	v_add_co_u32_e32 v60, vcc, -8, v27
	s_nop 1
	v_addc_co_u32_e32 v61, vcc, -1, v26, vcc
	s_waitcnt lgkmcnt(0)
	flat_store_dwordx2 v[60:61], v[28:29]
.LBB137_198:
	s_or_b64 exec, exec, s[0:1]
	v_or_b32_e32 v28, 0x100, v0
	v_cmp_gt_u32_e32 vcc, s33, v28
	s_and_saveexec_b64 s[0:1], vcc
	s_cbranch_execz .LBB137_200
; %bb.199:
	v_add_co_u32_e32 v28, vcc, 0xfffff7f8, v27
	s_nop 1
	v_addc_co_u32_e32 v29, vcc, -1, v26, vcc
	s_waitcnt lgkmcnt(0)
	flat_store_dwordx2 v[28:29], v[22:23]
.LBB137_200:
	s_or_b64 exec, exec, s[0:1]
	s_waitcnt lgkmcnt(0)
	v_or_b32_e32 v22, 0x200, v0
	v_cmp_gt_u32_e32 vcc, s33, v22
	s_and_saveexec_b64 s[0:1], vcc
	s_cbranch_execz .LBB137_202
; %bb.201:
	v_add_co_u32_e32 v22, vcc, 0xffffeff8, v27
	s_nop 1
	v_addc_co_u32_e32 v23, vcc, -1, v26, vcc
	flat_store_dwordx2 v[22:23], v[24:25]
.LBB137_202:
	s_or_b64 exec, exec, s[0:1]
	v_or_b32_e32 v22, 0x300, v0
	v_cmp_gt_u32_e32 vcc, s33, v22
	s_and_saveexec_b64 s[0:1], vcc
	s_cbranch_execz .LBB137_204
; %bb.203:
	v_add_co_u32_e32 v22, vcc, 0xffffe7f8, v27
	s_nop 1
	v_addc_co_u32_e32 v23, vcc, -1, v26, vcc
	flat_store_dwordx2 v[22:23], v[18:19]
.LBB137_204:
	s_or_b64 exec, exec, s[0:1]
	v_or_b32_e32 v18, 0x400, v0
	v_cmp_gt_u32_e32 vcc, s33, v18
	s_and_saveexec_b64 s[0:1], vcc
	s_cbranch_execz .LBB137_206
; %bb.205:
	v_add_co_u32_e32 v18, vcc, 0xffffdff8, v27
	s_nop 1
	v_addc_co_u32_e32 v19, vcc, -1, v26, vcc
	flat_store_dwordx2 v[18:19], v[20:21]
.LBB137_206:
	s_or_b64 exec, exec, s[0:1]
	v_or_b32_e32 v18, 0x500, v0
	v_cmp_gt_u32_e32 vcc, s33, v18
	s_and_saveexec_b64 s[0:1], vcc
	s_cbranch_execz .LBB137_208
; %bb.207:
	v_add_co_u32_e32 v18, vcc, 0xffffd7f8, v27
	s_nop 1
	v_addc_co_u32_e32 v19, vcc, -1, v26, vcc
	flat_store_dwordx2 v[18:19], v[14:15]
.LBB137_208:
	s_or_b64 exec, exec, s[0:1]
	v_or_b32_e32 v14, 0x600, v0
	v_cmp_gt_u32_e32 vcc, s33, v14
	s_and_saveexec_b64 s[0:1], vcc
	s_cbranch_execz .LBB137_210
; %bb.209:
	v_add_co_u32_e32 v14, vcc, 0xffffcff8, v27
	s_nop 1
	v_addc_co_u32_e32 v15, vcc, -1, v26, vcc
	flat_store_dwordx2 v[14:15], v[16:17]
.LBB137_210:
	s_or_b64 exec, exec, s[0:1]
	v_or_b32_e32 v14, 0x700, v0
	v_cmp_gt_u32_e32 vcc, s33, v14
	s_and_saveexec_b64 s[0:1], vcc
	s_cbranch_execz .LBB137_212
; %bb.211:
	v_add_co_u32_e32 v14, vcc, 0xffffc7f8, v27
	s_nop 1
	v_addc_co_u32_e32 v15, vcc, -1, v26, vcc
	flat_store_dwordx2 v[14:15], v[10:11]
.LBB137_212:
	s_or_b64 exec, exec, s[0:1]
	v_or_b32_e32 v10, 0x800, v0
	v_cmp_gt_u32_e32 vcc, s33, v10
	s_and_saveexec_b64 s[0:1], vcc
	s_cbranch_execz .LBB137_214
; %bb.213:
	v_add_co_u32_e32 v10, vcc, 0xffffbff8, v27
	s_nop 1
	v_addc_co_u32_e32 v11, vcc, -1, v26, vcc
	flat_store_dwordx2 v[10:11], v[12:13]
.LBB137_214:
	s_or_b64 exec, exec, s[0:1]
	v_or_b32_e32 v10, 0x900, v0
	v_cmp_gt_u32_e32 vcc, s33, v10
	s_and_saveexec_b64 s[0:1], vcc
	s_cbranch_execz .LBB137_216
; %bb.215:
	v_add_co_u32_e32 v10, vcc, 0xffffb7f8, v27
	s_nop 1
	v_addc_co_u32_e32 v11, vcc, -1, v26, vcc
	flat_store_dwordx2 v[10:11], v[6:7]
.LBB137_216:
	s_or_b64 exec, exec, s[0:1]
	v_or_b32_e32 v6, 0xa00, v0
	v_cmp_gt_u32_e32 vcc, s33, v6
	s_and_saveexec_b64 s[0:1], vcc
	s_cbranch_execz .LBB137_218
; %bb.217:
	v_add_co_u32_e32 v6, vcc, 0xffffaff8, v27
	s_nop 1
	v_addc_co_u32_e32 v7, vcc, -1, v26, vcc
	flat_store_dwordx2 v[6:7], v[8:9]
.LBB137_218:
	s_or_b64 exec, exec, s[0:1]
	v_or_b32_e32 v6, 0xb00, v0
	v_cmp_gt_u32_e32 vcc, s33, v6
	s_and_saveexec_b64 s[0:1], vcc
	s_cbranch_execz .LBB137_220
; %bb.219:
	v_add_co_u32_e32 v6, vcc, 0xffffa7f8, v27
	s_nop 1
	v_addc_co_u32_e32 v7, vcc, -1, v26, vcc
	flat_store_dwordx2 v[6:7], v[2:3]
.LBB137_220:
	s_or_b64 exec, exec, s[0:1]
	v_sub_co_u32_e32 v2, vcc, 0, v0
	v_or_b32_e32 v6, 0xc00, v0
	s_nop 0
	v_subb_co_u32_e64 v3, s[0:1], 0, 0, vcc
	v_cmp_gt_u32_e32 vcc, s33, v6
	s_and_saveexec_b64 s[0:1], vcc
	s_cbranch_execz .LBB137_222
; %bb.221:
	v_add_co_u32_e32 v6, vcc, 0xffff9ff8, v27
	s_nop 1
	v_addc_co_u32_e32 v7, vcc, -1, v26, vcc
	flat_store_dwordx2 v[6:7], v[4:5]
.LBB137_222:
	s_or_b64 exec, exec, s[0:1]
	v_or_b32_e32 v4, 0xd00, v0
	v_cmp_gt_u32_e64 s[0:1], s33, v4
	s_branch .LBB137_225
.LBB137_223:
	s_mov_b64 s[0:1], 0
                                        ; implicit-def: $vgpr30_vgpr31
                                        ; implicit-def: $vgpr2_vgpr3
	s_cbranch_execz .LBB137_225
; %bb.224:
	v_mul_u32_u24_e32 v2, 0x70, v0
	s_waitcnt lgkmcnt(0)
	s_barrier
	s_movk_i32 s4, 0x70
	ds_write_b128 v2, v[32:35]
	ds_write_b128 v2, v[36:39] offset:16
	ds_write_b128 v2, v[40:43] offset:32
	;; [unrolled: 1-line block ×6, first 2 shown]
	v_mul_i32_i24_e32 v2, 0xffffff98, v0
	v_mad_u32_u24 v2, v0, s4, v2
	s_waitcnt lgkmcnt(0)
	s_barrier
	ds_read2st64_b64 v[4:7], v2 offset1:4
	ds_read2st64_b64 v[8:11], v2 offset0:8 offset1:12
	ds_read2st64_b64 v[12:15], v2 offset0:16 offset1:20
	;; [unrolled: 1-line block ×6, first 2 shown]
	v_sub_co_u32_e32 v2, vcc, 0, v0
	v_mov_b32_e32 v0, s3
	s_nop 0
	v_subb_co_u32_e64 v3, s[4:5], 0, 0, vcc
	v_sub_co_u32_e32 v32, vcc, s2, v1
	s_movk_i32 s4, 0xf7f8
	s_nop 0
	v_subbrev_co_u32_e32 v33, vcc, 0, v0, vcc
	v_add_co_u32_e32 v0, vcc, s4, v32
	s_movk_i32 s4, 0xe7f8
	s_nop 0
	v_addc_co_u32_e32 v1, vcc, -1, v33, vcc
	s_waitcnt lgkmcnt(0)
	flat_store_dwordx2 v[0:1], v[4:5] offset:2048
	flat_store_dwordx2 v[0:1], v[6:7]
	v_add_co_u32_e32 v0, vcc, s4, v32
	s_movk_i32 s4, 0xd7f8
	s_nop 0
	v_addc_co_u32_e32 v1, vcc, -1, v33, vcc
	flat_store_dwordx2 v[0:1], v[8:9] offset:2048
	flat_store_dwordx2 v[0:1], v[10:11]
	v_add_co_u32_e32 v0, vcc, s4, v32
	s_movk_i32 s4, 0xc7f8
	s_nop 0
	v_addc_co_u32_e32 v1, vcc, -1, v33, vcc
	;; [unrolled: 6-line block ×4, first 2 shown]
	flat_store_dwordx2 v[0:1], v[20:21] offset:2048
	flat_store_dwordx2 v[0:1], v[22:23]
	v_add_co_u32_e32 v0, vcc, s4, v32
	s_or_b64 s[0:1], s[0:1], exec
	s_nop 0
	v_addc_co_u32_e32 v1, vcc, -1, v33, vcc
	flat_store_dwordx2 v[0:1], v[24:25]
	v_add_co_u32_e32 v0, vcc, 0xffffa7f8, v32
	s_nop 1
	v_addc_co_u32_e32 v1, vcc, -1, v33, vcc
	flat_store_dwordx2 v[0:1], v[26:27]
	v_add_co_u32_e32 v0, vcc, 0xffff9ff8, v32
	s_nop 1
	v_addc_co_u32_e32 v1, vcc, -1, v33, vcc
	flat_store_dwordx2 v[0:1], v[28:29]
.LBB137_225:
	s_and_saveexec_b64 s[4:5], s[0:1]
	s_cbranch_execz .LBB137_227
; %bb.226:
	v_lshl_add_u64 v[0:1], v[2:3], 3, s[2:3]
	v_add_co_u32_e32 v0, vcc, 0xffff97f8, v0
	s_nop 1
	v_addc_co_u32_e32 v1, vcc, -1, v1, vcc
	flat_store_dwordx2 v[0:1], v[30:31]
	s_endpgm
.LBB137_227:
	s_endpgm
	.section	.rodata,"a",@progbits
	.p2align	6, 0x0
	.amdhsa_kernel _ZN7rocprim17ROCPRIM_400000_NS6detail17trampoline_kernelINS0_14default_configENS1_27scan_by_key_config_selectorIllEEZZNS1_16scan_by_key_implILNS1_25lookback_scan_determinismE0ELb0ES3_N6thrust23THRUST_200600_302600_NS16reverse_iteratorIPKlEESD_NSA_IPlEElN6hipcub16HIPCUB_304000_NS3MaxENSH_8EqualityElEE10hipError_tPvRmT2_T3_T4_T5_mT6_T7_P12ihipStream_tbENKUlT_T0_E_clISt17integral_constantIbLb0EES10_EEDaSV_SW_EUlSV_E_NS1_11comp_targetILNS1_3genE0ELNS1_11target_archE4294967295ELNS1_3gpuE0ELNS1_3repE0EEENS1_30default_config_static_selectorELNS0_4arch9wavefront6targetE1EEEvT1_
		.amdhsa_group_segment_fixed_size 32768
		.amdhsa_private_segment_fixed_size 0
		.amdhsa_kernarg_size 136
		.amdhsa_user_sgpr_count 2
		.amdhsa_user_sgpr_dispatch_ptr 0
		.amdhsa_user_sgpr_queue_ptr 0
		.amdhsa_user_sgpr_kernarg_segment_ptr 1
		.amdhsa_user_sgpr_dispatch_id 0
		.amdhsa_user_sgpr_kernarg_preload_length 0
		.amdhsa_user_sgpr_kernarg_preload_offset 0
		.amdhsa_user_sgpr_private_segment_size 0
		.amdhsa_uses_dynamic_stack 0
		.amdhsa_enable_private_segment 0
		.amdhsa_system_sgpr_workgroup_id_x 1
		.amdhsa_system_sgpr_workgroup_id_y 0
		.amdhsa_system_sgpr_workgroup_id_z 0
		.amdhsa_system_sgpr_workgroup_info 0
		.amdhsa_system_vgpr_workitem_id 0
		.amdhsa_next_free_vgpr 108
		.amdhsa_next_free_sgpr 96
		.amdhsa_accum_offset 108
		.amdhsa_reserve_vcc 1
		.amdhsa_float_round_mode_32 0
		.amdhsa_float_round_mode_16_64 0
		.amdhsa_float_denorm_mode_32 3
		.amdhsa_float_denorm_mode_16_64 3
		.amdhsa_dx10_clamp 1
		.amdhsa_ieee_mode 1
		.amdhsa_fp16_overflow 0
		.amdhsa_tg_split 0
		.amdhsa_exception_fp_ieee_invalid_op 0
		.amdhsa_exception_fp_denorm_src 0
		.amdhsa_exception_fp_ieee_div_zero 0
		.amdhsa_exception_fp_ieee_overflow 0
		.amdhsa_exception_fp_ieee_underflow 0
		.amdhsa_exception_fp_ieee_inexact 0
		.amdhsa_exception_int_div_zero 0
	.end_amdhsa_kernel
	.section	.text._ZN7rocprim17ROCPRIM_400000_NS6detail17trampoline_kernelINS0_14default_configENS1_27scan_by_key_config_selectorIllEEZZNS1_16scan_by_key_implILNS1_25lookback_scan_determinismE0ELb0ES3_N6thrust23THRUST_200600_302600_NS16reverse_iteratorIPKlEESD_NSA_IPlEElN6hipcub16HIPCUB_304000_NS3MaxENSH_8EqualityElEE10hipError_tPvRmT2_T3_T4_T5_mT6_T7_P12ihipStream_tbENKUlT_T0_E_clISt17integral_constantIbLb0EES10_EEDaSV_SW_EUlSV_E_NS1_11comp_targetILNS1_3genE0ELNS1_11target_archE4294967295ELNS1_3gpuE0ELNS1_3repE0EEENS1_30default_config_static_selectorELNS0_4arch9wavefront6targetE1EEEvT1_,"axG",@progbits,_ZN7rocprim17ROCPRIM_400000_NS6detail17trampoline_kernelINS0_14default_configENS1_27scan_by_key_config_selectorIllEEZZNS1_16scan_by_key_implILNS1_25lookback_scan_determinismE0ELb0ES3_N6thrust23THRUST_200600_302600_NS16reverse_iteratorIPKlEESD_NSA_IPlEElN6hipcub16HIPCUB_304000_NS3MaxENSH_8EqualityElEE10hipError_tPvRmT2_T3_T4_T5_mT6_T7_P12ihipStream_tbENKUlT_T0_E_clISt17integral_constantIbLb0EES10_EEDaSV_SW_EUlSV_E_NS1_11comp_targetILNS1_3genE0ELNS1_11target_archE4294967295ELNS1_3gpuE0ELNS1_3repE0EEENS1_30default_config_static_selectorELNS0_4arch9wavefront6targetE1EEEvT1_,comdat
.Lfunc_end137:
	.size	_ZN7rocprim17ROCPRIM_400000_NS6detail17trampoline_kernelINS0_14default_configENS1_27scan_by_key_config_selectorIllEEZZNS1_16scan_by_key_implILNS1_25lookback_scan_determinismE0ELb0ES3_N6thrust23THRUST_200600_302600_NS16reverse_iteratorIPKlEESD_NSA_IPlEElN6hipcub16HIPCUB_304000_NS3MaxENSH_8EqualityElEE10hipError_tPvRmT2_T3_T4_T5_mT6_T7_P12ihipStream_tbENKUlT_T0_E_clISt17integral_constantIbLb0EES10_EEDaSV_SW_EUlSV_E_NS1_11comp_targetILNS1_3genE0ELNS1_11target_archE4294967295ELNS1_3gpuE0ELNS1_3repE0EEENS1_30default_config_static_selectorELNS0_4arch9wavefront6targetE1EEEvT1_, .Lfunc_end137-_ZN7rocprim17ROCPRIM_400000_NS6detail17trampoline_kernelINS0_14default_configENS1_27scan_by_key_config_selectorIllEEZZNS1_16scan_by_key_implILNS1_25lookback_scan_determinismE0ELb0ES3_N6thrust23THRUST_200600_302600_NS16reverse_iteratorIPKlEESD_NSA_IPlEElN6hipcub16HIPCUB_304000_NS3MaxENSH_8EqualityElEE10hipError_tPvRmT2_T3_T4_T5_mT6_T7_P12ihipStream_tbENKUlT_T0_E_clISt17integral_constantIbLb0EES10_EEDaSV_SW_EUlSV_E_NS1_11comp_targetILNS1_3genE0ELNS1_11target_archE4294967295ELNS1_3gpuE0ELNS1_3repE0EEENS1_30default_config_static_selectorELNS0_4arch9wavefront6targetE1EEEvT1_
                                        ; -- End function
	.set _ZN7rocprim17ROCPRIM_400000_NS6detail17trampoline_kernelINS0_14default_configENS1_27scan_by_key_config_selectorIllEEZZNS1_16scan_by_key_implILNS1_25lookback_scan_determinismE0ELb0ES3_N6thrust23THRUST_200600_302600_NS16reverse_iteratorIPKlEESD_NSA_IPlEElN6hipcub16HIPCUB_304000_NS3MaxENSH_8EqualityElEE10hipError_tPvRmT2_T3_T4_T5_mT6_T7_P12ihipStream_tbENKUlT_T0_E_clISt17integral_constantIbLb0EES10_EEDaSV_SW_EUlSV_E_NS1_11comp_targetILNS1_3genE0ELNS1_11target_archE4294967295ELNS1_3gpuE0ELNS1_3repE0EEENS1_30default_config_static_selectorELNS0_4arch9wavefront6targetE1EEEvT1_.num_vgpr, 108
	.set _ZN7rocprim17ROCPRIM_400000_NS6detail17trampoline_kernelINS0_14default_configENS1_27scan_by_key_config_selectorIllEEZZNS1_16scan_by_key_implILNS1_25lookback_scan_determinismE0ELb0ES3_N6thrust23THRUST_200600_302600_NS16reverse_iteratorIPKlEESD_NSA_IPlEElN6hipcub16HIPCUB_304000_NS3MaxENSH_8EqualityElEE10hipError_tPvRmT2_T3_T4_T5_mT6_T7_P12ihipStream_tbENKUlT_T0_E_clISt17integral_constantIbLb0EES10_EEDaSV_SW_EUlSV_E_NS1_11comp_targetILNS1_3genE0ELNS1_11target_archE4294967295ELNS1_3gpuE0ELNS1_3repE0EEENS1_30default_config_static_selectorELNS0_4arch9wavefront6targetE1EEEvT1_.num_agpr, 0
	.set _ZN7rocprim17ROCPRIM_400000_NS6detail17trampoline_kernelINS0_14default_configENS1_27scan_by_key_config_selectorIllEEZZNS1_16scan_by_key_implILNS1_25lookback_scan_determinismE0ELb0ES3_N6thrust23THRUST_200600_302600_NS16reverse_iteratorIPKlEESD_NSA_IPlEElN6hipcub16HIPCUB_304000_NS3MaxENSH_8EqualityElEE10hipError_tPvRmT2_T3_T4_T5_mT6_T7_P12ihipStream_tbENKUlT_T0_E_clISt17integral_constantIbLb0EES10_EEDaSV_SW_EUlSV_E_NS1_11comp_targetILNS1_3genE0ELNS1_11target_archE4294967295ELNS1_3gpuE0ELNS1_3repE0EEENS1_30default_config_static_selectorELNS0_4arch9wavefront6targetE1EEEvT1_.numbered_sgpr, 89
	.set _ZN7rocprim17ROCPRIM_400000_NS6detail17trampoline_kernelINS0_14default_configENS1_27scan_by_key_config_selectorIllEEZZNS1_16scan_by_key_implILNS1_25lookback_scan_determinismE0ELb0ES3_N6thrust23THRUST_200600_302600_NS16reverse_iteratorIPKlEESD_NSA_IPlEElN6hipcub16HIPCUB_304000_NS3MaxENSH_8EqualityElEE10hipError_tPvRmT2_T3_T4_T5_mT6_T7_P12ihipStream_tbENKUlT_T0_E_clISt17integral_constantIbLb0EES10_EEDaSV_SW_EUlSV_E_NS1_11comp_targetILNS1_3genE0ELNS1_11target_archE4294967295ELNS1_3gpuE0ELNS1_3repE0EEENS1_30default_config_static_selectorELNS0_4arch9wavefront6targetE1EEEvT1_.num_named_barrier, 0
	.set _ZN7rocprim17ROCPRIM_400000_NS6detail17trampoline_kernelINS0_14default_configENS1_27scan_by_key_config_selectorIllEEZZNS1_16scan_by_key_implILNS1_25lookback_scan_determinismE0ELb0ES3_N6thrust23THRUST_200600_302600_NS16reverse_iteratorIPKlEESD_NSA_IPlEElN6hipcub16HIPCUB_304000_NS3MaxENSH_8EqualityElEE10hipError_tPvRmT2_T3_T4_T5_mT6_T7_P12ihipStream_tbENKUlT_T0_E_clISt17integral_constantIbLb0EES10_EEDaSV_SW_EUlSV_E_NS1_11comp_targetILNS1_3genE0ELNS1_11target_archE4294967295ELNS1_3gpuE0ELNS1_3repE0EEENS1_30default_config_static_selectorELNS0_4arch9wavefront6targetE1EEEvT1_.private_seg_size, 0
	.set _ZN7rocprim17ROCPRIM_400000_NS6detail17trampoline_kernelINS0_14default_configENS1_27scan_by_key_config_selectorIllEEZZNS1_16scan_by_key_implILNS1_25lookback_scan_determinismE0ELb0ES3_N6thrust23THRUST_200600_302600_NS16reverse_iteratorIPKlEESD_NSA_IPlEElN6hipcub16HIPCUB_304000_NS3MaxENSH_8EqualityElEE10hipError_tPvRmT2_T3_T4_T5_mT6_T7_P12ihipStream_tbENKUlT_T0_E_clISt17integral_constantIbLb0EES10_EEDaSV_SW_EUlSV_E_NS1_11comp_targetILNS1_3genE0ELNS1_11target_archE4294967295ELNS1_3gpuE0ELNS1_3repE0EEENS1_30default_config_static_selectorELNS0_4arch9wavefront6targetE1EEEvT1_.uses_vcc, 1
	.set _ZN7rocprim17ROCPRIM_400000_NS6detail17trampoline_kernelINS0_14default_configENS1_27scan_by_key_config_selectorIllEEZZNS1_16scan_by_key_implILNS1_25lookback_scan_determinismE0ELb0ES3_N6thrust23THRUST_200600_302600_NS16reverse_iteratorIPKlEESD_NSA_IPlEElN6hipcub16HIPCUB_304000_NS3MaxENSH_8EqualityElEE10hipError_tPvRmT2_T3_T4_T5_mT6_T7_P12ihipStream_tbENKUlT_T0_E_clISt17integral_constantIbLb0EES10_EEDaSV_SW_EUlSV_E_NS1_11comp_targetILNS1_3genE0ELNS1_11target_archE4294967295ELNS1_3gpuE0ELNS1_3repE0EEENS1_30default_config_static_selectorELNS0_4arch9wavefront6targetE1EEEvT1_.uses_flat_scratch, 0
	.set _ZN7rocprim17ROCPRIM_400000_NS6detail17trampoline_kernelINS0_14default_configENS1_27scan_by_key_config_selectorIllEEZZNS1_16scan_by_key_implILNS1_25lookback_scan_determinismE0ELb0ES3_N6thrust23THRUST_200600_302600_NS16reverse_iteratorIPKlEESD_NSA_IPlEElN6hipcub16HIPCUB_304000_NS3MaxENSH_8EqualityElEE10hipError_tPvRmT2_T3_T4_T5_mT6_T7_P12ihipStream_tbENKUlT_T0_E_clISt17integral_constantIbLb0EES10_EEDaSV_SW_EUlSV_E_NS1_11comp_targetILNS1_3genE0ELNS1_11target_archE4294967295ELNS1_3gpuE0ELNS1_3repE0EEENS1_30default_config_static_selectorELNS0_4arch9wavefront6targetE1EEEvT1_.has_dyn_sized_stack, 0
	.set _ZN7rocprim17ROCPRIM_400000_NS6detail17trampoline_kernelINS0_14default_configENS1_27scan_by_key_config_selectorIllEEZZNS1_16scan_by_key_implILNS1_25lookback_scan_determinismE0ELb0ES3_N6thrust23THRUST_200600_302600_NS16reverse_iteratorIPKlEESD_NSA_IPlEElN6hipcub16HIPCUB_304000_NS3MaxENSH_8EqualityElEE10hipError_tPvRmT2_T3_T4_T5_mT6_T7_P12ihipStream_tbENKUlT_T0_E_clISt17integral_constantIbLb0EES10_EEDaSV_SW_EUlSV_E_NS1_11comp_targetILNS1_3genE0ELNS1_11target_archE4294967295ELNS1_3gpuE0ELNS1_3repE0EEENS1_30default_config_static_selectorELNS0_4arch9wavefront6targetE1EEEvT1_.has_recursion, 0
	.set _ZN7rocprim17ROCPRIM_400000_NS6detail17trampoline_kernelINS0_14default_configENS1_27scan_by_key_config_selectorIllEEZZNS1_16scan_by_key_implILNS1_25lookback_scan_determinismE0ELb0ES3_N6thrust23THRUST_200600_302600_NS16reverse_iteratorIPKlEESD_NSA_IPlEElN6hipcub16HIPCUB_304000_NS3MaxENSH_8EqualityElEE10hipError_tPvRmT2_T3_T4_T5_mT6_T7_P12ihipStream_tbENKUlT_T0_E_clISt17integral_constantIbLb0EES10_EEDaSV_SW_EUlSV_E_NS1_11comp_targetILNS1_3genE0ELNS1_11target_archE4294967295ELNS1_3gpuE0ELNS1_3repE0EEENS1_30default_config_static_selectorELNS0_4arch9wavefront6targetE1EEEvT1_.has_indirect_call, 0
	.section	.AMDGPU.csdata,"",@progbits
; Kernel info:
; codeLenInByte = 17336
; TotalNumSgprs: 95
; NumVgprs: 108
; NumAgprs: 0
; TotalNumVgprs: 108
; ScratchSize: 0
; MemoryBound: 0
; FloatMode: 240
; IeeeMode: 1
; LDSByteSize: 32768 bytes/workgroup (compile time only)
; SGPRBlocks: 12
; VGPRBlocks: 13
; NumSGPRsForWavesPerEU: 102
; NumVGPRsForWavesPerEU: 108
; AccumOffset: 108
; Occupancy: 4
; WaveLimiterHint : 1
; COMPUTE_PGM_RSRC2:SCRATCH_EN: 0
; COMPUTE_PGM_RSRC2:USER_SGPR: 2
; COMPUTE_PGM_RSRC2:TRAP_HANDLER: 0
; COMPUTE_PGM_RSRC2:TGID_X_EN: 1
; COMPUTE_PGM_RSRC2:TGID_Y_EN: 0
; COMPUTE_PGM_RSRC2:TGID_Z_EN: 0
; COMPUTE_PGM_RSRC2:TIDIG_COMP_CNT: 0
; COMPUTE_PGM_RSRC3_GFX90A:ACCUM_OFFSET: 26
; COMPUTE_PGM_RSRC3_GFX90A:TG_SPLIT: 0
	.section	.text._ZN7rocprim17ROCPRIM_400000_NS6detail17trampoline_kernelINS0_14default_configENS1_27scan_by_key_config_selectorIllEEZZNS1_16scan_by_key_implILNS1_25lookback_scan_determinismE0ELb0ES3_N6thrust23THRUST_200600_302600_NS16reverse_iteratorIPKlEESD_NSA_IPlEElN6hipcub16HIPCUB_304000_NS3MaxENSH_8EqualityElEE10hipError_tPvRmT2_T3_T4_T5_mT6_T7_P12ihipStream_tbENKUlT_T0_E_clISt17integral_constantIbLb0EES10_EEDaSV_SW_EUlSV_E_NS1_11comp_targetILNS1_3genE10ELNS1_11target_archE1201ELNS1_3gpuE5ELNS1_3repE0EEENS1_30default_config_static_selectorELNS0_4arch9wavefront6targetE1EEEvT1_,"axG",@progbits,_ZN7rocprim17ROCPRIM_400000_NS6detail17trampoline_kernelINS0_14default_configENS1_27scan_by_key_config_selectorIllEEZZNS1_16scan_by_key_implILNS1_25lookback_scan_determinismE0ELb0ES3_N6thrust23THRUST_200600_302600_NS16reverse_iteratorIPKlEESD_NSA_IPlEElN6hipcub16HIPCUB_304000_NS3MaxENSH_8EqualityElEE10hipError_tPvRmT2_T3_T4_T5_mT6_T7_P12ihipStream_tbENKUlT_T0_E_clISt17integral_constantIbLb0EES10_EEDaSV_SW_EUlSV_E_NS1_11comp_targetILNS1_3genE10ELNS1_11target_archE1201ELNS1_3gpuE5ELNS1_3repE0EEENS1_30default_config_static_selectorELNS0_4arch9wavefront6targetE1EEEvT1_,comdat
	.protected	_ZN7rocprim17ROCPRIM_400000_NS6detail17trampoline_kernelINS0_14default_configENS1_27scan_by_key_config_selectorIllEEZZNS1_16scan_by_key_implILNS1_25lookback_scan_determinismE0ELb0ES3_N6thrust23THRUST_200600_302600_NS16reverse_iteratorIPKlEESD_NSA_IPlEElN6hipcub16HIPCUB_304000_NS3MaxENSH_8EqualityElEE10hipError_tPvRmT2_T3_T4_T5_mT6_T7_P12ihipStream_tbENKUlT_T0_E_clISt17integral_constantIbLb0EES10_EEDaSV_SW_EUlSV_E_NS1_11comp_targetILNS1_3genE10ELNS1_11target_archE1201ELNS1_3gpuE5ELNS1_3repE0EEENS1_30default_config_static_selectorELNS0_4arch9wavefront6targetE1EEEvT1_ ; -- Begin function _ZN7rocprim17ROCPRIM_400000_NS6detail17trampoline_kernelINS0_14default_configENS1_27scan_by_key_config_selectorIllEEZZNS1_16scan_by_key_implILNS1_25lookback_scan_determinismE0ELb0ES3_N6thrust23THRUST_200600_302600_NS16reverse_iteratorIPKlEESD_NSA_IPlEElN6hipcub16HIPCUB_304000_NS3MaxENSH_8EqualityElEE10hipError_tPvRmT2_T3_T4_T5_mT6_T7_P12ihipStream_tbENKUlT_T0_E_clISt17integral_constantIbLb0EES10_EEDaSV_SW_EUlSV_E_NS1_11comp_targetILNS1_3genE10ELNS1_11target_archE1201ELNS1_3gpuE5ELNS1_3repE0EEENS1_30default_config_static_selectorELNS0_4arch9wavefront6targetE1EEEvT1_
	.globl	_ZN7rocprim17ROCPRIM_400000_NS6detail17trampoline_kernelINS0_14default_configENS1_27scan_by_key_config_selectorIllEEZZNS1_16scan_by_key_implILNS1_25lookback_scan_determinismE0ELb0ES3_N6thrust23THRUST_200600_302600_NS16reverse_iteratorIPKlEESD_NSA_IPlEElN6hipcub16HIPCUB_304000_NS3MaxENSH_8EqualityElEE10hipError_tPvRmT2_T3_T4_T5_mT6_T7_P12ihipStream_tbENKUlT_T0_E_clISt17integral_constantIbLb0EES10_EEDaSV_SW_EUlSV_E_NS1_11comp_targetILNS1_3genE10ELNS1_11target_archE1201ELNS1_3gpuE5ELNS1_3repE0EEENS1_30default_config_static_selectorELNS0_4arch9wavefront6targetE1EEEvT1_
	.p2align	8
	.type	_ZN7rocprim17ROCPRIM_400000_NS6detail17trampoline_kernelINS0_14default_configENS1_27scan_by_key_config_selectorIllEEZZNS1_16scan_by_key_implILNS1_25lookback_scan_determinismE0ELb0ES3_N6thrust23THRUST_200600_302600_NS16reverse_iteratorIPKlEESD_NSA_IPlEElN6hipcub16HIPCUB_304000_NS3MaxENSH_8EqualityElEE10hipError_tPvRmT2_T3_T4_T5_mT6_T7_P12ihipStream_tbENKUlT_T0_E_clISt17integral_constantIbLb0EES10_EEDaSV_SW_EUlSV_E_NS1_11comp_targetILNS1_3genE10ELNS1_11target_archE1201ELNS1_3gpuE5ELNS1_3repE0EEENS1_30default_config_static_selectorELNS0_4arch9wavefront6targetE1EEEvT1_,@function
_ZN7rocprim17ROCPRIM_400000_NS6detail17trampoline_kernelINS0_14default_configENS1_27scan_by_key_config_selectorIllEEZZNS1_16scan_by_key_implILNS1_25lookback_scan_determinismE0ELb0ES3_N6thrust23THRUST_200600_302600_NS16reverse_iteratorIPKlEESD_NSA_IPlEElN6hipcub16HIPCUB_304000_NS3MaxENSH_8EqualityElEE10hipError_tPvRmT2_T3_T4_T5_mT6_T7_P12ihipStream_tbENKUlT_T0_E_clISt17integral_constantIbLb0EES10_EEDaSV_SW_EUlSV_E_NS1_11comp_targetILNS1_3genE10ELNS1_11target_archE1201ELNS1_3gpuE5ELNS1_3repE0EEENS1_30default_config_static_selectorELNS0_4arch9wavefront6targetE1EEEvT1_: ; @_ZN7rocprim17ROCPRIM_400000_NS6detail17trampoline_kernelINS0_14default_configENS1_27scan_by_key_config_selectorIllEEZZNS1_16scan_by_key_implILNS1_25lookback_scan_determinismE0ELb0ES3_N6thrust23THRUST_200600_302600_NS16reverse_iteratorIPKlEESD_NSA_IPlEElN6hipcub16HIPCUB_304000_NS3MaxENSH_8EqualityElEE10hipError_tPvRmT2_T3_T4_T5_mT6_T7_P12ihipStream_tbENKUlT_T0_E_clISt17integral_constantIbLb0EES10_EEDaSV_SW_EUlSV_E_NS1_11comp_targetILNS1_3genE10ELNS1_11target_archE1201ELNS1_3gpuE5ELNS1_3repE0EEENS1_30default_config_static_selectorELNS0_4arch9wavefront6targetE1EEEvT1_
; %bb.0:
	.section	.rodata,"a",@progbits
	.p2align	6, 0x0
	.amdhsa_kernel _ZN7rocprim17ROCPRIM_400000_NS6detail17trampoline_kernelINS0_14default_configENS1_27scan_by_key_config_selectorIllEEZZNS1_16scan_by_key_implILNS1_25lookback_scan_determinismE0ELb0ES3_N6thrust23THRUST_200600_302600_NS16reverse_iteratorIPKlEESD_NSA_IPlEElN6hipcub16HIPCUB_304000_NS3MaxENSH_8EqualityElEE10hipError_tPvRmT2_T3_T4_T5_mT6_T7_P12ihipStream_tbENKUlT_T0_E_clISt17integral_constantIbLb0EES10_EEDaSV_SW_EUlSV_E_NS1_11comp_targetILNS1_3genE10ELNS1_11target_archE1201ELNS1_3gpuE5ELNS1_3repE0EEENS1_30default_config_static_selectorELNS0_4arch9wavefront6targetE1EEEvT1_
		.amdhsa_group_segment_fixed_size 0
		.amdhsa_private_segment_fixed_size 0
		.amdhsa_kernarg_size 136
		.amdhsa_user_sgpr_count 2
		.amdhsa_user_sgpr_dispatch_ptr 0
		.amdhsa_user_sgpr_queue_ptr 0
		.amdhsa_user_sgpr_kernarg_segment_ptr 1
		.amdhsa_user_sgpr_dispatch_id 0
		.amdhsa_user_sgpr_kernarg_preload_length 0
		.amdhsa_user_sgpr_kernarg_preload_offset 0
		.amdhsa_user_sgpr_private_segment_size 0
		.amdhsa_uses_dynamic_stack 0
		.amdhsa_enable_private_segment 0
		.amdhsa_system_sgpr_workgroup_id_x 1
		.amdhsa_system_sgpr_workgroup_id_y 0
		.amdhsa_system_sgpr_workgroup_id_z 0
		.amdhsa_system_sgpr_workgroup_info 0
		.amdhsa_system_vgpr_workitem_id 0
		.amdhsa_next_free_vgpr 1
		.amdhsa_next_free_sgpr 0
		.amdhsa_accum_offset 4
		.amdhsa_reserve_vcc 0
		.amdhsa_float_round_mode_32 0
		.amdhsa_float_round_mode_16_64 0
		.amdhsa_float_denorm_mode_32 3
		.amdhsa_float_denorm_mode_16_64 3
		.amdhsa_dx10_clamp 1
		.amdhsa_ieee_mode 1
		.amdhsa_fp16_overflow 0
		.amdhsa_tg_split 0
		.amdhsa_exception_fp_ieee_invalid_op 0
		.amdhsa_exception_fp_denorm_src 0
		.amdhsa_exception_fp_ieee_div_zero 0
		.amdhsa_exception_fp_ieee_overflow 0
		.amdhsa_exception_fp_ieee_underflow 0
		.amdhsa_exception_fp_ieee_inexact 0
		.amdhsa_exception_int_div_zero 0
	.end_amdhsa_kernel
	.section	.text._ZN7rocprim17ROCPRIM_400000_NS6detail17trampoline_kernelINS0_14default_configENS1_27scan_by_key_config_selectorIllEEZZNS1_16scan_by_key_implILNS1_25lookback_scan_determinismE0ELb0ES3_N6thrust23THRUST_200600_302600_NS16reverse_iteratorIPKlEESD_NSA_IPlEElN6hipcub16HIPCUB_304000_NS3MaxENSH_8EqualityElEE10hipError_tPvRmT2_T3_T4_T5_mT6_T7_P12ihipStream_tbENKUlT_T0_E_clISt17integral_constantIbLb0EES10_EEDaSV_SW_EUlSV_E_NS1_11comp_targetILNS1_3genE10ELNS1_11target_archE1201ELNS1_3gpuE5ELNS1_3repE0EEENS1_30default_config_static_selectorELNS0_4arch9wavefront6targetE1EEEvT1_,"axG",@progbits,_ZN7rocprim17ROCPRIM_400000_NS6detail17trampoline_kernelINS0_14default_configENS1_27scan_by_key_config_selectorIllEEZZNS1_16scan_by_key_implILNS1_25lookback_scan_determinismE0ELb0ES3_N6thrust23THRUST_200600_302600_NS16reverse_iteratorIPKlEESD_NSA_IPlEElN6hipcub16HIPCUB_304000_NS3MaxENSH_8EqualityElEE10hipError_tPvRmT2_T3_T4_T5_mT6_T7_P12ihipStream_tbENKUlT_T0_E_clISt17integral_constantIbLb0EES10_EEDaSV_SW_EUlSV_E_NS1_11comp_targetILNS1_3genE10ELNS1_11target_archE1201ELNS1_3gpuE5ELNS1_3repE0EEENS1_30default_config_static_selectorELNS0_4arch9wavefront6targetE1EEEvT1_,comdat
.Lfunc_end138:
	.size	_ZN7rocprim17ROCPRIM_400000_NS6detail17trampoline_kernelINS0_14default_configENS1_27scan_by_key_config_selectorIllEEZZNS1_16scan_by_key_implILNS1_25lookback_scan_determinismE0ELb0ES3_N6thrust23THRUST_200600_302600_NS16reverse_iteratorIPKlEESD_NSA_IPlEElN6hipcub16HIPCUB_304000_NS3MaxENSH_8EqualityElEE10hipError_tPvRmT2_T3_T4_T5_mT6_T7_P12ihipStream_tbENKUlT_T0_E_clISt17integral_constantIbLb0EES10_EEDaSV_SW_EUlSV_E_NS1_11comp_targetILNS1_3genE10ELNS1_11target_archE1201ELNS1_3gpuE5ELNS1_3repE0EEENS1_30default_config_static_selectorELNS0_4arch9wavefront6targetE1EEEvT1_, .Lfunc_end138-_ZN7rocprim17ROCPRIM_400000_NS6detail17trampoline_kernelINS0_14default_configENS1_27scan_by_key_config_selectorIllEEZZNS1_16scan_by_key_implILNS1_25lookback_scan_determinismE0ELb0ES3_N6thrust23THRUST_200600_302600_NS16reverse_iteratorIPKlEESD_NSA_IPlEElN6hipcub16HIPCUB_304000_NS3MaxENSH_8EqualityElEE10hipError_tPvRmT2_T3_T4_T5_mT6_T7_P12ihipStream_tbENKUlT_T0_E_clISt17integral_constantIbLb0EES10_EEDaSV_SW_EUlSV_E_NS1_11comp_targetILNS1_3genE10ELNS1_11target_archE1201ELNS1_3gpuE5ELNS1_3repE0EEENS1_30default_config_static_selectorELNS0_4arch9wavefront6targetE1EEEvT1_
                                        ; -- End function
	.set _ZN7rocprim17ROCPRIM_400000_NS6detail17trampoline_kernelINS0_14default_configENS1_27scan_by_key_config_selectorIllEEZZNS1_16scan_by_key_implILNS1_25lookback_scan_determinismE0ELb0ES3_N6thrust23THRUST_200600_302600_NS16reverse_iteratorIPKlEESD_NSA_IPlEElN6hipcub16HIPCUB_304000_NS3MaxENSH_8EqualityElEE10hipError_tPvRmT2_T3_T4_T5_mT6_T7_P12ihipStream_tbENKUlT_T0_E_clISt17integral_constantIbLb0EES10_EEDaSV_SW_EUlSV_E_NS1_11comp_targetILNS1_3genE10ELNS1_11target_archE1201ELNS1_3gpuE5ELNS1_3repE0EEENS1_30default_config_static_selectorELNS0_4arch9wavefront6targetE1EEEvT1_.num_vgpr, 0
	.set _ZN7rocprim17ROCPRIM_400000_NS6detail17trampoline_kernelINS0_14default_configENS1_27scan_by_key_config_selectorIllEEZZNS1_16scan_by_key_implILNS1_25lookback_scan_determinismE0ELb0ES3_N6thrust23THRUST_200600_302600_NS16reverse_iteratorIPKlEESD_NSA_IPlEElN6hipcub16HIPCUB_304000_NS3MaxENSH_8EqualityElEE10hipError_tPvRmT2_T3_T4_T5_mT6_T7_P12ihipStream_tbENKUlT_T0_E_clISt17integral_constantIbLb0EES10_EEDaSV_SW_EUlSV_E_NS1_11comp_targetILNS1_3genE10ELNS1_11target_archE1201ELNS1_3gpuE5ELNS1_3repE0EEENS1_30default_config_static_selectorELNS0_4arch9wavefront6targetE1EEEvT1_.num_agpr, 0
	.set _ZN7rocprim17ROCPRIM_400000_NS6detail17trampoline_kernelINS0_14default_configENS1_27scan_by_key_config_selectorIllEEZZNS1_16scan_by_key_implILNS1_25lookback_scan_determinismE0ELb0ES3_N6thrust23THRUST_200600_302600_NS16reverse_iteratorIPKlEESD_NSA_IPlEElN6hipcub16HIPCUB_304000_NS3MaxENSH_8EqualityElEE10hipError_tPvRmT2_T3_T4_T5_mT6_T7_P12ihipStream_tbENKUlT_T0_E_clISt17integral_constantIbLb0EES10_EEDaSV_SW_EUlSV_E_NS1_11comp_targetILNS1_3genE10ELNS1_11target_archE1201ELNS1_3gpuE5ELNS1_3repE0EEENS1_30default_config_static_selectorELNS0_4arch9wavefront6targetE1EEEvT1_.numbered_sgpr, 0
	.set _ZN7rocprim17ROCPRIM_400000_NS6detail17trampoline_kernelINS0_14default_configENS1_27scan_by_key_config_selectorIllEEZZNS1_16scan_by_key_implILNS1_25lookback_scan_determinismE0ELb0ES3_N6thrust23THRUST_200600_302600_NS16reverse_iteratorIPKlEESD_NSA_IPlEElN6hipcub16HIPCUB_304000_NS3MaxENSH_8EqualityElEE10hipError_tPvRmT2_T3_T4_T5_mT6_T7_P12ihipStream_tbENKUlT_T0_E_clISt17integral_constantIbLb0EES10_EEDaSV_SW_EUlSV_E_NS1_11comp_targetILNS1_3genE10ELNS1_11target_archE1201ELNS1_3gpuE5ELNS1_3repE0EEENS1_30default_config_static_selectorELNS0_4arch9wavefront6targetE1EEEvT1_.num_named_barrier, 0
	.set _ZN7rocprim17ROCPRIM_400000_NS6detail17trampoline_kernelINS0_14default_configENS1_27scan_by_key_config_selectorIllEEZZNS1_16scan_by_key_implILNS1_25lookback_scan_determinismE0ELb0ES3_N6thrust23THRUST_200600_302600_NS16reverse_iteratorIPKlEESD_NSA_IPlEElN6hipcub16HIPCUB_304000_NS3MaxENSH_8EqualityElEE10hipError_tPvRmT2_T3_T4_T5_mT6_T7_P12ihipStream_tbENKUlT_T0_E_clISt17integral_constantIbLb0EES10_EEDaSV_SW_EUlSV_E_NS1_11comp_targetILNS1_3genE10ELNS1_11target_archE1201ELNS1_3gpuE5ELNS1_3repE0EEENS1_30default_config_static_selectorELNS0_4arch9wavefront6targetE1EEEvT1_.private_seg_size, 0
	.set _ZN7rocprim17ROCPRIM_400000_NS6detail17trampoline_kernelINS0_14default_configENS1_27scan_by_key_config_selectorIllEEZZNS1_16scan_by_key_implILNS1_25lookback_scan_determinismE0ELb0ES3_N6thrust23THRUST_200600_302600_NS16reverse_iteratorIPKlEESD_NSA_IPlEElN6hipcub16HIPCUB_304000_NS3MaxENSH_8EqualityElEE10hipError_tPvRmT2_T3_T4_T5_mT6_T7_P12ihipStream_tbENKUlT_T0_E_clISt17integral_constantIbLb0EES10_EEDaSV_SW_EUlSV_E_NS1_11comp_targetILNS1_3genE10ELNS1_11target_archE1201ELNS1_3gpuE5ELNS1_3repE0EEENS1_30default_config_static_selectorELNS0_4arch9wavefront6targetE1EEEvT1_.uses_vcc, 0
	.set _ZN7rocprim17ROCPRIM_400000_NS6detail17trampoline_kernelINS0_14default_configENS1_27scan_by_key_config_selectorIllEEZZNS1_16scan_by_key_implILNS1_25lookback_scan_determinismE0ELb0ES3_N6thrust23THRUST_200600_302600_NS16reverse_iteratorIPKlEESD_NSA_IPlEElN6hipcub16HIPCUB_304000_NS3MaxENSH_8EqualityElEE10hipError_tPvRmT2_T3_T4_T5_mT6_T7_P12ihipStream_tbENKUlT_T0_E_clISt17integral_constantIbLb0EES10_EEDaSV_SW_EUlSV_E_NS1_11comp_targetILNS1_3genE10ELNS1_11target_archE1201ELNS1_3gpuE5ELNS1_3repE0EEENS1_30default_config_static_selectorELNS0_4arch9wavefront6targetE1EEEvT1_.uses_flat_scratch, 0
	.set _ZN7rocprim17ROCPRIM_400000_NS6detail17trampoline_kernelINS0_14default_configENS1_27scan_by_key_config_selectorIllEEZZNS1_16scan_by_key_implILNS1_25lookback_scan_determinismE0ELb0ES3_N6thrust23THRUST_200600_302600_NS16reverse_iteratorIPKlEESD_NSA_IPlEElN6hipcub16HIPCUB_304000_NS3MaxENSH_8EqualityElEE10hipError_tPvRmT2_T3_T4_T5_mT6_T7_P12ihipStream_tbENKUlT_T0_E_clISt17integral_constantIbLb0EES10_EEDaSV_SW_EUlSV_E_NS1_11comp_targetILNS1_3genE10ELNS1_11target_archE1201ELNS1_3gpuE5ELNS1_3repE0EEENS1_30default_config_static_selectorELNS0_4arch9wavefront6targetE1EEEvT1_.has_dyn_sized_stack, 0
	.set _ZN7rocprim17ROCPRIM_400000_NS6detail17trampoline_kernelINS0_14default_configENS1_27scan_by_key_config_selectorIllEEZZNS1_16scan_by_key_implILNS1_25lookback_scan_determinismE0ELb0ES3_N6thrust23THRUST_200600_302600_NS16reverse_iteratorIPKlEESD_NSA_IPlEElN6hipcub16HIPCUB_304000_NS3MaxENSH_8EqualityElEE10hipError_tPvRmT2_T3_T4_T5_mT6_T7_P12ihipStream_tbENKUlT_T0_E_clISt17integral_constantIbLb0EES10_EEDaSV_SW_EUlSV_E_NS1_11comp_targetILNS1_3genE10ELNS1_11target_archE1201ELNS1_3gpuE5ELNS1_3repE0EEENS1_30default_config_static_selectorELNS0_4arch9wavefront6targetE1EEEvT1_.has_recursion, 0
	.set _ZN7rocprim17ROCPRIM_400000_NS6detail17trampoline_kernelINS0_14default_configENS1_27scan_by_key_config_selectorIllEEZZNS1_16scan_by_key_implILNS1_25lookback_scan_determinismE0ELb0ES3_N6thrust23THRUST_200600_302600_NS16reverse_iteratorIPKlEESD_NSA_IPlEElN6hipcub16HIPCUB_304000_NS3MaxENSH_8EqualityElEE10hipError_tPvRmT2_T3_T4_T5_mT6_T7_P12ihipStream_tbENKUlT_T0_E_clISt17integral_constantIbLb0EES10_EEDaSV_SW_EUlSV_E_NS1_11comp_targetILNS1_3genE10ELNS1_11target_archE1201ELNS1_3gpuE5ELNS1_3repE0EEENS1_30default_config_static_selectorELNS0_4arch9wavefront6targetE1EEEvT1_.has_indirect_call, 0
	.section	.AMDGPU.csdata,"",@progbits
; Kernel info:
; codeLenInByte = 0
; TotalNumSgprs: 6
; NumVgprs: 0
; NumAgprs: 0
; TotalNumVgprs: 0
; ScratchSize: 0
; MemoryBound: 0
; FloatMode: 240
; IeeeMode: 1
; LDSByteSize: 0 bytes/workgroup (compile time only)
; SGPRBlocks: 0
; VGPRBlocks: 0
; NumSGPRsForWavesPerEU: 6
; NumVGPRsForWavesPerEU: 1
; AccumOffset: 4
; Occupancy: 8
; WaveLimiterHint : 0
; COMPUTE_PGM_RSRC2:SCRATCH_EN: 0
; COMPUTE_PGM_RSRC2:USER_SGPR: 2
; COMPUTE_PGM_RSRC2:TRAP_HANDLER: 0
; COMPUTE_PGM_RSRC2:TGID_X_EN: 1
; COMPUTE_PGM_RSRC2:TGID_Y_EN: 0
; COMPUTE_PGM_RSRC2:TGID_Z_EN: 0
; COMPUTE_PGM_RSRC2:TIDIG_COMP_CNT: 0
; COMPUTE_PGM_RSRC3_GFX90A:ACCUM_OFFSET: 0
; COMPUTE_PGM_RSRC3_GFX90A:TG_SPLIT: 0
	.section	.text._ZN7rocprim17ROCPRIM_400000_NS6detail17trampoline_kernelINS0_14default_configENS1_27scan_by_key_config_selectorIllEEZZNS1_16scan_by_key_implILNS1_25lookback_scan_determinismE0ELb0ES3_N6thrust23THRUST_200600_302600_NS16reverse_iteratorIPKlEESD_NSA_IPlEElN6hipcub16HIPCUB_304000_NS3MaxENSH_8EqualityElEE10hipError_tPvRmT2_T3_T4_T5_mT6_T7_P12ihipStream_tbENKUlT_T0_E_clISt17integral_constantIbLb0EES10_EEDaSV_SW_EUlSV_E_NS1_11comp_targetILNS1_3genE5ELNS1_11target_archE942ELNS1_3gpuE9ELNS1_3repE0EEENS1_30default_config_static_selectorELNS0_4arch9wavefront6targetE1EEEvT1_,"axG",@progbits,_ZN7rocprim17ROCPRIM_400000_NS6detail17trampoline_kernelINS0_14default_configENS1_27scan_by_key_config_selectorIllEEZZNS1_16scan_by_key_implILNS1_25lookback_scan_determinismE0ELb0ES3_N6thrust23THRUST_200600_302600_NS16reverse_iteratorIPKlEESD_NSA_IPlEElN6hipcub16HIPCUB_304000_NS3MaxENSH_8EqualityElEE10hipError_tPvRmT2_T3_T4_T5_mT6_T7_P12ihipStream_tbENKUlT_T0_E_clISt17integral_constantIbLb0EES10_EEDaSV_SW_EUlSV_E_NS1_11comp_targetILNS1_3genE5ELNS1_11target_archE942ELNS1_3gpuE9ELNS1_3repE0EEENS1_30default_config_static_selectorELNS0_4arch9wavefront6targetE1EEEvT1_,comdat
	.protected	_ZN7rocprim17ROCPRIM_400000_NS6detail17trampoline_kernelINS0_14default_configENS1_27scan_by_key_config_selectorIllEEZZNS1_16scan_by_key_implILNS1_25lookback_scan_determinismE0ELb0ES3_N6thrust23THRUST_200600_302600_NS16reverse_iteratorIPKlEESD_NSA_IPlEElN6hipcub16HIPCUB_304000_NS3MaxENSH_8EqualityElEE10hipError_tPvRmT2_T3_T4_T5_mT6_T7_P12ihipStream_tbENKUlT_T0_E_clISt17integral_constantIbLb0EES10_EEDaSV_SW_EUlSV_E_NS1_11comp_targetILNS1_3genE5ELNS1_11target_archE942ELNS1_3gpuE9ELNS1_3repE0EEENS1_30default_config_static_selectorELNS0_4arch9wavefront6targetE1EEEvT1_ ; -- Begin function _ZN7rocprim17ROCPRIM_400000_NS6detail17trampoline_kernelINS0_14default_configENS1_27scan_by_key_config_selectorIllEEZZNS1_16scan_by_key_implILNS1_25lookback_scan_determinismE0ELb0ES3_N6thrust23THRUST_200600_302600_NS16reverse_iteratorIPKlEESD_NSA_IPlEElN6hipcub16HIPCUB_304000_NS3MaxENSH_8EqualityElEE10hipError_tPvRmT2_T3_T4_T5_mT6_T7_P12ihipStream_tbENKUlT_T0_E_clISt17integral_constantIbLb0EES10_EEDaSV_SW_EUlSV_E_NS1_11comp_targetILNS1_3genE5ELNS1_11target_archE942ELNS1_3gpuE9ELNS1_3repE0EEENS1_30default_config_static_selectorELNS0_4arch9wavefront6targetE1EEEvT1_
	.globl	_ZN7rocprim17ROCPRIM_400000_NS6detail17trampoline_kernelINS0_14default_configENS1_27scan_by_key_config_selectorIllEEZZNS1_16scan_by_key_implILNS1_25lookback_scan_determinismE0ELb0ES3_N6thrust23THRUST_200600_302600_NS16reverse_iteratorIPKlEESD_NSA_IPlEElN6hipcub16HIPCUB_304000_NS3MaxENSH_8EqualityElEE10hipError_tPvRmT2_T3_T4_T5_mT6_T7_P12ihipStream_tbENKUlT_T0_E_clISt17integral_constantIbLb0EES10_EEDaSV_SW_EUlSV_E_NS1_11comp_targetILNS1_3genE5ELNS1_11target_archE942ELNS1_3gpuE9ELNS1_3repE0EEENS1_30default_config_static_selectorELNS0_4arch9wavefront6targetE1EEEvT1_
	.p2align	8
	.type	_ZN7rocprim17ROCPRIM_400000_NS6detail17trampoline_kernelINS0_14default_configENS1_27scan_by_key_config_selectorIllEEZZNS1_16scan_by_key_implILNS1_25lookback_scan_determinismE0ELb0ES3_N6thrust23THRUST_200600_302600_NS16reverse_iteratorIPKlEESD_NSA_IPlEElN6hipcub16HIPCUB_304000_NS3MaxENSH_8EqualityElEE10hipError_tPvRmT2_T3_T4_T5_mT6_T7_P12ihipStream_tbENKUlT_T0_E_clISt17integral_constantIbLb0EES10_EEDaSV_SW_EUlSV_E_NS1_11comp_targetILNS1_3genE5ELNS1_11target_archE942ELNS1_3gpuE9ELNS1_3repE0EEENS1_30default_config_static_selectorELNS0_4arch9wavefront6targetE1EEEvT1_,@function
_ZN7rocprim17ROCPRIM_400000_NS6detail17trampoline_kernelINS0_14default_configENS1_27scan_by_key_config_selectorIllEEZZNS1_16scan_by_key_implILNS1_25lookback_scan_determinismE0ELb0ES3_N6thrust23THRUST_200600_302600_NS16reverse_iteratorIPKlEESD_NSA_IPlEElN6hipcub16HIPCUB_304000_NS3MaxENSH_8EqualityElEE10hipError_tPvRmT2_T3_T4_T5_mT6_T7_P12ihipStream_tbENKUlT_T0_E_clISt17integral_constantIbLb0EES10_EEDaSV_SW_EUlSV_E_NS1_11comp_targetILNS1_3genE5ELNS1_11target_archE942ELNS1_3gpuE9ELNS1_3repE0EEENS1_30default_config_static_selectorELNS0_4arch9wavefront6targetE1EEEvT1_: ; @_ZN7rocprim17ROCPRIM_400000_NS6detail17trampoline_kernelINS0_14default_configENS1_27scan_by_key_config_selectorIllEEZZNS1_16scan_by_key_implILNS1_25lookback_scan_determinismE0ELb0ES3_N6thrust23THRUST_200600_302600_NS16reverse_iteratorIPKlEESD_NSA_IPlEElN6hipcub16HIPCUB_304000_NS3MaxENSH_8EqualityElEE10hipError_tPvRmT2_T3_T4_T5_mT6_T7_P12ihipStream_tbENKUlT_T0_E_clISt17integral_constantIbLb0EES10_EEDaSV_SW_EUlSV_E_NS1_11comp_targetILNS1_3genE5ELNS1_11target_archE942ELNS1_3gpuE9ELNS1_3repE0EEENS1_30default_config_static_selectorELNS0_4arch9wavefront6targetE1EEEvT1_
; %bb.0:
	.section	.rodata,"a",@progbits
	.p2align	6, 0x0
	.amdhsa_kernel _ZN7rocprim17ROCPRIM_400000_NS6detail17trampoline_kernelINS0_14default_configENS1_27scan_by_key_config_selectorIllEEZZNS1_16scan_by_key_implILNS1_25lookback_scan_determinismE0ELb0ES3_N6thrust23THRUST_200600_302600_NS16reverse_iteratorIPKlEESD_NSA_IPlEElN6hipcub16HIPCUB_304000_NS3MaxENSH_8EqualityElEE10hipError_tPvRmT2_T3_T4_T5_mT6_T7_P12ihipStream_tbENKUlT_T0_E_clISt17integral_constantIbLb0EES10_EEDaSV_SW_EUlSV_E_NS1_11comp_targetILNS1_3genE5ELNS1_11target_archE942ELNS1_3gpuE9ELNS1_3repE0EEENS1_30default_config_static_selectorELNS0_4arch9wavefront6targetE1EEEvT1_
		.amdhsa_group_segment_fixed_size 0
		.amdhsa_private_segment_fixed_size 0
		.amdhsa_kernarg_size 136
		.amdhsa_user_sgpr_count 2
		.amdhsa_user_sgpr_dispatch_ptr 0
		.amdhsa_user_sgpr_queue_ptr 0
		.amdhsa_user_sgpr_kernarg_segment_ptr 1
		.amdhsa_user_sgpr_dispatch_id 0
		.amdhsa_user_sgpr_kernarg_preload_length 0
		.amdhsa_user_sgpr_kernarg_preload_offset 0
		.amdhsa_user_sgpr_private_segment_size 0
		.amdhsa_uses_dynamic_stack 0
		.amdhsa_enable_private_segment 0
		.amdhsa_system_sgpr_workgroup_id_x 1
		.amdhsa_system_sgpr_workgroup_id_y 0
		.amdhsa_system_sgpr_workgroup_id_z 0
		.amdhsa_system_sgpr_workgroup_info 0
		.amdhsa_system_vgpr_workitem_id 0
		.amdhsa_next_free_vgpr 1
		.amdhsa_next_free_sgpr 0
		.amdhsa_accum_offset 4
		.amdhsa_reserve_vcc 0
		.amdhsa_float_round_mode_32 0
		.amdhsa_float_round_mode_16_64 0
		.amdhsa_float_denorm_mode_32 3
		.amdhsa_float_denorm_mode_16_64 3
		.amdhsa_dx10_clamp 1
		.amdhsa_ieee_mode 1
		.amdhsa_fp16_overflow 0
		.amdhsa_tg_split 0
		.amdhsa_exception_fp_ieee_invalid_op 0
		.amdhsa_exception_fp_denorm_src 0
		.amdhsa_exception_fp_ieee_div_zero 0
		.amdhsa_exception_fp_ieee_overflow 0
		.amdhsa_exception_fp_ieee_underflow 0
		.amdhsa_exception_fp_ieee_inexact 0
		.amdhsa_exception_int_div_zero 0
	.end_amdhsa_kernel
	.section	.text._ZN7rocprim17ROCPRIM_400000_NS6detail17trampoline_kernelINS0_14default_configENS1_27scan_by_key_config_selectorIllEEZZNS1_16scan_by_key_implILNS1_25lookback_scan_determinismE0ELb0ES3_N6thrust23THRUST_200600_302600_NS16reverse_iteratorIPKlEESD_NSA_IPlEElN6hipcub16HIPCUB_304000_NS3MaxENSH_8EqualityElEE10hipError_tPvRmT2_T3_T4_T5_mT6_T7_P12ihipStream_tbENKUlT_T0_E_clISt17integral_constantIbLb0EES10_EEDaSV_SW_EUlSV_E_NS1_11comp_targetILNS1_3genE5ELNS1_11target_archE942ELNS1_3gpuE9ELNS1_3repE0EEENS1_30default_config_static_selectorELNS0_4arch9wavefront6targetE1EEEvT1_,"axG",@progbits,_ZN7rocprim17ROCPRIM_400000_NS6detail17trampoline_kernelINS0_14default_configENS1_27scan_by_key_config_selectorIllEEZZNS1_16scan_by_key_implILNS1_25lookback_scan_determinismE0ELb0ES3_N6thrust23THRUST_200600_302600_NS16reverse_iteratorIPKlEESD_NSA_IPlEElN6hipcub16HIPCUB_304000_NS3MaxENSH_8EqualityElEE10hipError_tPvRmT2_T3_T4_T5_mT6_T7_P12ihipStream_tbENKUlT_T0_E_clISt17integral_constantIbLb0EES10_EEDaSV_SW_EUlSV_E_NS1_11comp_targetILNS1_3genE5ELNS1_11target_archE942ELNS1_3gpuE9ELNS1_3repE0EEENS1_30default_config_static_selectorELNS0_4arch9wavefront6targetE1EEEvT1_,comdat
.Lfunc_end139:
	.size	_ZN7rocprim17ROCPRIM_400000_NS6detail17trampoline_kernelINS0_14default_configENS1_27scan_by_key_config_selectorIllEEZZNS1_16scan_by_key_implILNS1_25lookback_scan_determinismE0ELb0ES3_N6thrust23THRUST_200600_302600_NS16reverse_iteratorIPKlEESD_NSA_IPlEElN6hipcub16HIPCUB_304000_NS3MaxENSH_8EqualityElEE10hipError_tPvRmT2_T3_T4_T5_mT6_T7_P12ihipStream_tbENKUlT_T0_E_clISt17integral_constantIbLb0EES10_EEDaSV_SW_EUlSV_E_NS1_11comp_targetILNS1_3genE5ELNS1_11target_archE942ELNS1_3gpuE9ELNS1_3repE0EEENS1_30default_config_static_selectorELNS0_4arch9wavefront6targetE1EEEvT1_, .Lfunc_end139-_ZN7rocprim17ROCPRIM_400000_NS6detail17trampoline_kernelINS0_14default_configENS1_27scan_by_key_config_selectorIllEEZZNS1_16scan_by_key_implILNS1_25lookback_scan_determinismE0ELb0ES3_N6thrust23THRUST_200600_302600_NS16reverse_iteratorIPKlEESD_NSA_IPlEElN6hipcub16HIPCUB_304000_NS3MaxENSH_8EqualityElEE10hipError_tPvRmT2_T3_T4_T5_mT6_T7_P12ihipStream_tbENKUlT_T0_E_clISt17integral_constantIbLb0EES10_EEDaSV_SW_EUlSV_E_NS1_11comp_targetILNS1_3genE5ELNS1_11target_archE942ELNS1_3gpuE9ELNS1_3repE0EEENS1_30default_config_static_selectorELNS0_4arch9wavefront6targetE1EEEvT1_
                                        ; -- End function
	.set _ZN7rocprim17ROCPRIM_400000_NS6detail17trampoline_kernelINS0_14default_configENS1_27scan_by_key_config_selectorIllEEZZNS1_16scan_by_key_implILNS1_25lookback_scan_determinismE0ELb0ES3_N6thrust23THRUST_200600_302600_NS16reverse_iteratorIPKlEESD_NSA_IPlEElN6hipcub16HIPCUB_304000_NS3MaxENSH_8EqualityElEE10hipError_tPvRmT2_T3_T4_T5_mT6_T7_P12ihipStream_tbENKUlT_T0_E_clISt17integral_constantIbLb0EES10_EEDaSV_SW_EUlSV_E_NS1_11comp_targetILNS1_3genE5ELNS1_11target_archE942ELNS1_3gpuE9ELNS1_3repE0EEENS1_30default_config_static_selectorELNS0_4arch9wavefront6targetE1EEEvT1_.num_vgpr, 0
	.set _ZN7rocprim17ROCPRIM_400000_NS6detail17trampoline_kernelINS0_14default_configENS1_27scan_by_key_config_selectorIllEEZZNS1_16scan_by_key_implILNS1_25lookback_scan_determinismE0ELb0ES3_N6thrust23THRUST_200600_302600_NS16reverse_iteratorIPKlEESD_NSA_IPlEElN6hipcub16HIPCUB_304000_NS3MaxENSH_8EqualityElEE10hipError_tPvRmT2_T3_T4_T5_mT6_T7_P12ihipStream_tbENKUlT_T0_E_clISt17integral_constantIbLb0EES10_EEDaSV_SW_EUlSV_E_NS1_11comp_targetILNS1_3genE5ELNS1_11target_archE942ELNS1_3gpuE9ELNS1_3repE0EEENS1_30default_config_static_selectorELNS0_4arch9wavefront6targetE1EEEvT1_.num_agpr, 0
	.set _ZN7rocprim17ROCPRIM_400000_NS6detail17trampoline_kernelINS0_14default_configENS1_27scan_by_key_config_selectorIllEEZZNS1_16scan_by_key_implILNS1_25lookback_scan_determinismE0ELb0ES3_N6thrust23THRUST_200600_302600_NS16reverse_iteratorIPKlEESD_NSA_IPlEElN6hipcub16HIPCUB_304000_NS3MaxENSH_8EqualityElEE10hipError_tPvRmT2_T3_T4_T5_mT6_T7_P12ihipStream_tbENKUlT_T0_E_clISt17integral_constantIbLb0EES10_EEDaSV_SW_EUlSV_E_NS1_11comp_targetILNS1_3genE5ELNS1_11target_archE942ELNS1_3gpuE9ELNS1_3repE0EEENS1_30default_config_static_selectorELNS0_4arch9wavefront6targetE1EEEvT1_.numbered_sgpr, 0
	.set _ZN7rocprim17ROCPRIM_400000_NS6detail17trampoline_kernelINS0_14default_configENS1_27scan_by_key_config_selectorIllEEZZNS1_16scan_by_key_implILNS1_25lookback_scan_determinismE0ELb0ES3_N6thrust23THRUST_200600_302600_NS16reverse_iteratorIPKlEESD_NSA_IPlEElN6hipcub16HIPCUB_304000_NS3MaxENSH_8EqualityElEE10hipError_tPvRmT2_T3_T4_T5_mT6_T7_P12ihipStream_tbENKUlT_T0_E_clISt17integral_constantIbLb0EES10_EEDaSV_SW_EUlSV_E_NS1_11comp_targetILNS1_3genE5ELNS1_11target_archE942ELNS1_3gpuE9ELNS1_3repE0EEENS1_30default_config_static_selectorELNS0_4arch9wavefront6targetE1EEEvT1_.num_named_barrier, 0
	.set _ZN7rocprim17ROCPRIM_400000_NS6detail17trampoline_kernelINS0_14default_configENS1_27scan_by_key_config_selectorIllEEZZNS1_16scan_by_key_implILNS1_25lookback_scan_determinismE0ELb0ES3_N6thrust23THRUST_200600_302600_NS16reverse_iteratorIPKlEESD_NSA_IPlEElN6hipcub16HIPCUB_304000_NS3MaxENSH_8EqualityElEE10hipError_tPvRmT2_T3_T4_T5_mT6_T7_P12ihipStream_tbENKUlT_T0_E_clISt17integral_constantIbLb0EES10_EEDaSV_SW_EUlSV_E_NS1_11comp_targetILNS1_3genE5ELNS1_11target_archE942ELNS1_3gpuE9ELNS1_3repE0EEENS1_30default_config_static_selectorELNS0_4arch9wavefront6targetE1EEEvT1_.private_seg_size, 0
	.set _ZN7rocprim17ROCPRIM_400000_NS6detail17trampoline_kernelINS0_14default_configENS1_27scan_by_key_config_selectorIllEEZZNS1_16scan_by_key_implILNS1_25lookback_scan_determinismE0ELb0ES3_N6thrust23THRUST_200600_302600_NS16reverse_iteratorIPKlEESD_NSA_IPlEElN6hipcub16HIPCUB_304000_NS3MaxENSH_8EqualityElEE10hipError_tPvRmT2_T3_T4_T5_mT6_T7_P12ihipStream_tbENKUlT_T0_E_clISt17integral_constantIbLb0EES10_EEDaSV_SW_EUlSV_E_NS1_11comp_targetILNS1_3genE5ELNS1_11target_archE942ELNS1_3gpuE9ELNS1_3repE0EEENS1_30default_config_static_selectorELNS0_4arch9wavefront6targetE1EEEvT1_.uses_vcc, 0
	.set _ZN7rocprim17ROCPRIM_400000_NS6detail17trampoline_kernelINS0_14default_configENS1_27scan_by_key_config_selectorIllEEZZNS1_16scan_by_key_implILNS1_25lookback_scan_determinismE0ELb0ES3_N6thrust23THRUST_200600_302600_NS16reverse_iteratorIPKlEESD_NSA_IPlEElN6hipcub16HIPCUB_304000_NS3MaxENSH_8EqualityElEE10hipError_tPvRmT2_T3_T4_T5_mT6_T7_P12ihipStream_tbENKUlT_T0_E_clISt17integral_constantIbLb0EES10_EEDaSV_SW_EUlSV_E_NS1_11comp_targetILNS1_3genE5ELNS1_11target_archE942ELNS1_3gpuE9ELNS1_3repE0EEENS1_30default_config_static_selectorELNS0_4arch9wavefront6targetE1EEEvT1_.uses_flat_scratch, 0
	.set _ZN7rocprim17ROCPRIM_400000_NS6detail17trampoline_kernelINS0_14default_configENS1_27scan_by_key_config_selectorIllEEZZNS1_16scan_by_key_implILNS1_25lookback_scan_determinismE0ELb0ES3_N6thrust23THRUST_200600_302600_NS16reverse_iteratorIPKlEESD_NSA_IPlEElN6hipcub16HIPCUB_304000_NS3MaxENSH_8EqualityElEE10hipError_tPvRmT2_T3_T4_T5_mT6_T7_P12ihipStream_tbENKUlT_T0_E_clISt17integral_constantIbLb0EES10_EEDaSV_SW_EUlSV_E_NS1_11comp_targetILNS1_3genE5ELNS1_11target_archE942ELNS1_3gpuE9ELNS1_3repE0EEENS1_30default_config_static_selectorELNS0_4arch9wavefront6targetE1EEEvT1_.has_dyn_sized_stack, 0
	.set _ZN7rocprim17ROCPRIM_400000_NS6detail17trampoline_kernelINS0_14default_configENS1_27scan_by_key_config_selectorIllEEZZNS1_16scan_by_key_implILNS1_25lookback_scan_determinismE0ELb0ES3_N6thrust23THRUST_200600_302600_NS16reverse_iteratorIPKlEESD_NSA_IPlEElN6hipcub16HIPCUB_304000_NS3MaxENSH_8EqualityElEE10hipError_tPvRmT2_T3_T4_T5_mT6_T7_P12ihipStream_tbENKUlT_T0_E_clISt17integral_constantIbLb0EES10_EEDaSV_SW_EUlSV_E_NS1_11comp_targetILNS1_3genE5ELNS1_11target_archE942ELNS1_3gpuE9ELNS1_3repE0EEENS1_30default_config_static_selectorELNS0_4arch9wavefront6targetE1EEEvT1_.has_recursion, 0
	.set _ZN7rocprim17ROCPRIM_400000_NS6detail17trampoline_kernelINS0_14default_configENS1_27scan_by_key_config_selectorIllEEZZNS1_16scan_by_key_implILNS1_25lookback_scan_determinismE0ELb0ES3_N6thrust23THRUST_200600_302600_NS16reverse_iteratorIPKlEESD_NSA_IPlEElN6hipcub16HIPCUB_304000_NS3MaxENSH_8EqualityElEE10hipError_tPvRmT2_T3_T4_T5_mT6_T7_P12ihipStream_tbENKUlT_T0_E_clISt17integral_constantIbLb0EES10_EEDaSV_SW_EUlSV_E_NS1_11comp_targetILNS1_3genE5ELNS1_11target_archE942ELNS1_3gpuE9ELNS1_3repE0EEENS1_30default_config_static_selectorELNS0_4arch9wavefront6targetE1EEEvT1_.has_indirect_call, 0
	.section	.AMDGPU.csdata,"",@progbits
; Kernel info:
; codeLenInByte = 0
; TotalNumSgprs: 6
; NumVgprs: 0
; NumAgprs: 0
; TotalNumVgprs: 0
; ScratchSize: 0
; MemoryBound: 0
; FloatMode: 240
; IeeeMode: 1
; LDSByteSize: 0 bytes/workgroup (compile time only)
; SGPRBlocks: 0
; VGPRBlocks: 0
; NumSGPRsForWavesPerEU: 6
; NumVGPRsForWavesPerEU: 1
; AccumOffset: 4
; Occupancy: 8
; WaveLimiterHint : 0
; COMPUTE_PGM_RSRC2:SCRATCH_EN: 0
; COMPUTE_PGM_RSRC2:USER_SGPR: 2
; COMPUTE_PGM_RSRC2:TRAP_HANDLER: 0
; COMPUTE_PGM_RSRC2:TGID_X_EN: 1
; COMPUTE_PGM_RSRC2:TGID_Y_EN: 0
; COMPUTE_PGM_RSRC2:TGID_Z_EN: 0
; COMPUTE_PGM_RSRC2:TIDIG_COMP_CNT: 0
; COMPUTE_PGM_RSRC3_GFX90A:ACCUM_OFFSET: 0
; COMPUTE_PGM_RSRC3_GFX90A:TG_SPLIT: 0
	.section	.text._ZN7rocprim17ROCPRIM_400000_NS6detail17trampoline_kernelINS0_14default_configENS1_27scan_by_key_config_selectorIllEEZZNS1_16scan_by_key_implILNS1_25lookback_scan_determinismE0ELb0ES3_N6thrust23THRUST_200600_302600_NS16reverse_iteratorIPKlEESD_NSA_IPlEElN6hipcub16HIPCUB_304000_NS3MaxENSH_8EqualityElEE10hipError_tPvRmT2_T3_T4_T5_mT6_T7_P12ihipStream_tbENKUlT_T0_E_clISt17integral_constantIbLb0EES10_EEDaSV_SW_EUlSV_E_NS1_11comp_targetILNS1_3genE4ELNS1_11target_archE910ELNS1_3gpuE8ELNS1_3repE0EEENS1_30default_config_static_selectorELNS0_4arch9wavefront6targetE1EEEvT1_,"axG",@progbits,_ZN7rocprim17ROCPRIM_400000_NS6detail17trampoline_kernelINS0_14default_configENS1_27scan_by_key_config_selectorIllEEZZNS1_16scan_by_key_implILNS1_25lookback_scan_determinismE0ELb0ES3_N6thrust23THRUST_200600_302600_NS16reverse_iteratorIPKlEESD_NSA_IPlEElN6hipcub16HIPCUB_304000_NS3MaxENSH_8EqualityElEE10hipError_tPvRmT2_T3_T4_T5_mT6_T7_P12ihipStream_tbENKUlT_T0_E_clISt17integral_constantIbLb0EES10_EEDaSV_SW_EUlSV_E_NS1_11comp_targetILNS1_3genE4ELNS1_11target_archE910ELNS1_3gpuE8ELNS1_3repE0EEENS1_30default_config_static_selectorELNS0_4arch9wavefront6targetE1EEEvT1_,comdat
	.protected	_ZN7rocprim17ROCPRIM_400000_NS6detail17trampoline_kernelINS0_14default_configENS1_27scan_by_key_config_selectorIllEEZZNS1_16scan_by_key_implILNS1_25lookback_scan_determinismE0ELb0ES3_N6thrust23THRUST_200600_302600_NS16reverse_iteratorIPKlEESD_NSA_IPlEElN6hipcub16HIPCUB_304000_NS3MaxENSH_8EqualityElEE10hipError_tPvRmT2_T3_T4_T5_mT6_T7_P12ihipStream_tbENKUlT_T0_E_clISt17integral_constantIbLb0EES10_EEDaSV_SW_EUlSV_E_NS1_11comp_targetILNS1_3genE4ELNS1_11target_archE910ELNS1_3gpuE8ELNS1_3repE0EEENS1_30default_config_static_selectorELNS0_4arch9wavefront6targetE1EEEvT1_ ; -- Begin function _ZN7rocprim17ROCPRIM_400000_NS6detail17trampoline_kernelINS0_14default_configENS1_27scan_by_key_config_selectorIllEEZZNS1_16scan_by_key_implILNS1_25lookback_scan_determinismE0ELb0ES3_N6thrust23THRUST_200600_302600_NS16reverse_iteratorIPKlEESD_NSA_IPlEElN6hipcub16HIPCUB_304000_NS3MaxENSH_8EqualityElEE10hipError_tPvRmT2_T3_T4_T5_mT6_T7_P12ihipStream_tbENKUlT_T0_E_clISt17integral_constantIbLb0EES10_EEDaSV_SW_EUlSV_E_NS1_11comp_targetILNS1_3genE4ELNS1_11target_archE910ELNS1_3gpuE8ELNS1_3repE0EEENS1_30default_config_static_selectorELNS0_4arch9wavefront6targetE1EEEvT1_
	.globl	_ZN7rocprim17ROCPRIM_400000_NS6detail17trampoline_kernelINS0_14default_configENS1_27scan_by_key_config_selectorIllEEZZNS1_16scan_by_key_implILNS1_25lookback_scan_determinismE0ELb0ES3_N6thrust23THRUST_200600_302600_NS16reverse_iteratorIPKlEESD_NSA_IPlEElN6hipcub16HIPCUB_304000_NS3MaxENSH_8EqualityElEE10hipError_tPvRmT2_T3_T4_T5_mT6_T7_P12ihipStream_tbENKUlT_T0_E_clISt17integral_constantIbLb0EES10_EEDaSV_SW_EUlSV_E_NS1_11comp_targetILNS1_3genE4ELNS1_11target_archE910ELNS1_3gpuE8ELNS1_3repE0EEENS1_30default_config_static_selectorELNS0_4arch9wavefront6targetE1EEEvT1_
	.p2align	8
	.type	_ZN7rocprim17ROCPRIM_400000_NS6detail17trampoline_kernelINS0_14default_configENS1_27scan_by_key_config_selectorIllEEZZNS1_16scan_by_key_implILNS1_25lookback_scan_determinismE0ELb0ES3_N6thrust23THRUST_200600_302600_NS16reverse_iteratorIPKlEESD_NSA_IPlEElN6hipcub16HIPCUB_304000_NS3MaxENSH_8EqualityElEE10hipError_tPvRmT2_T3_T4_T5_mT6_T7_P12ihipStream_tbENKUlT_T0_E_clISt17integral_constantIbLb0EES10_EEDaSV_SW_EUlSV_E_NS1_11comp_targetILNS1_3genE4ELNS1_11target_archE910ELNS1_3gpuE8ELNS1_3repE0EEENS1_30default_config_static_selectorELNS0_4arch9wavefront6targetE1EEEvT1_,@function
_ZN7rocprim17ROCPRIM_400000_NS6detail17trampoline_kernelINS0_14default_configENS1_27scan_by_key_config_selectorIllEEZZNS1_16scan_by_key_implILNS1_25lookback_scan_determinismE0ELb0ES3_N6thrust23THRUST_200600_302600_NS16reverse_iteratorIPKlEESD_NSA_IPlEElN6hipcub16HIPCUB_304000_NS3MaxENSH_8EqualityElEE10hipError_tPvRmT2_T3_T4_T5_mT6_T7_P12ihipStream_tbENKUlT_T0_E_clISt17integral_constantIbLb0EES10_EEDaSV_SW_EUlSV_E_NS1_11comp_targetILNS1_3genE4ELNS1_11target_archE910ELNS1_3gpuE8ELNS1_3repE0EEENS1_30default_config_static_selectorELNS0_4arch9wavefront6targetE1EEEvT1_: ; @_ZN7rocprim17ROCPRIM_400000_NS6detail17trampoline_kernelINS0_14default_configENS1_27scan_by_key_config_selectorIllEEZZNS1_16scan_by_key_implILNS1_25lookback_scan_determinismE0ELb0ES3_N6thrust23THRUST_200600_302600_NS16reverse_iteratorIPKlEESD_NSA_IPlEElN6hipcub16HIPCUB_304000_NS3MaxENSH_8EqualityElEE10hipError_tPvRmT2_T3_T4_T5_mT6_T7_P12ihipStream_tbENKUlT_T0_E_clISt17integral_constantIbLb0EES10_EEDaSV_SW_EUlSV_E_NS1_11comp_targetILNS1_3genE4ELNS1_11target_archE910ELNS1_3gpuE8ELNS1_3repE0EEENS1_30default_config_static_selectorELNS0_4arch9wavefront6targetE1EEEvT1_
; %bb.0:
	.section	.rodata,"a",@progbits
	.p2align	6, 0x0
	.amdhsa_kernel _ZN7rocprim17ROCPRIM_400000_NS6detail17trampoline_kernelINS0_14default_configENS1_27scan_by_key_config_selectorIllEEZZNS1_16scan_by_key_implILNS1_25lookback_scan_determinismE0ELb0ES3_N6thrust23THRUST_200600_302600_NS16reverse_iteratorIPKlEESD_NSA_IPlEElN6hipcub16HIPCUB_304000_NS3MaxENSH_8EqualityElEE10hipError_tPvRmT2_T3_T4_T5_mT6_T7_P12ihipStream_tbENKUlT_T0_E_clISt17integral_constantIbLb0EES10_EEDaSV_SW_EUlSV_E_NS1_11comp_targetILNS1_3genE4ELNS1_11target_archE910ELNS1_3gpuE8ELNS1_3repE0EEENS1_30default_config_static_selectorELNS0_4arch9wavefront6targetE1EEEvT1_
		.amdhsa_group_segment_fixed_size 0
		.amdhsa_private_segment_fixed_size 0
		.amdhsa_kernarg_size 136
		.amdhsa_user_sgpr_count 2
		.amdhsa_user_sgpr_dispatch_ptr 0
		.amdhsa_user_sgpr_queue_ptr 0
		.amdhsa_user_sgpr_kernarg_segment_ptr 1
		.amdhsa_user_sgpr_dispatch_id 0
		.amdhsa_user_sgpr_kernarg_preload_length 0
		.amdhsa_user_sgpr_kernarg_preload_offset 0
		.amdhsa_user_sgpr_private_segment_size 0
		.amdhsa_uses_dynamic_stack 0
		.amdhsa_enable_private_segment 0
		.amdhsa_system_sgpr_workgroup_id_x 1
		.amdhsa_system_sgpr_workgroup_id_y 0
		.amdhsa_system_sgpr_workgroup_id_z 0
		.amdhsa_system_sgpr_workgroup_info 0
		.amdhsa_system_vgpr_workitem_id 0
		.amdhsa_next_free_vgpr 1
		.amdhsa_next_free_sgpr 0
		.amdhsa_accum_offset 4
		.amdhsa_reserve_vcc 0
		.amdhsa_float_round_mode_32 0
		.amdhsa_float_round_mode_16_64 0
		.amdhsa_float_denorm_mode_32 3
		.amdhsa_float_denorm_mode_16_64 3
		.amdhsa_dx10_clamp 1
		.amdhsa_ieee_mode 1
		.amdhsa_fp16_overflow 0
		.amdhsa_tg_split 0
		.amdhsa_exception_fp_ieee_invalid_op 0
		.amdhsa_exception_fp_denorm_src 0
		.amdhsa_exception_fp_ieee_div_zero 0
		.amdhsa_exception_fp_ieee_overflow 0
		.amdhsa_exception_fp_ieee_underflow 0
		.amdhsa_exception_fp_ieee_inexact 0
		.amdhsa_exception_int_div_zero 0
	.end_amdhsa_kernel
	.section	.text._ZN7rocprim17ROCPRIM_400000_NS6detail17trampoline_kernelINS0_14default_configENS1_27scan_by_key_config_selectorIllEEZZNS1_16scan_by_key_implILNS1_25lookback_scan_determinismE0ELb0ES3_N6thrust23THRUST_200600_302600_NS16reverse_iteratorIPKlEESD_NSA_IPlEElN6hipcub16HIPCUB_304000_NS3MaxENSH_8EqualityElEE10hipError_tPvRmT2_T3_T4_T5_mT6_T7_P12ihipStream_tbENKUlT_T0_E_clISt17integral_constantIbLb0EES10_EEDaSV_SW_EUlSV_E_NS1_11comp_targetILNS1_3genE4ELNS1_11target_archE910ELNS1_3gpuE8ELNS1_3repE0EEENS1_30default_config_static_selectorELNS0_4arch9wavefront6targetE1EEEvT1_,"axG",@progbits,_ZN7rocprim17ROCPRIM_400000_NS6detail17trampoline_kernelINS0_14default_configENS1_27scan_by_key_config_selectorIllEEZZNS1_16scan_by_key_implILNS1_25lookback_scan_determinismE0ELb0ES3_N6thrust23THRUST_200600_302600_NS16reverse_iteratorIPKlEESD_NSA_IPlEElN6hipcub16HIPCUB_304000_NS3MaxENSH_8EqualityElEE10hipError_tPvRmT2_T3_T4_T5_mT6_T7_P12ihipStream_tbENKUlT_T0_E_clISt17integral_constantIbLb0EES10_EEDaSV_SW_EUlSV_E_NS1_11comp_targetILNS1_3genE4ELNS1_11target_archE910ELNS1_3gpuE8ELNS1_3repE0EEENS1_30default_config_static_selectorELNS0_4arch9wavefront6targetE1EEEvT1_,comdat
.Lfunc_end140:
	.size	_ZN7rocprim17ROCPRIM_400000_NS6detail17trampoline_kernelINS0_14default_configENS1_27scan_by_key_config_selectorIllEEZZNS1_16scan_by_key_implILNS1_25lookback_scan_determinismE0ELb0ES3_N6thrust23THRUST_200600_302600_NS16reverse_iteratorIPKlEESD_NSA_IPlEElN6hipcub16HIPCUB_304000_NS3MaxENSH_8EqualityElEE10hipError_tPvRmT2_T3_T4_T5_mT6_T7_P12ihipStream_tbENKUlT_T0_E_clISt17integral_constantIbLb0EES10_EEDaSV_SW_EUlSV_E_NS1_11comp_targetILNS1_3genE4ELNS1_11target_archE910ELNS1_3gpuE8ELNS1_3repE0EEENS1_30default_config_static_selectorELNS0_4arch9wavefront6targetE1EEEvT1_, .Lfunc_end140-_ZN7rocprim17ROCPRIM_400000_NS6detail17trampoline_kernelINS0_14default_configENS1_27scan_by_key_config_selectorIllEEZZNS1_16scan_by_key_implILNS1_25lookback_scan_determinismE0ELb0ES3_N6thrust23THRUST_200600_302600_NS16reverse_iteratorIPKlEESD_NSA_IPlEElN6hipcub16HIPCUB_304000_NS3MaxENSH_8EqualityElEE10hipError_tPvRmT2_T3_T4_T5_mT6_T7_P12ihipStream_tbENKUlT_T0_E_clISt17integral_constantIbLb0EES10_EEDaSV_SW_EUlSV_E_NS1_11comp_targetILNS1_3genE4ELNS1_11target_archE910ELNS1_3gpuE8ELNS1_3repE0EEENS1_30default_config_static_selectorELNS0_4arch9wavefront6targetE1EEEvT1_
                                        ; -- End function
	.set _ZN7rocprim17ROCPRIM_400000_NS6detail17trampoline_kernelINS0_14default_configENS1_27scan_by_key_config_selectorIllEEZZNS1_16scan_by_key_implILNS1_25lookback_scan_determinismE0ELb0ES3_N6thrust23THRUST_200600_302600_NS16reverse_iteratorIPKlEESD_NSA_IPlEElN6hipcub16HIPCUB_304000_NS3MaxENSH_8EqualityElEE10hipError_tPvRmT2_T3_T4_T5_mT6_T7_P12ihipStream_tbENKUlT_T0_E_clISt17integral_constantIbLb0EES10_EEDaSV_SW_EUlSV_E_NS1_11comp_targetILNS1_3genE4ELNS1_11target_archE910ELNS1_3gpuE8ELNS1_3repE0EEENS1_30default_config_static_selectorELNS0_4arch9wavefront6targetE1EEEvT1_.num_vgpr, 0
	.set _ZN7rocprim17ROCPRIM_400000_NS6detail17trampoline_kernelINS0_14default_configENS1_27scan_by_key_config_selectorIllEEZZNS1_16scan_by_key_implILNS1_25lookback_scan_determinismE0ELb0ES3_N6thrust23THRUST_200600_302600_NS16reverse_iteratorIPKlEESD_NSA_IPlEElN6hipcub16HIPCUB_304000_NS3MaxENSH_8EqualityElEE10hipError_tPvRmT2_T3_T4_T5_mT6_T7_P12ihipStream_tbENKUlT_T0_E_clISt17integral_constantIbLb0EES10_EEDaSV_SW_EUlSV_E_NS1_11comp_targetILNS1_3genE4ELNS1_11target_archE910ELNS1_3gpuE8ELNS1_3repE0EEENS1_30default_config_static_selectorELNS0_4arch9wavefront6targetE1EEEvT1_.num_agpr, 0
	.set _ZN7rocprim17ROCPRIM_400000_NS6detail17trampoline_kernelINS0_14default_configENS1_27scan_by_key_config_selectorIllEEZZNS1_16scan_by_key_implILNS1_25lookback_scan_determinismE0ELb0ES3_N6thrust23THRUST_200600_302600_NS16reverse_iteratorIPKlEESD_NSA_IPlEElN6hipcub16HIPCUB_304000_NS3MaxENSH_8EqualityElEE10hipError_tPvRmT2_T3_T4_T5_mT6_T7_P12ihipStream_tbENKUlT_T0_E_clISt17integral_constantIbLb0EES10_EEDaSV_SW_EUlSV_E_NS1_11comp_targetILNS1_3genE4ELNS1_11target_archE910ELNS1_3gpuE8ELNS1_3repE0EEENS1_30default_config_static_selectorELNS0_4arch9wavefront6targetE1EEEvT1_.numbered_sgpr, 0
	.set _ZN7rocprim17ROCPRIM_400000_NS6detail17trampoline_kernelINS0_14default_configENS1_27scan_by_key_config_selectorIllEEZZNS1_16scan_by_key_implILNS1_25lookback_scan_determinismE0ELb0ES3_N6thrust23THRUST_200600_302600_NS16reverse_iteratorIPKlEESD_NSA_IPlEElN6hipcub16HIPCUB_304000_NS3MaxENSH_8EqualityElEE10hipError_tPvRmT2_T3_T4_T5_mT6_T7_P12ihipStream_tbENKUlT_T0_E_clISt17integral_constantIbLb0EES10_EEDaSV_SW_EUlSV_E_NS1_11comp_targetILNS1_3genE4ELNS1_11target_archE910ELNS1_3gpuE8ELNS1_3repE0EEENS1_30default_config_static_selectorELNS0_4arch9wavefront6targetE1EEEvT1_.num_named_barrier, 0
	.set _ZN7rocprim17ROCPRIM_400000_NS6detail17trampoline_kernelINS0_14default_configENS1_27scan_by_key_config_selectorIllEEZZNS1_16scan_by_key_implILNS1_25lookback_scan_determinismE0ELb0ES3_N6thrust23THRUST_200600_302600_NS16reverse_iteratorIPKlEESD_NSA_IPlEElN6hipcub16HIPCUB_304000_NS3MaxENSH_8EqualityElEE10hipError_tPvRmT2_T3_T4_T5_mT6_T7_P12ihipStream_tbENKUlT_T0_E_clISt17integral_constantIbLb0EES10_EEDaSV_SW_EUlSV_E_NS1_11comp_targetILNS1_3genE4ELNS1_11target_archE910ELNS1_3gpuE8ELNS1_3repE0EEENS1_30default_config_static_selectorELNS0_4arch9wavefront6targetE1EEEvT1_.private_seg_size, 0
	.set _ZN7rocprim17ROCPRIM_400000_NS6detail17trampoline_kernelINS0_14default_configENS1_27scan_by_key_config_selectorIllEEZZNS1_16scan_by_key_implILNS1_25lookback_scan_determinismE0ELb0ES3_N6thrust23THRUST_200600_302600_NS16reverse_iteratorIPKlEESD_NSA_IPlEElN6hipcub16HIPCUB_304000_NS3MaxENSH_8EqualityElEE10hipError_tPvRmT2_T3_T4_T5_mT6_T7_P12ihipStream_tbENKUlT_T0_E_clISt17integral_constantIbLb0EES10_EEDaSV_SW_EUlSV_E_NS1_11comp_targetILNS1_3genE4ELNS1_11target_archE910ELNS1_3gpuE8ELNS1_3repE0EEENS1_30default_config_static_selectorELNS0_4arch9wavefront6targetE1EEEvT1_.uses_vcc, 0
	.set _ZN7rocprim17ROCPRIM_400000_NS6detail17trampoline_kernelINS0_14default_configENS1_27scan_by_key_config_selectorIllEEZZNS1_16scan_by_key_implILNS1_25lookback_scan_determinismE0ELb0ES3_N6thrust23THRUST_200600_302600_NS16reverse_iteratorIPKlEESD_NSA_IPlEElN6hipcub16HIPCUB_304000_NS3MaxENSH_8EqualityElEE10hipError_tPvRmT2_T3_T4_T5_mT6_T7_P12ihipStream_tbENKUlT_T0_E_clISt17integral_constantIbLb0EES10_EEDaSV_SW_EUlSV_E_NS1_11comp_targetILNS1_3genE4ELNS1_11target_archE910ELNS1_3gpuE8ELNS1_3repE0EEENS1_30default_config_static_selectorELNS0_4arch9wavefront6targetE1EEEvT1_.uses_flat_scratch, 0
	.set _ZN7rocprim17ROCPRIM_400000_NS6detail17trampoline_kernelINS0_14default_configENS1_27scan_by_key_config_selectorIllEEZZNS1_16scan_by_key_implILNS1_25lookback_scan_determinismE0ELb0ES3_N6thrust23THRUST_200600_302600_NS16reverse_iteratorIPKlEESD_NSA_IPlEElN6hipcub16HIPCUB_304000_NS3MaxENSH_8EqualityElEE10hipError_tPvRmT2_T3_T4_T5_mT6_T7_P12ihipStream_tbENKUlT_T0_E_clISt17integral_constantIbLb0EES10_EEDaSV_SW_EUlSV_E_NS1_11comp_targetILNS1_3genE4ELNS1_11target_archE910ELNS1_3gpuE8ELNS1_3repE0EEENS1_30default_config_static_selectorELNS0_4arch9wavefront6targetE1EEEvT1_.has_dyn_sized_stack, 0
	.set _ZN7rocprim17ROCPRIM_400000_NS6detail17trampoline_kernelINS0_14default_configENS1_27scan_by_key_config_selectorIllEEZZNS1_16scan_by_key_implILNS1_25lookback_scan_determinismE0ELb0ES3_N6thrust23THRUST_200600_302600_NS16reverse_iteratorIPKlEESD_NSA_IPlEElN6hipcub16HIPCUB_304000_NS3MaxENSH_8EqualityElEE10hipError_tPvRmT2_T3_T4_T5_mT6_T7_P12ihipStream_tbENKUlT_T0_E_clISt17integral_constantIbLb0EES10_EEDaSV_SW_EUlSV_E_NS1_11comp_targetILNS1_3genE4ELNS1_11target_archE910ELNS1_3gpuE8ELNS1_3repE0EEENS1_30default_config_static_selectorELNS0_4arch9wavefront6targetE1EEEvT1_.has_recursion, 0
	.set _ZN7rocprim17ROCPRIM_400000_NS6detail17trampoline_kernelINS0_14default_configENS1_27scan_by_key_config_selectorIllEEZZNS1_16scan_by_key_implILNS1_25lookback_scan_determinismE0ELb0ES3_N6thrust23THRUST_200600_302600_NS16reverse_iteratorIPKlEESD_NSA_IPlEElN6hipcub16HIPCUB_304000_NS3MaxENSH_8EqualityElEE10hipError_tPvRmT2_T3_T4_T5_mT6_T7_P12ihipStream_tbENKUlT_T0_E_clISt17integral_constantIbLb0EES10_EEDaSV_SW_EUlSV_E_NS1_11comp_targetILNS1_3genE4ELNS1_11target_archE910ELNS1_3gpuE8ELNS1_3repE0EEENS1_30default_config_static_selectorELNS0_4arch9wavefront6targetE1EEEvT1_.has_indirect_call, 0
	.section	.AMDGPU.csdata,"",@progbits
; Kernel info:
; codeLenInByte = 0
; TotalNumSgprs: 6
; NumVgprs: 0
; NumAgprs: 0
; TotalNumVgprs: 0
; ScratchSize: 0
; MemoryBound: 0
; FloatMode: 240
; IeeeMode: 1
; LDSByteSize: 0 bytes/workgroup (compile time only)
; SGPRBlocks: 0
; VGPRBlocks: 0
; NumSGPRsForWavesPerEU: 6
; NumVGPRsForWavesPerEU: 1
; AccumOffset: 4
; Occupancy: 8
; WaveLimiterHint : 0
; COMPUTE_PGM_RSRC2:SCRATCH_EN: 0
; COMPUTE_PGM_RSRC2:USER_SGPR: 2
; COMPUTE_PGM_RSRC2:TRAP_HANDLER: 0
; COMPUTE_PGM_RSRC2:TGID_X_EN: 1
; COMPUTE_PGM_RSRC2:TGID_Y_EN: 0
; COMPUTE_PGM_RSRC2:TGID_Z_EN: 0
; COMPUTE_PGM_RSRC2:TIDIG_COMP_CNT: 0
; COMPUTE_PGM_RSRC3_GFX90A:ACCUM_OFFSET: 0
; COMPUTE_PGM_RSRC3_GFX90A:TG_SPLIT: 0
	.section	.text._ZN7rocprim17ROCPRIM_400000_NS6detail17trampoline_kernelINS0_14default_configENS1_27scan_by_key_config_selectorIllEEZZNS1_16scan_by_key_implILNS1_25lookback_scan_determinismE0ELb0ES3_N6thrust23THRUST_200600_302600_NS16reverse_iteratorIPKlEESD_NSA_IPlEElN6hipcub16HIPCUB_304000_NS3MaxENSH_8EqualityElEE10hipError_tPvRmT2_T3_T4_T5_mT6_T7_P12ihipStream_tbENKUlT_T0_E_clISt17integral_constantIbLb0EES10_EEDaSV_SW_EUlSV_E_NS1_11comp_targetILNS1_3genE3ELNS1_11target_archE908ELNS1_3gpuE7ELNS1_3repE0EEENS1_30default_config_static_selectorELNS0_4arch9wavefront6targetE1EEEvT1_,"axG",@progbits,_ZN7rocprim17ROCPRIM_400000_NS6detail17trampoline_kernelINS0_14default_configENS1_27scan_by_key_config_selectorIllEEZZNS1_16scan_by_key_implILNS1_25lookback_scan_determinismE0ELb0ES3_N6thrust23THRUST_200600_302600_NS16reverse_iteratorIPKlEESD_NSA_IPlEElN6hipcub16HIPCUB_304000_NS3MaxENSH_8EqualityElEE10hipError_tPvRmT2_T3_T4_T5_mT6_T7_P12ihipStream_tbENKUlT_T0_E_clISt17integral_constantIbLb0EES10_EEDaSV_SW_EUlSV_E_NS1_11comp_targetILNS1_3genE3ELNS1_11target_archE908ELNS1_3gpuE7ELNS1_3repE0EEENS1_30default_config_static_selectorELNS0_4arch9wavefront6targetE1EEEvT1_,comdat
	.protected	_ZN7rocprim17ROCPRIM_400000_NS6detail17trampoline_kernelINS0_14default_configENS1_27scan_by_key_config_selectorIllEEZZNS1_16scan_by_key_implILNS1_25lookback_scan_determinismE0ELb0ES3_N6thrust23THRUST_200600_302600_NS16reverse_iteratorIPKlEESD_NSA_IPlEElN6hipcub16HIPCUB_304000_NS3MaxENSH_8EqualityElEE10hipError_tPvRmT2_T3_T4_T5_mT6_T7_P12ihipStream_tbENKUlT_T0_E_clISt17integral_constantIbLb0EES10_EEDaSV_SW_EUlSV_E_NS1_11comp_targetILNS1_3genE3ELNS1_11target_archE908ELNS1_3gpuE7ELNS1_3repE0EEENS1_30default_config_static_selectorELNS0_4arch9wavefront6targetE1EEEvT1_ ; -- Begin function _ZN7rocprim17ROCPRIM_400000_NS6detail17trampoline_kernelINS0_14default_configENS1_27scan_by_key_config_selectorIllEEZZNS1_16scan_by_key_implILNS1_25lookback_scan_determinismE0ELb0ES3_N6thrust23THRUST_200600_302600_NS16reverse_iteratorIPKlEESD_NSA_IPlEElN6hipcub16HIPCUB_304000_NS3MaxENSH_8EqualityElEE10hipError_tPvRmT2_T3_T4_T5_mT6_T7_P12ihipStream_tbENKUlT_T0_E_clISt17integral_constantIbLb0EES10_EEDaSV_SW_EUlSV_E_NS1_11comp_targetILNS1_3genE3ELNS1_11target_archE908ELNS1_3gpuE7ELNS1_3repE0EEENS1_30default_config_static_selectorELNS0_4arch9wavefront6targetE1EEEvT1_
	.globl	_ZN7rocprim17ROCPRIM_400000_NS6detail17trampoline_kernelINS0_14default_configENS1_27scan_by_key_config_selectorIllEEZZNS1_16scan_by_key_implILNS1_25lookback_scan_determinismE0ELb0ES3_N6thrust23THRUST_200600_302600_NS16reverse_iteratorIPKlEESD_NSA_IPlEElN6hipcub16HIPCUB_304000_NS3MaxENSH_8EqualityElEE10hipError_tPvRmT2_T3_T4_T5_mT6_T7_P12ihipStream_tbENKUlT_T0_E_clISt17integral_constantIbLb0EES10_EEDaSV_SW_EUlSV_E_NS1_11comp_targetILNS1_3genE3ELNS1_11target_archE908ELNS1_3gpuE7ELNS1_3repE0EEENS1_30default_config_static_selectorELNS0_4arch9wavefront6targetE1EEEvT1_
	.p2align	8
	.type	_ZN7rocprim17ROCPRIM_400000_NS6detail17trampoline_kernelINS0_14default_configENS1_27scan_by_key_config_selectorIllEEZZNS1_16scan_by_key_implILNS1_25lookback_scan_determinismE0ELb0ES3_N6thrust23THRUST_200600_302600_NS16reverse_iteratorIPKlEESD_NSA_IPlEElN6hipcub16HIPCUB_304000_NS3MaxENSH_8EqualityElEE10hipError_tPvRmT2_T3_T4_T5_mT6_T7_P12ihipStream_tbENKUlT_T0_E_clISt17integral_constantIbLb0EES10_EEDaSV_SW_EUlSV_E_NS1_11comp_targetILNS1_3genE3ELNS1_11target_archE908ELNS1_3gpuE7ELNS1_3repE0EEENS1_30default_config_static_selectorELNS0_4arch9wavefront6targetE1EEEvT1_,@function
_ZN7rocprim17ROCPRIM_400000_NS6detail17trampoline_kernelINS0_14default_configENS1_27scan_by_key_config_selectorIllEEZZNS1_16scan_by_key_implILNS1_25lookback_scan_determinismE0ELb0ES3_N6thrust23THRUST_200600_302600_NS16reverse_iteratorIPKlEESD_NSA_IPlEElN6hipcub16HIPCUB_304000_NS3MaxENSH_8EqualityElEE10hipError_tPvRmT2_T3_T4_T5_mT6_T7_P12ihipStream_tbENKUlT_T0_E_clISt17integral_constantIbLb0EES10_EEDaSV_SW_EUlSV_E_NS1_11comp_targetILNS1_3genE3ELNS1_11target_archE908ELNS1_3gpuE7ELNS1_3repE0EEENS1_30default_config_static_selectorELNS0_4arch9wavefront6targetE1EEEvT1_: ; @_ZN7rocprim17ROCPRIM_400000_NS6detail17trampoline_kernelINS0_14default_configENS1_27scan_by_key_config_selectorIllEEZZNS1_16scan_by_key_implILNS1_25lookback_scan_determinismE0ELb0ES3_N6thrust23THRUST_200600_302600_NS16reverse_iteratorIPKlEESD_NSA_IPlEElN6hipcub16HIPCUB_304000_NS3MaxENSH_8EqualityElEE10hipError_tPvRmT2_T3_T4_T5_mT6_T7_P12ihipStream_tbENKUlT_T0_E_clISt17integral_constantIbLb0EES10_EEDaSV_SW_EUlSV_E_NS1_11comp_targetILNS1_3genE3ELNS1_11target_archE908ELNS1_3gpuE7ELNS1_3repE0EEENS1_30default_config_static_selectorELNS0_4arch9wavefront6targetE1EEEvT1_
; %bb.0:
	.section	.rodata,"a",@progbits
	.p2align	6, 0x0
	.amdhsa_kernel _ZN7rocprim17ROCPRIM_400000_NS6detail17trampoline_kernelINS0_14default_configENS1_27scan_by_key_config_selectorIllEEZZNS1_16scan_by_key_implILNS1_25lookback_scan_determinismE0ELb0ES3_N6thrust23THRUST_200600_302600_NS16reverse_iteratorIPKlEESD_NSA_IPlEElN6hipcub16HIPCUB_304000_NS3MaxENSH_8EqualityElEE10hipError_tPvRmT2_T3_T4_T5_mT6_T7_P12ihipStream_tbENKUlT_T0_E_clISt17integral_constantIbLb0EES10_EEDaSV_SW_EUlSV_E_NS1_11comp_targetILNS1_3genE3ELNS1_11target_archE908ELNS1_3gpuE7ELNS1_3repE0EEENS1_30default_config_static_selectorELNS0_4arch9wavefront6targetE1EEEvT1_
		.amdhsa_group_segment_fixed_size 0
		.amdhsa_private_segment_fixed_size 0
		.amdhsa_kernarg_size 136
		.amdhsa_user_sgpr_count 2
		.amdhsa_user_sgpr_dispatch_ptr 0
		.amdhsa_user_sgpr_queue_ptr 0
		.amdhsa_user_sgpr_kernarg_segment_ptr 1
		.amdhsa_user_sgpr_dispatch_id 0
		.amdhsa_user_sgpr_kernarg_preload_length 0
		.amdhsa_user_sgpr_kernarg_preload_offset 0
		.amdhsa_user_sgpr_private_segment_size 0
		.amdhsa_uses_dynamic_stack 0
		.amdhsa_enable_private_segment 0
		.amdhsa_system_sgpr_workgroup_id_x 1
		.amdhsa_system_sgpr_workgroup_id_y 0
		.amdhsa_system_sgpr_workgroup_id_z 0
		.amdhsa_system_sgpr_workgroup_info 0
		.amdhsa_system_vgpr_workitem_id 0
		.amdhsa_next_free_vgpr 1
		.amdhsa_next_free_sgpr 0
		.amdhsa_accum_offset 4
		.amdhsa_reserve_vcc 0
		.amdhsa_float_round_mode_32 0
		.amdhsa_float_round_mode_16_64 0
		.amdhsa_float_denorm_mode_32 3
		.amdhsa_float_denorm_mode_16_64 3
		.amdhsa_dx10_clamp 1
		.amdhsa_ieee_mode 1
		.amdhsa_fp16_overflow 0
		.amdhsa_tg_split 0
		.amdhsa_exception_fp_ieee_invalid_op 0
		.amdhsa_exception_fp_denorm_src 0
		.amdhsa_exception_fp_ieee_div_zero 0
		.amdhsa_exception_fp_ieee_overflow 0
		.amdhsa_exception_fp_ieee_underflow 0
		.amdhsa_exception_fp_ieee_inexact 0
		.amdhsa_exception_int_div_zero 0
	.end_amdhsa_kernel
	.section	.text._ZN7rocprim17ROCPRIM_400000_NS6detail17trampoline_kernelINS0_14default_configENS1_27scan_by_key_config_selectorIllEEZZNS1_16scan_by_key_implILNS1_25lookback_scan_determinismE0ELb0ES3_N6thrust23THRUST_200600_302600_NS16reverse_iteratorIPKlEESD_NSA_IPlEElN6hipcub16HIPCUB_304000_NS3MaxENSH_8EqualityElEE10hipError_tPvRmT2_T3_T4_T5_mT6_T7_P12ihipStream_tbENKUlT_T0_E_clISt17integral_constantIbLb0EES10_EEDaSV_SW_EUlSV_E_NS1_11comp_targetILNS1_3genE3ELNS1_11target_archE908ELNS1_3gpuE7ELNS1_3repE0EEENS1_30default_config_static_selectorELNS0_4arch9wavefront6targetE1EEEvT1_,"axG",@progbits,_ZN7rocprim17ROCPRIM_400000_NS6detail17trampoline_kernelINS0_14default_configENS1_27scan_by_key_config_selectorIllEEZZNS1_16scan_by_key_implILNS1_25lookback_scan_determinismE0ELb0ES3_N6thrust23THRUST_200600_302600_NS16reverse_iteratorIPKlEESD_NSA_IPlEElN6hipcub16HIPCUB_304000_NS3MaxENSH_8EqualityElEE10hipError_tPvRmT2_T3_T4_T5_mT6_T7_P12ihipStream_tbENKUlT_T0_E_clISt17integral_constantIbLb0EES10_EEDaSV_SW_EUlSV_E_NS1_11comp_targetILNS1_3genE3ELNS1_11target_archE908ELNS1_3gpuE7ELNS1_3repE0EEENS1_30default_config_static_selectorELNS0_4arch9wavefront6targetE1EEEvT1_,comdat
.Lfunc_end141:
	.size	_ZN7rocprim17ROCPRIM_400000_NS6detail17trampoline_kernelINS0_14default_configENS1_27scan_by_key_config_selectorIllEEZZNS1_16scan_by_key_implILNS1_25lookback_scan_determinismE0ELb0ES3_N6thrust23THRUST_200600_302600_NS16reverse_iteratorIPKlEESD_NSA_IPlEElN6hipcub16HIPCUB_304000_NS3MaxENSH_8EqualityElEE10hipError_tPvRmT2_T3_T4_T5_mT6_T7_P12ihipStream_tbENKUlT_T0_E_clISt17integral_constantIbLb0EES10_EEDaSV_SW_EUlSV_E_NS1_11comp_targetILNS1_3genE3ELNS1_11target_archE908ELNS1_3gpuE7ELNS1_3repE0EEENS1_30default_config_static_selectorELNS0_4arch9wavefront6targetE1EEEvT1_, .Lfunc_end141-_ZN7rocprim17ROCPRIM_400000_NS6detail17trampoline_kernelINS0_14default_configENS1_27scan_by_key_config_selectorIllEEZZNS1_16scan_by_key_implILNS1_25lookback_scan_determinismE0ELb0ES3_N6thrust23THRUST_200600_302600_NS16reverse_iteratorIPKlEESD_NSA_IPlEElN6hipcub16HIPCUB_304000_NS3MaxENSH_8EqualityElEE10hipError_tPvRmT2_T3_T4_T5_mT6_T7_P12ihipStream_tbENKUlT_T0_E_clISt17integral_constantIbLb0EES10_EEDaSV_SW_EUlSV_E_NS1_11comp_targetILNS1_3genE3ELNS1_11target_archE908ELNS1_3gpuE7ELNS1_3repE0EEENS1_30default_config_static_selectorELNS0_4arch9wavefront6targetE1EEEvT1_
                                        ; -- End function
	.set _ZN7rocprim17ROCPRIM_400000_NS6detail17trampoline_kernelINS0_14default_configENS1_27scan_by_key_config_selectorIllEEZZNS1_16scan_by_key_implILNS1_25lookback_scan_determinismE0ELb0ES3_N6thrust23THRUST_200600_302600_NS16reverse_iteratorIPKlEESD_NSA_IPlEElN6hipcub16HIPCUB_304000_NS3MaxENSH_8EqualityElEE10hipError_tPvRmT2_T3_T4_T5_mT6_T7_P12ihipStream_tbENKUlT_T0_E_clISt17integral_constantIbLb0EES10_EEDaSV_SW_EUlSV_E_NS1_11comp_targetILNS1_3genE3ELNS1_11target_archE908ELNS1_3gpuE7ELNS1_3repE0EEENS1_30default_config_static_selectorELNS0_4arch9wavefront6targetE1EEEvT1_.num_vgpr, 0
	.set _ZN7rocprim17ROCPRIM_400000_NS6detail17trampoline_kernelINS0_14default_configENS1_27scan_by_key_config_selectorIllEEZZNS1_16scan_by_key_implILNS1_25lookback_scan_determinismE0ELb0ES3_N6thrust23THRUST_200600_302600_NS16reverse_iteratorIPKlEESD_NSA_IPlEElN6hipcub16HIPCUB_304000_NS3MaxENSH_8EqualityElEE10hipError_tPvRmT2_T3_T4_T5_mT6_T7_P12ihipStream_tbENKUlT_T0_E_clISt17integral_constantIbLb0EES10_EEDaSV_SW_EUlSV_E_NS1_11comp_targetILNS1_3genE3ELNS1_11target_archE908ELNS1_3gpuE7ELNS1_3repE0EEENS1_30default_config_static_selectorELNS0_4arch9wavefront6targetE1EEEvT1_.num_agpr, 0
	.set _ZN7rocprim17ROCPRIM_400000_NS6detail17trampoline_kernelINS0_14default_configENS1_27scan_by_key_config_selectorIllEEZZNS1_16scan_by_key_implILNS1_25lookback_scan_determinismE0ELb0ES3_N6thrust23THRUST_200600_302600_NS16reverse_iteratorIPKlEESD_NSA_IPlEElN6hipcub16HIPCUB_304000_NS3MaxENSH_8EqualityElEE10hipError_tPvRmT2_T3_T4_T5_mT6_T7_P12ihipStream_tbENKUlT_T0_E_clISt17integral_constantIbLb0EES10_EEDaSV_SW_EUlSV_E_NS1_11comp_targetILNS1_3genE3ELNS1_11target_archE908ELNS1_3gpuE7ELNS1_3repE0EEENS1_30default_config_static_selectorELNS0_4arch9wavefront6targetE1EEEvT1_.numbered_sgpr, 0
	.set _ZN7rocprim17ROCPRIM_400000_NS6detail17trampoline_kernelINS0_14default_configENS1_27scan_by_key_config_selectorIllEEZZNS1_16scan_by_key_implILNS1_25lookback_scan_determinismE0ELb0ES3_N6thrust23THRUST_200600_302600_NS16reverse_iteratorIPKlEESD_NSA_IPlEElN6hipcub16HIPCUB_304000_NS3MaxENSH_8EqualityElEE10hipError_tPvRmT2_T3_T4_T5_mT6_T7_P12ihipStream_tbENKUlT_T0_E_clISt17integral_constantIbLb0EES10_EEDaSV_SW_EUlSV_E_NS1_11comp_targetILNS1_3genE3ELNS1_11target_archE908ELNS1_3gpuE7ELNS1_3repE0EEENS1_30default_config_static_selectorELNS0_4arch9wavefront6targetE1EEEvT1_.num_named_barrier, 0
	.set _ZN7rocprim17ROCPRIM_400000_NS6detail17trampoline_kernelINS0_14default_configENS1_27scan_by_key_config_selectorIllEEZZNS1_16scan_by_key_implILNS1_25lookback_scan_determinismE0ELb0ES3_N6thrust23THRUST_200600_302600_NS16reverse_iteratorIPKlEESD_NSA_IPlEElN6hipcub16HIPCUB_304000_NS3MaxENSH_8EqualityElEE10hipError_tPvRmT2_T3_T4_T5_mT6_T7_P12ihipStream_tbENKUlT_T0_E_clISt17integral_constantIbLb0EES10_EEDaSV_SW_EUlSV_E_NS1_11comp_targetILNS1_3genE3ELNS1_11target_archE908ELNS1_3gpuE7ELNS1_3repE0EEENS1_30default_config_static_selectorELNS0_4arch9wavefront6targetE1EEEvT1_.private_seg_size, 0
	.set _ZN7rocprim17ROCPRIM_400000_NS6detail17trampoline_kernelINS0_14default_configENS1_27scan_by_key_config_selectorIllEEZZNS1_16scan_by_key_implILNS1_25lookback_scan_determinismE0ELb0ES3_N6thrust23THRUST_200600_302600_NS16reverse_iteratorIPKlEESD_NSA_IPlEElN6hipcub16HIPCUB_304000_NS3MaxENSH_8EqualityElEE10hipError_tPvRmT2_T3_T4_T5_mT6_T7_P12ihipStream_tbENKUlT_T0_E_clISt17integral_constantIbLb0EES10_EEDaSV_SW_EUlSV_E_NS1_11comp_targetILNS1_3genE3ELNS1_11target_archE908ELNS1_3gpuE7ELNS1_3repE0EEENS1_30default_config_static_selectorELNS0_4arch9wavefront6targetE1EEEvT1_.uses_vcc, 0
	.set _ZN7rocprim17ROCPRIM_400000_NS6detail17trampoline_kernelINS0_14default_configENS1_27scan_by_key_config_selectorIllEEZZNS1_16scan_by_key_implILNS1_25lookback_scan_determinismE0ELb0ES3_N6thrust23THRUST_200600_302600_NS16reverse_iteratorIPKlEESD_NSA_IPlEElN6hipcub16HIPCUB_304000_NS3MaxENSH_8EqualityElEE10hipError_tPvRmT2_T3_T4_T5_mT6_T7_P12ihipStream_tbENKUlT_T0_E_clISt17integral_constantIbLb0EES10_EEDaSV_SW_EUlSV_E_NS1_11comp_targetILNS1_3genE3ELNS1_11target_archE908ELNS1_3gpuE7ELNS1_3repE0EEENS1_30default_config_static_selectorELNS0_4arch9wavefront6targetE1EEEvT1_.uses_flat_scratch, 0
	.set _ZN7rocprim17ROCPRIM_400000_NS6detail17trampoline_kernelINS0_14default_configENS1_27scan_by_key_config_selectorIllEEZZNS1_16scan_by_key_implILNS1_25lookback_scan_determinismE0ELb0ES3_N6thrust23THRUST_200600_302600_NS16reverse_iteratorIPKlEESD_NSA_IPlEElN6hipcub16HIPCUB_304000_NS3MaxENSH_8EqualityElEE10hipError_tPvRmT2_T3_T4_T5_mT6_T7_P12ihipStream_tbENKUlT_T0_E_clISt17integral_constantIbLb0EES10_EEDaSV_SW_EUlSV_E_NS1_11comp_targetILNS1_3genE3ELNS1_11target_archE908ELNS1_3gpuE7ELNS1_3repE0EEENS1_30default_config_static_selectorELNS0_4arch9wavefront6targetE1EEEvT1_.has_dyn_sized_stack, 0
	.set _ZN7rocprim17ROCPRIM_400000_NS6detail17trampoline_kernelINS0_14default_configENS1_27scan_by_key_config_selectorIllEEZZNS1_16scan_by_key_implILNS1_25lookback_scan_determinismE0ELb0ES3_N6thrust23THRUST_200600_302600_NS16reverse_iteratorIPKlEESD_NSA_IPlEElN6hipcub16HIPCUB_304000_NS3MaxENSH_8EqualityElEE10hipError_tPvRmT2_T3_T4_T5_mT6_T7_P12ihipStream_tbENKUlT_T0_E_clISt17integral_constantIbLb0EES10_EEDaSV_SW_EUlSV_E_NS1_11comp_targetILNS1_3genE3ELNS1_11target_archE908ELNS1_3gpuE7ELNS1_3repE0EEENS1_30default_config_static_selectorELNS0_4arch9wavefront6targetE1EEEvT1_.has_recursion, 0
	.set _ZN7rocprim17ROCPRIM_400000_NS6detail17trampoline_kernelINS0_14default_configENS1_27scan_by_key_config_selectorIllEEZZNS1_16scan_by_key_implILNS1_25lookback_scan_determinismE0ELb0ES3_N6thrust23THRUST_200600_302600_NS16reverse_iteratorIPKlEESD_NSA_IPlEElN6hipcub16HIPCUB_304000_NS3MaxENSH_8EqualityElEE10hipError_tPvRmT2_T3_T4_T5_mT6_T7_P12ihipStream_tbENKUlT_T0_E_clISt17integral_constantIbLb0EES10_EEDaSV_SW_EUlSV_E_NS1_11comp_targetILNS1_3genE3ELNS1_11target_archE908ELNS1_3gpuE7ELNS1_3repE0EEENS1_30default_config_static_selectorELNS0_4arch9wavefront6targetE1EEEvT1_.has_indirect_call, 0
	.section	.AMDGPU.csdata,"",@progbits
; Kernel info:
; codeLenInByte = 0
; TotalNumSgprs: 6
; NumVgprs: 0
; NumAgprs: 0
; TotalNumVgprs: 0
; ScratchSize: 0
; MemoryBound: 0
; FloatMode: 240
; IeeeMode: 1
; LDSByteSize: 0 bytes/workgroup (compile time only)
; SGPRBlocks: 0
; VGPRBlocks: 0
; NumSGPRsForWavesPerEU: 6
; NumVGPRsForWavesPerEU: 1
; AccumOffset: 4
; Occupancy: 8
; WaveLimiterHint : 0
; COMPUTE_PGM_RSRC2:SCRATCH_EN: 0
; COMPUTE_PGM_RSRC2:USER_SGPR: 2
; COMPUTE_PGM_RSRC2:TRAP_HANDLER: 0
; COMPUTE_PGM_RSRC2:TGID_X_EN: 1
; COMPUTE_PGM_RSRC2:TGID_Y_EN: 0
; COMPUTE_PGM_RSRC2:TGID_Z_EN: 0
; COMPUTE_PGM_RSRC2:TIDIG_COMP_CNT: 0
; COMPUTE_PGM_RSRC3_GFX90A:ACCUM_OFFSET: 0
; COMPUTE_PGM_RSRC3_GFX90A:TG_SPLIT: 0
	.section	.text._ZN7rocprim17ROCPRIM_400000_NS6detail17trampoline_kernelINS0_14default_configENS1_27scan_by_key_config_selectorIllEEZZNS1_16scan_by_key_implILNS1_25lookback_scan_determinismE0ELb0ES3_N6thrust23THRUST_200600_302600_NS16reverse_iteratorIPKlEESD_NSA_IPlEElN6hipcub16HIPCUB_304000_NS3MaxENSH_8EqualityElEE10hipError_tPvRmT2_T3_T4_T5_mT6_T7_P12ihipStream_tbENKUlT_T0_E_clISt17integral_constantIbLb0EES10_EEDaSV_SW_EUlSV_E_NS1_11comp_targetILNS1_3genE2ELNS1_11target_archE906ELNS1_3gpuE6ELNS1_3repE0EEENS1_30default_config_static_selectorELNS0_4arch9wavefront6targetE1EEEvT1_,"axG",@progbits,_ZN7rocprim17ROCPRIM_400000_NS6detail17trampoline_kernelINS0_14default_configENS1_27scan_by_key_config_selectorIllEEZZNS1_16scan_by_key_implILNS1_25lookback_scan_determinismE0ELb0ES3_N6thrust23THRUST_200600_302600_NS16reverse_iteratorIPKlEESD_NSA_IPlEElN6hipcub16HIPCUB_304000_NS3MaxENSH_8EqualityElEE10hipError_tPvRmT2_T3_T4_T5_mT6_T7_P12ihipStream_tbENKUlT_T0_E_clISt17integral_constantIbLb0EES10_EEDaSV_SW_EUlSV_E_NS1_11comp_targetILNS1_3genE2ELNS1_11target_archE906ELNS1_3gpuE6ELNS1_3repE0EEENS1_30default_config_static_selectorELNS0_4arch9wavefront6targetE1EEEvT1_,comdat
	.protected	_ZN7rocprim17ROCPRIM_400000_NS6detail17trampoline_kernelINS0_14default_configENS1_27scan_by_key_config_selectorIllEEZZNS1_16scan_by_key_implILNS1_25lookback_scan_determinismE0ELb0ES3_N6thrust23THRUST_200600_302600_NS16reverse_iteratorIPKlEESD_NSA_IPlEElN6hipcub16HIPCUB_304000_NS3MaxENSH_8EqualityElEE10hipError_tPvRmT2_T3_T4_T5_mT6_T7_P12ihipStream_tbENKUlT_T0_E_clISt17integral_constantIbLb0EES10_EEDaSV_SW_EUlSV_E_NS1_11comp_targetILNS1_3genE2ELNS1_11target_archE906ELNS1_3gpuE6ELNS1_3repE0EEENS1_30default_config_static_selectorELNS0_4arch9wavefront6targetE1EEEvT1_ ; -- Begin function _ZN7rocprim17ROCPRIM_400000_NS6detail17trampoline_kernelINS0_14default_configENS1_27scan_by_key_config_selectorIllEEZZNS1_16scan_by_key_implILNS1_25lookback_scan_determinismE0ELb0ES3_N6thrust23THRUST_200600_302600_NS16reverse_iteratorIPKlEESD_NSA_IPlEElN6hipcub16HIPCUB_304000_NS3MaxENSH_8EqualityElEE10hipError_tPvRmT2_T3_T4_T5_mT6_T7_P12ihipStream_tbENKUlT_T0_E_clISt17integral_constantIbLb0EES10_EEDaSV_SW_EUlSV_E_NS1_11comp_targetILNS1_3genE2ELNS1_11target_archE906ELNS1_3gpuE6ELNS1_3repE0EEENS1_30default_config_static_selectorELNS0_4arch9wavefront6targetE1EEEvT1_
	.globl	_ZN7rocprim17ROCPRIM_400000_NS6detail17trampoline_kernelINS0_14default_configENS1_27scan_by_key_config_selectorIllEEZZNS1_16scan_by_key_implILNS1_25lookback_scan_determinismE0ELb0ES3_N6thrust23THRUST_200600_302600_NS16reverse_iteratorIPKlEESD_NSA_IPlEElN6hipcub16HIPCUB_304000_NS3MaxENSH_8EqualityElEE10hipError_tPvRmT2_T3_T4_T5_mT6_T7_P12ihipStream_tbENKUlT_T0_E_clISt17integral_constantIbLb0EES10_EEDaSV_SW_EUlSV_E_NS1_11comp_targetILNS1_3genE2ELNS1_11target_archE906ELNS1_3gpuE6ELNS1_3repE0EEENS1_30default_config_static_selectorELNS0_4arch9wavefront6targetE1EEEvT1_
	.p2align	8
	.type	_ZN7rocprim17ROCPRIM_400000_NS6detail17trampoline_kernelINS0_14default_configENS1_27scan_by_key_config_selectorIllEEZZNS1_16scan_by_key_implILNS1_25lookback_scan_determinismE0ELb0ES3_N6thrust23THRUST_200600_302600_NS16reverse_iteratorIPKlEESD_NSA_IPlEElN6hipcub16HIPCUB_304000_NS3MaxENSH_8EqualityElEE10hipError_tPvRmT2_T3_T4_T5_mT6_T7_P12ihipStream_tbENKUlT_T0_E_clISt17integral_constantIbLb0EES10_EEDaSV_SW_EUlSV_E_NS1_11comp_targetILNS1_3genE2ELNS1_11target_archE906ELNS1_3gpuE6ELNS1_3repE0EEENS1_30default_config_static_selectorELNS0_4arch9wavefront6targetE1EEEvT1_,@function
_ZN7rocprim17ROCPRIM_400000_NS6detail17trampoline_kernelINS0_14default_configENS1_27scan_by_key_config_selectorIllEEZZNS1_16scan_by_key_implILNS1_25lookback_scan_determinismE0ELb0ES3_N6thrust23THRUST_200600_302600_NS16reverse_iteratorIPKlEESD_NSA_IPlEElN6hipcub16HIPCUB_304000_NS3MaxENSH_8EqualityElEE10hipError_tPvRmT2_T3_T4_T5_mT6_T7_P12ihipStream_tbENKUlT_T0_E_clISt17integral_constantIbLb0EES10_EEDaSV_SW_EUlSV_E_NS1_11comp_targetILNS1_3genE2ELNS1_11target_archE906ELNS1_3gpuE6ELNS1_3repE0EEENS1_30default_config_static_selectorELNS0_4arch9wavefront6targetE1EEEvT1_: ; @_ZN7rocprim17ROCPRIM_400000_NS6detail17trampoline_kernelINS0_14default_configENS1_27scan_by_key_config_selectorIllEEZZNS1_16scan_by_key_implILNS1_25lookback_scan_determinismE0ELb0ES3_N6thrust23THRUST_200600_302600_NS16reverse_iteratorIPKlEESD_NSA_IPlEElN6hipcub16HIPCUB_304000_NS3MaxENSH_8EqualityElEE10hipError_tPvRmT2_T3_T4_T5_mT6_T7_P12ihipStream_tbENKUlT_T0_E_clISt17integral_constantIbLb0EES10_EEDaSV_SW_EUlSV_E_NS1_11comp_targetILNS1_3genE2ELNS1_11target_archE906ELNS1_3gpuE6ELNS1_3repE0EEENS1_30default_config_static_selectorELNS0_4arch9wavefront6targetE1EEEvT1_
; %bb.0:
	.section	.rodata,"a",@progbits
	.p2align	6, 0x0
	.amdhsa_kernel _ZN7rocprim17ROCPRIM_400000_NS6detail17trampoline_kernelINS0_14default_configENS1_27scan_by_key_config_selectorIllEEZZNS1_16scan_by_key_implILNS1_25lookback_scan_determinismE0ELb0ES3_N6thrust23THRUST_200600_302600_NS16reverse_iteratorIPKlEESD_NSA_IPlEElN6hipcub16HIPCUB_304000_NS3MaxENSH_8EqualityElEE10hipError_tPvRmT2_T3_T4_T5_mT6_T7_P12ihipStream_tbENKUlT_T0_E_clISt17integral_constantIbLb0EES10_EEDaSV_SW_EUlSV_E_NS1_11comp_targetILNS1_3genE2ELNS1_11target_archE906ELNS1_3gpuE6ELNS1_3repE0EEENS1_30default_config_static_selectorELNS0_4arch9wavefront6targetE1EEEvT1_
		.amdhsa_group_segment_fixed_size 0
		.amdhsa_private_segment_fixed_size 0
		.amdhsa_kernarg_size 136
		.amdhsa_user_sgpr_count 2
		.amdhsa_user_sgpr_dispatch_ptr 0
		.amdhsa_user_sgpr_queue_ptr 0
		.amdhsa_user_sgpr_kernarg_segment_ptr 1
		.amdhsa_user_sgpr_dispatch_id 0
		.amdhsa_user_sgpr_kernarg_preload_length 0
		.amdhsa_user_sgpr_kernarg_preload_offset 0
		.amdhsa_user_sgpr_private_segment_size 0
		.amdhsa_uses_dynamic_stack 0
		.amdhsa_enable_private_segment 0
		.amdhsa_system_sgpr_workgroup_id_x 1
		.amdhsa_system_sgpr_workgroup_id_y 0
		.amdhsa_system_sgpr_workgroup_id_z 0
		.amdhsa_system_sgpr_workgroup_info 0
		.amdhsa_system_vgpr_workitem_id 0
		.amdhsa_next_free_vgpr 1
		.amdhsa_next_free_sgpr 0
		.amdhsa_accum_offset 4
		.amdhsa_reserve_vcc 0
		.amdhsa_float_round_mode_32 0
		.amdhsa_float_round_mode_16_64 0
		.amdhsa_float_denorm_mode_32 3
		.amdhsa_float_denorm_mode_16_64 3
		.amdhsa_dx10_clamp 1
		.amdhsa_ieee_mode 1
		.amdhsa_fp16_overflow 0
		.amdhsa_tg_split 0
		.amdhsa_exception_fp_ieee_invalid_op 0
		.amdhsa_exception_fp_denorm_src 0
		.amdhsa_exception_fp_ieee_div_zero 0
		.amdhsa_exception_fp_ieee_overflow 0
		.amdhsa_exception_fp_ieee_underflow 0
		.amdhsa_exception_fp_ieee_inexact 0
		.amdhsa_exception_int_div_zero 0
	.end_amdhsa_kernel
	.section	.text._ZN7rocprim17ROCPRIM_400000_NS6detail17trampoline_kernelINS0_14default_configENS1_27scan_by_key_config_selectorIllEEZZNS1_16scan_by_key_implILNS1_25lookback_scan_determinismE0ELb0ES3_N6thrust23THRUST_200600_302600_NS16reverse_iteratorIPKlEESD_NSA_IPlEElN6hipcub16HIPCUB_304000_NS3MaxENSH_8EqualityElEE10hipError_tPvRmT2_T3_T4_T5_mT6_T7_P12ihipStream_tbENKUlT_T0_E_clISt17integral_constantIbLb0EES10_EEDaSV_SW_EUlSV_E_NS1_11comp_targetILNS1_3genE2ELNS1_11target_archE906ELNS1_3gpuE6ELNS1_3repE0EEENS1_30default_config_static_selectorELNS0_4arch9wavefront6targetE1EEEvT1_,"axG",@progbits,_ZN7rocprim17ROCPRIM_400000_NS6detail17trampoline_kernelINS0_14default_configENS1_27scan_by_key_config_selectorIllEEZZNS1_16scan_by_key_implILNS1_25lookback_scan_determinismE0ELb0ES3_N6thrust23THRUST_200600_302600_NS16reverse_iteratorIPKlEESD_NSA_IPlEElN6hipcub16HIPCUB_304000_NS3MaxENSH_8EqualityElEE10hipError_tPvRmT2_T3_T4_T5_mT6_T7_P12ihipStream_tbENKUlT_T0_E_clISt17integral_constantIbLb0EES10_EEDaSV_SW_EUlSV_E_NS1_11comp_targetILNS1_3genE2ELNS1_11target_archE906ELNS1_3gpuE6ELNS1_3repE0EEENS1_30default_config_static_selectorELNS0_4arch9wavefront6targetE1EEEvT1_,comdat
.Lfunc_end142:
	.size	_ZN7rocprim17ROCPRIM_400000_NS6detail17trampoline_kernelINS0_14default_configENS1_27scan_by_key_config_selectorIllEEZZNS1_16scan_by_key_implILNS1_25lookback_scan_determinismE0ELb0ES3_N6thrust23THRUST_200600_302600_NS16reverse_iteratorIPKlEESD_NSA_IPlEElN6hipcub16HIPCUB_304000_NS3MaxENSH_8EqualityElEE10hipError_tPvRmT2_T3_T4_T5_mT6_T7_P12ihipStream_tbENKUlT_T0_E_clISt17integral_constantIbLb0EES10_EEDaSV_SW_EUlSV_E_NS1_11comp_targetILNS1_3genE2ELNS1_11target_archE906ELNS1_3gpuE6ELNS1_3repE0EEENS1_30default_config_static_selectorELNS0_4arch9wavefront6targetE1EEEvT1_, .Lfunc_end142-_ZN7rocprim17ROCPRIM_400000_NS6detail17trampoline_kernelINS0_14default_configENS1_27scan_by_key_config_selectorIllEEZZNS1_16scan_by_key_implILNS1_25lookback_scan_determinismE0ELb0ES3_N6thrust23THRUST_200600_302600_NS16reverse_iteratorIPKlEESD_NSA_IPlEElN6hipcub16HIPCUB_304000_NS3MaxENSH_8EqualityElEE10hipError_tPvRmT2_T3_T4_T5_mT6_T7_P12ihipStream_tbENKUlT_T0_E_clISt17integral_constantIbLb0EES10_EEDaSV_SW_EUlSV_E_NS1_11comp_targetILNS1_3genE2ELNS1_11target_archE906ELNS1_3gpuE6ELNS1_3repE0EEENS1_30default_config_static_selectorELNS0_4arch9wavefront6targetE1EEEvT1_
                                        ; -- End function
	.set _ZN7rocprim17ROCPRIM_400000_NS6detail17trampoline_kernelINS0_14default_configENS1_27scan_by_key_config_selectorIllEEZZNS1_16scan_by_key_implILNS1_25lookback_scan_determinismE0ELb0ES3_N6thrust23THRUST_200600_302600_NS16reverse_iteratorIPKlEESD_NSA_IPlEElN6hipcub16HIPCUB_304000_NS3MaxENSH_8EqualityElEE10hipError_tPvRmT2_T3_T4_T5_mT6_T7_P12ihipStream_tbENKUlT_T0_E_clISt17integral_constantIbLb0EES10_EEDaSV_SW_EUlSV_E_NS1_11comp_targetILNS1_3genE2ELNS1_11target_archE906ELNS1_3gpuE6ELNS1_3repE0EEENS1_30default_config_static_selectorELNS0_4arch9wavefront6targetE1EEEvT1_.num_vgpr, 0
	.set _ZN7rocprim17ROCPRIM_400000_NS6detail17trampoline_kernelINS0_14default_configENS1_27scan_by_key_config_selectorIllEEZZNS1_16scan_by_key_implILNS1_25lookback_scan_determinismE0ELb0ES3_N6thrust23THRUST_200600_302600_NS16reverse_iteratorIPKlEESD_NSA_IPlEElN6hipcub16HIPCUB_304000_NS3MaxENSH_8EqualityElEE10hipError_tPvRmT2_T3_T4_T5_mT6_T7_P12ihipStream_tbENKUlT_T0_E_clISt17integral_constantIbLb0EES10_EEDaSV_SW_EUlSV_E_NS1_11comp_targetILNS1_3genE2ELNS1_11target_archE906ELNS1_3gpuE6ELNS1_3repE0EEENS1_30default_config_static_selectorELNS0_4arch9wavefront6targetE1EEEvT1_.num_agpr, 0
	.set _ZN7rocprim17ROCPRIM_400000_NS6detail17trampoline_kernelINS0_14default_configENS1_27scan_by_key_config_selectorIllEEZZNS1_16scan_by_key_implILNS1_25lookback_scan_determinismE0ELb0ES3_N6thrust23THRUST_200600_302600_NS16reverse_iteratorIPKlEESD_NSA_IPlEElN6hipcub16HIPCUB_304000_NS3MaxENSH_8EqualityElEE10hipError_tPvRmT2_T3_T4_T5_mT6_T7_P12ihipStream_tbENKUlT_T0_E_clISt17integral_constantIbLb0EES10_EEDaSV_SW_EUlSV_E_NS1_11comp_targetILNS1_3genE2ELNS1_11target_archE906ELNS1_3gpuE6ELNS1_3repE0EEENS1_30default_config_static_selectorELNS0_4arch9wavefront6targetE1EEEvT1_.numbered_sgpr, 0
	.set _ZN7rocprim17ROCPRIM_400000_NS6detail17trampoline_kernelINS0_14default_configENS1_27scan_by_key_config_selectorIllEEZZNS1_16scan_by_key_implILNS1_25lookback_scan_determinismE0ELb0ES3_N6thrust23THRUST_200600_302600_NS16reverse_iteratorIPKlEESD_NSA_IPlEElN6hipcub16HIPCUB_304000_NS3MaxENSH_8EqualityElEE10hipError_tPvRmT2_T3_T4_T5_mT6_T7_P12ihipStream_tbENKUlT_T0_E_clISt17integral_constantIbLb0EES10_EEDaSV_SW_EUlSV_E_NS1_11comp_targetILNS1_3genE2ELNS1_11target_archE906ELNS1_3gpuE6ELNS1_3repE0EEENS1_30default_config_static_selectorELNS0_4arch9wavefront6targetE1EEEvT1_.num_named_barrier, 0
	.set _ZN7rocprim17ROCPRIM_400000_NS6detail17trampoline_kernelINS0_14default_configENS1_27scan_by_key_config_selectorIllEEZZNS1_16scan_by_key_implILNS1_25lookback_scan_determinismE0ELb0ES3_N6thrust23THRUST_200600_302600_NS16reverse_iteratorIPKlEESD_NSA_IPlEElN6hipcub16HIPCUB_304000_NS3MaxENSH_8EqualityElEE10hipError_tPvRmT2_T3_T4_T5_mT6_T7_P12ihipStream_tbENKUlT_T0_E_clISt17integral_constantIbLb0EES10_EEDaSV_SW_EUlSV_E_NS1_11comp_targetILNS1_3genE2ELNS1_11target_archE906ELNS1_3gpuE6ELNS1_3repE0EEENS1_30default_config_static_selectorELNS0_4arch9wavefront6targetE1EEEvT1_.private_seg_size, 0
	.set _ZN7rocprim17ROCPRIM_400000_NS6detail17trampoline_kernelINS0_14default_configENS1_27scan_by_key_config_selectorIllEEZZNS1_16scan_by_key_implILNS1_25lookback_scan_determinismE0ELb0ES3_N6thrust23THRUST_200600_302600_NS16reverse_iteratorIPKlEESD_NSA_IPlEElN6hipcub16HIPCUB_304000_NS3MaxENSH_8EqualityElEE10hipError_tPvRmT2_T3_T4_T5_mT6_T7_P12ihipStream_tbENKUlT_T0_E_clISt17integral_constantIbLb0EES10_EEDaSV_SW_EUlSV_E_NS1_11comp_targetILNS1_3genE2ELNS1_11target_archE906ELNS1_3gpuE6ELNS1_3repE0EEENS1_30default_config_static_selectorELNS0_4arch9wavefront6targetE1EEEvT1_.uses_vcc, 0
	.set _ZN7rocprim17ROCPRIM_400000_NS6detail17trampoline_kernelINS0_14default_configENS1_27scan_by_key_config_selectorIllEEZZNS1_16scan_by_key_implILNS1_25lookback_scan_determinismE0ELb0ES3_N6thrust23THRUST_200600_302600_NS16reverse_iteratorIPKlEESD_NSA_IPlEElN6hipcub16HIPCUB_304000_NS3MaxENSH_8EqualityElEE10hipError_tPvRmT2_T3_T4_T5_mT6_T7_P12ihipStream_tbENKUlT_T0_E_clISt17integral_constantIbLb0EES10_EEDaSV_SW_EUlSV_E_NS1_11comp_targetILNS1_3genE2ELNS1_11target_archE906ELNS1_3gpuE6ELNS1_3repE0EEENS1_30default_config_static_selectorELNS0_4arch9wavefront6targetE1EEEvT1_.uses_flat_scratch, 0
	.set _ZN7rocprim17ROCPRIM_400000_NS6detail17trampoline_kernelINS0_14default_configENS1_27scan_by_key_config_selectorIllEEZZNS1_16scan_by_key_implILNS1_25lookback_scan_determinismE0ELb0ES3_N6thrust23THRUST_200600_302600_NS16reverse_iteratorIPKlEESD_NSA_IPlEElN6hipcub16HIPCUB_304000_NS3MaxENSH_8EqualityElEE10hipError_tPvRmT2_T3_T4_T5_mT6_T7_P12ihipStream_tbENKUlT_T0_E_clISt17integral_constantIbLb0EES10_EEDaSV_SW_EUlSV_E_NS1_11comp_targetILNS1_3genE2ELNS1_11target_archE906ELNS1_3gpuE6ELNS1_3repE0EEENS1_30default_config_static_selectorELNS0_4arch9wavefront6targetE1EEEvT1_.has_dyn_sized_stack, 0
	.set _ZN7rocprim17ROCPRIM_400000_NS6detail17trampoline_kernelINS0_14default_configENS1_27scan_by_key_config_selectorIllEEZZNS1_16scan_by_key_implILNS1_25lookback_scan_determinismE0ELb0ES3_N6thrust23THRUST_200600_302600_NS16reverse_iteratorIPKlEESD_NSA_IPlEElN6hipcub16HIPCUB_304000_NS3MaxENSH_8EqualityElEE10hipError_tPvRmT2_T3_T4_T5_mT6_T7_P12ihipStream_tbENKUlT_T0_E_clISt17integral_constantIbLb0EES10_EEDaSV_SW_EUlSV_E_NS1_11comp_targetILNS1_3genE2ELNS1_11target_archE906ELNS1_3gpuE6ELNS1_3repE0EEENS1_30default_config_static_selectorELNS0_4arch9wavefront6targetE1EEEvT1_.has_recursion, 0
	.set _ZN7rocprim17ROCPRIM_400000_NS6detail17trampoline_kernelINS0_14default_configENS1_27scan_by_key_config_selectorIllEEZZNS1_16scan_by_key_implILNS1_25lookback_scan_determinismE0ELb0ES3_N6thrust23THRUST_200600_302600_NS16reverse_iteratorIPKlEESD_NSA_IPlEElN6hipcub16HIPCUB_304000_NS3MaxENSH_8EqualityElEE10hipError_tPvRmT2_T3_T4_T5_mT6_T7_P12ihipStream_tbENKUlT_T0_E_clISt17integral_constantIbLb0EES10_EEDaSV_SW_EUlSV_E_NS1_11comp_targetILNS1_3genE2ELNS1_11target_archE906ELNS1_3gpuE6ELNS1_3repE0EEENS1_30default_config_static_selectorELNS0_4arch9wavefront6targetE1EEEvT1_.has_indirect_call, 0
	.section	.AMDGPU.csdata,"",@progbits
; Kernel info:
; codeLenInByte = 0
; TotalNumSgprs: 6
; NumVgprs: 0
; NumAgprs: 0
; TotalNumVgprs: 0
; ScratchSize: 0
; MemoryBound: 0
; FloatMode: 240
; IeeeMode: 1
; LDSByteSize: 0 bytes/workgroup (compile time only)
; SGPRBlocks: 0
; VGPRBlocks: 0
; NumSGPRsForWavesPerEU: 6
; NumVGPRsForWavesPerEU: 1
; AccumOffset: 4
; Occupancy: 8
; WaveLimiterHint : 0
; COMPUTE_PGM_RSRC2:SCRATCH_EN: 0
; COMPUTE_PGM_RSRC2:USER_SGPR: 2
; COMPUTE_PGM_RSRC2:TRAP_HANDLER: 0
; COMPUTE_PGM_RSRC2:TGID_X_EN: 1
; COMPUTE_PGM_RSRC2:TGID_Y_EN: 0
; COMPUTE_PGM_RSRC2:TGID_Z_EN: 0
; COMPUTE_PGM_RSRC2:TIDIG_COMP_CNT: 0
; COMPUTE_PGM_RSRC3_GFX90A:ACCUM_OFFSET: 0
; COMPUTE_PGM_RSRC3_GFX90A:TG_SPLIT: 0
	.section	.text._ZN7rocprim17ROCPRIM_400000_NS6detail17trampoline_kernelINS0_14default_configENS1_27scan_by_key_config_selectorIllEEZZNS1_16scan_by_key_implILNS1_25lookback_scan_determinismE0ELb0ES3_N6thrust23THRUST_200600_302600_NS16reverse_iteratorIPKlEESD_NSA_IPlEElN6hipcub16HIPCUB_304000_NS3MaxENSH_8EqualityElEE10hipError_tPvRmT2_T3_T4_T5_mT6_T7_P12ihipStream_tbENKUlT_T0_E_clISt17integral_constantIbLb0EES10_EEDaSV_SW_EUlSV_E_NS1_11comp_targetILNS1_3genE10ELNS1_11target_archE1200ELNS1_3gpuE4ELNS1_3repE0EEENS1_30default_config_static_selectorELNS0_4arch9wavefront6targetE1EEEvT1_,"axG",@progbits,_ZN7rocprim17ROCPRIM_400000_NS6detail17trampoline_kernelINS0_14default_configENS1_27scan_by_key_config_selectorIllEEZZNS1_16scan_by_key_implILNS1_25lookback_scan_determinismE0ELb0ES3_N6thrust23THRUST_200600_302600_NS16reverse_iteratorIPKlEESD_NSA_IPlEElN6hipcub16HIPCUB_304000_NS3MaxENSH_8EqualityElEE10hipError_tPvRmT2_T3_T4_T5_mT6_T7_P12ihipStream_tbENKUlT_T0_E_clISt17integral_constantIbLb0EES10_EEDaSV_SW_EUlSV_E_NS1_11comp_targetILNS1_3genE10ELNS1_11target_archE1200ELNS1_3gpuE4ELNS1_3repE0EEENS1_30default_config_static_selectorELNS0_4arch9wavefront6targetE1EEEvT1_,comdat
	.protected	_ZN7rocprim17ROCPRIM_400000_NS6detail17trampoline_kernelINS0_14default_configENS1_27scan_by_key_config_selectorIllEEZZNS1_16scan_by_key_implILNS1_25lookback_scan_determinismE0ELb0ES3_N6thrust23THRUST_200600_302600_NS16reverse_iteratorIPKlEESD_NSA_IPlEElN6hipcub16HIPCUB_304000_NS3MaxENSH_8EqualityElEE10hipError_tPvRmT2_T3_T4_T5_mT6_T7_P12ihipStream_tbENKUlT_T0_E_clISt17integral_constantIbLb0EES10_EEDaSV_SW_EUlSV_E_NS1_11comp_targetILNS1_3genE10ELNS1_11target_archE1200ELNS1_3gpuE4ELNS1_3repE0EEENS1_30default_config_static_selectorELNS0_4arch9wavefront6targetE1EEEvT1_ ; -- Begin function _ZN7rocprim17ROCPRIM_400000_NS6detail17trampoline_kernelINS0_14default_configENS1_27scan_by_key_config_selectorIllEEZZNS1_16scan_by_key_implILNS1_25lookback_scan_determinismE0ELb0ES3_N6thrust23THRUST_200600_302600_NS16reverse_iteratorIPKlEESD_NSA_IPlEElN6hipcub16HIPCUB_304000_NS3MaxENSH_8EqualityElEE10hipError_tPvRmT2_T3_T4_T5_mT6_T7_P12ihipStream_tbENKUlT_T0_E_clISt17integral_constantIbLb0EES10_EEDaSV_SW_EUlSV_E_NS1_11comp_targetILNS1_3genE10ELNS1_11target_archE1200ELNS1_3gpuE4ELNS1_3repE0EEENS1_30default_config_static_selectorELNS0_4arch9wavefront6targetE1EEEvT1_
	.globl	_ZN7rocprim17ROCPRIM_400000_NS6detail17trampoline_kernelINS0_14default_configENS1_27scan_by_key_config_selectorIllEEZZNS1_16scan_by_key_implILNS1_25lookback_scan_determinismE0ELb0ES3_N6thrust23THRUST_200600_302600_NS16reverse_iteratorIPKlEESD_NSA_IPlEElN6hipcub16HIPCUB_304000_NS3MaxENSH_8EqualityElEE10hipError_tPvRmT2_T3_T4_T5_mT6_T7_P12ihipStream_tbENKUlT_T0_E_clISt17integral_constantIbLb0EES10_EEDaSV_SW_EUlSV_E_NS1_11comp_targetILNS1_3genE10ELNS1_11target_archE1200ELNS1_3gpuE4ELNS1_3repE0EEENS1_30default_config_static_selectorELNS0_4arch9wavefront6targetE1EEEvT1_
	.p2align	8
	.type	_ZN7rocprim17ROCPRIM_400000_NS6detail17trampoline_kernelINS0_14default_configENS1_27scan_by_key_config_selectorIllEEZZNS1_16scan_by_key_implILNS1_25lookback_scan_determinismE0ELb0ES3_N6thrust23THRUST_200600_302600_NS16reverse_iteratorIPKlEESD_NSA_IPlEElN6hipcub16HIPCUB_304000_NS3MaxENSH_8EqualityElEE10hipError_tPvRmT2_T3_T4_T5_mT6_T7_P12ihipStream_tbENKUlT_T0_E_clISt17integral_constantIbLb0EES10_EEDaSV_SW_EUlSV_E_NS1_11comp_targetILNS1_3genE10ELNS1_11target_archE1200ELNS1_3gpuE4ELNS1_3repE0EEENS1_30default_config_static_selectorELNS0_4arch9wavefront6targetE1EEEvT1_,@function
_ZN7rocprim17ROCPRIM_400000_NS6detail17trampoline_kernelINS0_14default_configENS1_27scan_by_key_config_selectorIllEEZZNS1_16scan_by_key_implILNS1_25lookback_scan_determinismE0ELb0ES3_N6thrust23THRUST_200600_302600_NS16reverse_iteratorIPKlEESD_NSA_IPlEElN6hipcub16HIPCUB_304000_NS3MaxENSH_8EqualityElEE10hipError_tPvRmT2_T3_T4_T5_mT6_T7_P12ihipStream_tbENKUlT_T0_E_clISt17integral_constantIbLb0EES10_EEDaSV_SW_EUlSV_E_NS1_11comp_targetILNS1_3genE10ELNS1_11target_archE1200ELNS1_3gpuE4ELNS1_3repE0EEENS1_30default_config_static_selectorELNS0_4arch9wavefront6targetE1EEEvT1_: ; @_ZN7rocprim17ROCPRIM_400000_NS6detail17trampoline_kernelINS0_14default_configENS1_27scan_by_key_config_selectorIllEEZZNS1_16scan_by_key_implILNS1_25lookback_scan_determinismE0ELb0ES3_N6thrust23THRUST_200600_302600_NS16reverse_iteratorIPKlEESD_NSA_IPlEElN6hipcub16HIPCUB_304000_NS3MaxENSH_8EqualityElEE10hipError_tPvRmT2_T3_T4_T5_mT6_T7_P12ihipStream_tbENKUlT_T0_E_clISt17integral_constantIbLb0EES10_EEDaSV_SW_EUlSV_E_NS1_11comp_targetILNS1_3genE10ELNS1_11target_archE1200ELNS1_3gpuE4ELNS1_3repE0EEENS1_30default_config_static_selectorELNS0_4arch9wavefront6targetE1EEEvT1_
; %bb.0:
	.section	.rodata,"a",@progbits
	.p2align	6, 0x0
	.amdhsa_kernel _ZN7rocprim17ROCPRIM_400000_NS6detail17trampoline_kernelINS0_14default_configENS1_27scan_by_key_config_selectorIllEEZZNS1_16scan_by_key_implILNS1_25lookback_scan_determinismE0ELb0ES3_N6thrust23THRUST_200600_302600_NS16reverse_iteratorIPKlEESD_NSA_IPlEElN6hipcub16HIPCUB_304000_NS3MaxENSH_8EqualityElEE10hipError_tPvRmT2_T3_T4_T5_mT6_T7_P12ihipStream_tbENKUlT_T0_E_clISt17integral_constantIbLb0EES10_EEDaSV_SW_EUlSV_E_NS1_11comp_targetILNS1_3genE10ELNS1_11target_archE1200ELNS1_3gpuE4ELNS1_3repE0EEENS1_30default_config_static_selectorELNS0_4arch9wavefront6targetE1EEEvT1_
		.amdhsa_group_segment_fixed_size 0
		.amdhsa_private_segment_fixed_size 0
		.amdhsa_kernarg_size 136
		.amdhsa_user_sgpr_count 2
		.amdhsa_user_sgpr_dispatch_ptr 0
		.amdhsa_user_sgpr_queue_ptr 0
		.amdhsa_user_sgpr_kernarg_segment_ptr 1
		.amdhsa_user_sgpr_dispatch_id 0
		.amdhsa_user_sgpr_kernarg_preload_length 0
		.amdhsa_user_sgpr_kernarg_preload_offset 0
		.amdhsa_user_sgpr_private_segment_size 0
		.amdhsa_uses_dynamic_stack 0
		.amdhsa_enable_private_segment 0
		.amdhsa_system_sgpr_workgroup_id_x 1
		.amdhsa_system_sgpr_workgroup_id_y 0
		.amdhsa_system_sgpr_workgroup_id_z 0
		.amdhsa_system_sgpr_workgroup_info 0
		.amdhsa_system_vgpr_workitem_id 0
		.amdhsa_next_free_vgpr 1
		.amdhsa_next_free_sgpr 0
		.amdhsa_accum_offset 4
		.amdhsa_reserve_vcc 0
		.amdhsa_float_round_mode_32 0
		.amdhsa_float_round_mode_16_64 0
		.amdhsa_float_denorm_mode_32 3
		.amdhsa_float_denorm_mode_16_64 3
		.amdhsa_dx10_clamp 1
		.amdhsa_ieee_mode 1
		.amdhsa_fp16_overflow 0
		.amdhsa_tg_split 0
		.amdhsa_exception_fp_ieee_invalid_op 0
		.amdhsa_exception_fp_denorm_src 0
		.amdhsa_exception_fp_ieee_div_zero 0
		.amdhsa_exception_fp_ieee_overflow 0
		.amdhsa_exception_fp_ieee_underflow 0
		.amdhsa_exception_fp_ieee_inexact 0
		.amdhsa_exception_int_div_zero 0
	.end_amdhsa_kernel
	.section	.text._ZN7rocprim17ROCPRIM_400000_NS6detail17trampoline_kernelINS0_14default_configENS1_27scan_by_key_config_selectorIllEEZZNS1_16scan_by_key_implILNS1_25lookback_scan_determinismE0ELb0ES3_N6thrust23THRUST_200600_302600_NS16reverse_iteratorIPKlEESD_NSA_IPlEElN6hipcub16HIPCUB_304000_NS3MaxENSH_8EqualityElEE10hipError_tPvRmT2_T3_T4_T5_mT6_T7_P12ihipStream_tbENKUlT_T0_E_clISt17integral_constantIbLb0EES10_EEDaSV_SW_EUlSV_E_NS1_11comp_targetILNS1_3genE10ELNS1_11target_archE1200ELNS1_3gpuE4ELNS1_3repE0EEENS1_30default_config_static_selectorELNS0_4arch9wavefront6targetE1EEEvT1_,"axG",@progbits,_ZN7rocprim17ROCPRIM_400000_NS6detail17trampoline_kernelINS0_14default_configENS1_27scan_by_key_config_selectorIllEEZZNS1_16scan_by_key_implILNS1_25lookback_scan_determinismE0ELb0ES3_N6thrust23THRUST_200600_302600_NS16reverse_iteratorIPKlEESD_NSA_IPlEElN6hipcub16HIPCUB_304000_NS3MaxENSH_8EqualityElEE10hipError_tPvRmT2_T3_T4_T5_mT6_T7_P12ihipStream_tbENKUlT_T0_E_clISt17integral_constantIbLb0EES10_EEDaSV_SW_EUlSV_E_NS1_11comp_targetILNS1_3genE10ELNS1_11target_archE1200ELNS1_3gpuE4ELNS1_3repE0EEENS1_30default_config_static_selectorELNS0_4arch9wavefront6targetE1EEEvT1_,comdat
.Lfunc_end143:
	.size	_ZN7rocprim17ROCPRIM_400000_NS6detail17trampoline_kernelINS0_14default_configENS1_27scan_by_key_config_selectorIllEEZZNS1_16scan_by_key_implILNS1_25lookback_scan_determinismE0ELb0ES3_N6thrust23THRUST_200600_302600_NS16reverse_iteratorIPKlEESD_NSA_IPlEElN6hipcub16HIPCUB_304000_NS3MaxENSH_8EqualityElEE10hipError_tPvRmT2_T3_T4_T5_mT6_T7_P12ihipStream_tbENKUlT_T0_E_clISt17integral_constantIbLb0EES10_EEDaSV_SW_EUlSV_E_NS1_11comp_targetILNS1_3genE10ELNS1_11target_archE1200ELNS1_3gpuE4ELNS1_3repE0EEENS1_30default_config_static_selectorELNS0_4arch9wavefront6targetE1EEEvT1_, .Lfunc_end143-_ZN7rocprim17ROCPRIM_400000_NS6detail17trampoline_kernelINS0_14default_configENS1_27scan_by_key_config_selectorIllEEZZNS1_16scan_by_key_implILNS1_25lookback_scan_determinismE0ELb0ES3_N6thrust23THRUST_200600_302600_NS16reverse_iteratorIPKlEESD_NSA_IPlEElN6hipcub16HIPCUB_304000_NS3MaxENSH_8EqualityElEE10hipError_tPvRmT2_T3_T4_T5_mT6_T7_P12ihipStream_tbENKUlT_T0_E_clISt17integral_constantIbLb0EES10_EEDaSV_SW_EUlSV_E_NS1_11comp_targetILNS1_3genE10ELNS1_11target_archE1200ELNS1_3gpuE4ELNS1_3repE0EEENS1_30default_config_static_selectorELNS0_4arch9wavefront6targetE1EEEvT1_
                                        ; -- End function
	.set _ZN7rocprim17ROCPRIM_400000_NS6detail17trampoline_kernelINS0_14default_configENS1_27scan_by_key_config_selectorIllEEZZNS1_16scan_by_key_implILNS1_25lookback_scan_determinismE0ELb0ES3_N6thrust23THRUST_200600_302600_NS16reverse_iteratorIPKlEESD_NSA_IPlEElN6hipcub16HIPCUB_304000_NS3MaxENSH_8EqualityElEE10hipError_tPvRmT2_T3_T4_T5_mT6_T7_P12ihipStream_tbENKUlT_T0_E_clISt17integral_constantIbLb0EES10_EEDaSV_SW_EUlSV_E_NS1_11comp_targetILNS1_3genE10ELNS1_11target_archE1200ELNS1_3gpuE4ELNS1_3repE0EEENS1_30default_config_static_selectorELNS0_4arch9wavefront6targetE1EEEvT1_.num_vgpr, 0
	.set _ZN7rocprim17ROCPRIM_400000_NS6detail17trampoline_kernelINS0_14default_configENS1_27scan_by_key_config_selectorIllEEZZNS1_16scan_by_key_implILNS1_25lookback_scan_determinismE0ELb0ES3_N6thrust23THRUST_200600_302600_NS16reverse_iteratorIPKlEESD_NSA_IPlEElN6hipcub16HIPCUB_304000_NS3MaxENSH_8EqualityElEE10hipError_tPvRmT2_T3_T4_T5_mT6_T7_P12ihipStream_tbENKUlT_T0_E_clISt17integral_constantIbLb0EES10_EEDaSV_SW_EUlSV_E_NS1_11comp_targetILNS1_3genE10ELNS1_11target_archE1200ELNS1_3gpuE4ELNS1_3repE0EEENS1_30default_config_static_selectorELNS0_4arch9wavefront6targetE1EEEvT1_.num_agpr, 0
	.set _ZN7rocprim17ROCPRIM_400000_NS6detail17trampoline_kernelINS0_14default_configENS1_27scan_by_key_config_selectorIllEEZZNS1_16scan_by_key_implILNS1_25lookback_scan_determinismE0ELb0ES3_N6thrust23THRUST_200600_302600_NS16reverse_iteratorIPKlEESD_NSA_IPlEElN6hipcub16HIPCUB_304000_NS3MaxENSH_8EqualityElEE10hipError_tPvRmT2_T3_T4_T5_mT6_T7_P12ihipStream_tbENKUlT_T0_E_clISt17integral_constantIbLb0EES10_EEDaSV_SW_EUlSV_E_NS1_11comp_targetILNS1_3genE10ELNS1_11target_archE1200ELNS1_3gpuE4ELNS1_3repE0EEENS1_30default_config_static_selectorELNS0_4arch9wavefront6targetE1EEEvT1_.numbered_sgpr, 0
	.set _ZN7rocprim17ROCPRIM_400000_NS6detail17trampoline_kernelINS0_14default_configENS1_27scan_by_key_config_selectorIllEEZZNS1_16scan_by_key_implILNS1_25lookback_scan_determinismE0ELb0ES3_N6thrust23THRUST_200600_302600_NS16reverse_iteratorIPKlEESD_NSA_IPlEElN6hipcub16HIPCUB_304000_NS3MaxENSH_8EqualityElEE10hipError_tPvRmT2_T3_T4_T5_mT6_T7_P12ihipStream_tbENKUlT_T0_E_clISt17integral_constantIbLb0EES10_EEDaSV_SW_EUlSV_E_NS1_11comp_targetILNS1_3genE10ELNS1_11target_archE1200ELNS1_3gpuE4ELNS1_3repE0EEENS1_30default_config_static_selectorELNS0_4arch9wavefront6targetE1EEEvT1_.num_named_barrier, 0
	.set _ZN7rocprim17ROCPRIM_400000_NS6detail17trampoline_kernelINS0_14default_configENS1_27scan_by_key_config_selectorIllEEZZNS1_16scan_by_key_implILNS1_25lookback_scan_determinismE0ELb0ES3_N6thrust23THRUST_200600_302600_NS16reverse_iteratorIPKlEESD_NSA_IPlEElN6hipcub16HIPCUB_304000_NS3MaxENSH_8EqualityElEE10hipError_tPvRmT2_T3_T4_T5_mT6_T7_P12ihipStream_tbENKUlT_T0_E_clISt17integral_constantIbLb0EES10_EEDaSV_SW_EUlSV_E_NS1_11comp_targetILNS1_3genE10ELNS1_11target_archE1200ELNS1_3gpuE4ELNS1_3repE0EEENS1_30default_config_static_selectorELNS0_4arch9wavefront6targetE1EEEvT1_.private_seg_size, 0
	.set _ZN7rocprim17ROCPRIM_400000_NS6detail17trampoline_kernelINS0_14default_configENS1_27scan_by_key_config_selectorIllEEZZNS1_16scan_by_key_implILNS1_25lookback_scan_determinismE0ELb0ES3_N6thrust23THRUST_200600_302600_NS16reverse_iteratorIPKlEESD_NSA_IPlEElN6hipcub16HIPCUB_304000_NS3MaxENSH_8EqualityElEE10hipError_tPvRmT2_T3_T4_T5_mT6_T7_P12ihipStream_tbENKUlT_T0_E_clISt17integral_constantIbLb0EES10_EEDaSV_SW_EUlSV_E_NS1_11comp_targetILNS1_3genE10ELNS1_11target_archE1200ELNS1_3gpuE4ELNS1_3repE0EEENS1_30default_config_static_selectorELNS0_4arch9wavefront6targetE1EEEvT1_.uses_vcc, 0
	.set _ZN7rocprim17ROCPRIM_400000_NS6detail17trampoline_kernelINS0_14default_configENS1_27scan_by_key_config_selectorIllEEZZNS1_16scan_by_key_implILNS1_25lookback_scan_determinismE0ELb0ES3_N6thrust23THRUST_200600_302600_NS16reverse_iteratorIPKlEESD_NSA_IPlEElN6hipcub16HIPCUB_304000_NS3MaxENSH_8EqualityElEE10hipError_tPvRmT2_T3_T4_T5_mT6_T7_P12ihipStream_tbENKUlT_T0_E_clISt17integral_constantIbLb0EES10_EEDaSV_SW_EUlSV_E_NS1_11comp_targetILNS1_3genE10ELNS1_11target_archE1200ELNS1_3gpuE4ELNS1_3repE0EEENS1_30default_config_static_selectorELNS0_4arch9wavefront6targetE1EEEvT1_.uses_flat_scratch, 0
	.set _ZN7rocprim17ROCPRIM_400000_NS6detail17trampoline_kernelINS0_14default_configENS1_27scan_by_key_config_selectorIllEEZZNS1_16scan_by_key_implILNS1_25lookback_scan_determinismE0ELb0ES3_N6thrust23THRUST_200600_302600_NS16reverse_iteratorIPKlEESD_NSA_IPlEElN6hipcub16HIPCUB_304000_NS3MaxENSH_8EqualityElEE10hipError_tPvRmT2_T3_T4_T5_mT6_T7_P12ihipStream_tbENKUlT_T0_E_clISt17integral_constantIbLb0EES10_EEDaSV_SW_EUlSV_E_NS1_11comp_targetILNS1_3genE10ELNS1_11target_archE1200ELNS1_3gpuE4ELNS1_3repE0EEENS1_30default_config_static_selectorELNS0_4arch9wavefront6targetE1EEEvT1_.has_dyn_sized_stack, 0
	.set _ZN7rocprim17ROCPRIM_400000_NS6detail17trampoline_kernelINS0_14default_configENS1_27scan_by_key_config_selectorIllEEZZNS1_16scan_by_key_implILNS1_25lookback_scan_determinismE0ELb0ES3_N6thrust23THRUST_200600_302600_NS16reverse_iteratorIPKlEESD_NSA_IPlEElN6hipcub16HIPCUB_304000_NS3MaxENSH_8EqualityElEE10hipError_tPvRmT2_T3_T4_T5_mT6_T7_P12ihipStream_tbENKUlT_T0_E_clISt17integral_constantIbLb0EES10_EEDaSV_SW_EUlSV_E_NS1_11comp_targetILNS1_3genE10ELNS1_11target_archE1200ELNS1_3gpuE4ELNS1_3repE0EEENS1_30default_config_static_selectorELNS0_4arch9wavefront6targetE1EEEvT1_.has_recursion, 0
	.set _ZN7rocprim17ROCPRIM_400000_NS6detail17trampoline_kernelINS0_14default_configENS1_27scan_by_key_config_selectorIllEEZZNS1_16scan_by_key_implILNS1_25lookback_scan_determinismE0ELb0ES3_N6thrust23THRUST_200600_302600_NS16reverse_iteratorIPKlEESD_NSA_IPlEElN6hipcub16HIPCUB_304000_NS3MaxENSH_8EqualityElEE10hipError_tPvRmT2_T3_T4_T5_mT6_T7_P12ihipStream_tbENKUlT_T0_E_clISt17integral_constantIbLb0EES10_EEDaSV_SW_EUlSV_E_NS1_11comp_targetILNS1_3genE10ELNS1_11target_archE1200ELNS1_3gpuE4ELNS1_3repE0EEENS1_30default_config_static_selectorELNS0_4arch9wavefront6targetE1EEEvT1_.has_indirect_call, 0
	.section	.AMDGPU.csdata,"",@progbits
; Kernel info:
; codeLenInByte = 0
; TotalNumSgprs: 6
; NumVgprs: 0
; NumAgprs: 0
; TotalNumVgprs: 0
; ScratchSize: 0
; MemoryBound: 0
; FloatMode: 240
; IeeeMode: 1
; LDSByteSize: 0 bytes/workgroup (compile time only)
; SGPRBlocks: 0
; VGPRBlocks: 0
; NumSGPRsForWavesPerEU: 6
; NumVGPRsForWavesPerEU: 1
; AccumOffset: 4
; Occupancy: 8
; WaveLimiterHint : 0
; COMPUTE_PGM_RSRC2:SCRATCH_EN: 0
; COMPUTE_PGM_RSRC2:USER_SGPR: 2
; COMPUTE_PGM_RSRC2:TRAP_HANDLER: 0
; COMPUTE_PGM_RSRC2:TGID_X_EN: 1
; COMPUTE_PGM_RSRC2:TGID_Y_EN: 0
; COMPUTE_PGM_RSRC2:TGID_Z_EN: 0
; COMPUTE_PGM_RSRC2:TIDIG_COMP_CNT: 0
; COMPUTE_PGM_RSRC3_GFX90A:ACCUM_OFFSET: 0
; COMPUTE_PGM_RSRC3_GFX90A:TG_SPLIT: 0
	.section	.text._ZN7rocprim17ROCPRIM_400000_NS6detail17trampoline_kernelINS0_14default_configENS1_27scan_by_key_config_selectorIllEEZZNS1_16scan_by_key_implILNS1_25lookback_scan_determinismE0ELb0ES3_N6thrust23THRUST_200600_302600_NS16reverse_iteratorIPKlEESD_NSA_IPlEElN6hipcub16HIPCUB_304000_NS3MaxENSH_8EqualityElEE10hipError_tPvRmT2_T3_T4_T5_mT6_T7_P12ihipStream_tbENKUlT_T0_E_clISt17integral_constantIbLb0EES10_EEDaSV_SW_EUlSV_E_NS1_11comp_targetILNS1_3genE9ELNS1_11target_archE1100ELNS1_3gpuE3ELNS1_3repE0EEENS1_30default_config_static_selectorELNS0_4arch9wavefront6targetE1EEEvT1_,"axG",@progbits,_ZN7rocprim17ROCPRIM_400000_NS6detail17trampoline_kernelINS0_14default_configENS1_27scan_by_key_config_selectorIllEEZZNS1_16scan_by_key_implILNS1_25lookback_scan_determinismE0ELb0ES3_N6thrust23THRUST_200600_302600_NS16reverse_iteratorIPKlEESD_NSA_IPlEElN6hipcub16HIPCUB_304000_NS3MaxENSH_8EqualityElEE10hipError_tPvRmT2_T3_T4_T5_mT6_T7_P12ihipStream_tbENKUlT_T0_E_clISt17integral_constantIbLb0EES10_EEDaSV_SW_EUlSV_E_NS1_11comp_targetILNS1_3genE9ELNS1_11target_archE1100ELNS1_3gpuE3ELNS1_3repE0EEENS1_30default_config_static_selectorELNS0_4arch9wavefront6targetE1EEEvT1_,comdat
	.protected	_ZN7rocprim17ROCPRIM_400000_NS6detail17trampoline_kernelINS0_14default_configENS1_27scan_by_key_config_selectorIllEEZZNS1_16scan_by_key_implILNS1_25lookback_scan_determinismE0ELb0ES3_N6thrust23THRUST_200600_302600_NS16reverse_iteratorIPKlEESD_NSA_IPlEElN6hipcub16HIPCUB_304000_NS3MaxENSH_8EqualityElEE10hipError_tPvRmT2_T3_T4_T5_mT6_T7_P12ihipStream_tbENKUlT_T0_E_clISt17integral_constantIbLb0EES10_EEDaSV_SW_EUlSV_E_NS1_11comp_targetILNS1_3genE9ELNS1_11target_archE1100ELNS1_3gpuE3ELNS1_3repE0EEENS1_30default_config_static_selectorELNS0_4arch9wavefront6targetE1EEEvT1_ ; -- Begin function _ZN7rocprim17ROCPRIM_400000_NS6detail17trampoline_kernelINS0_14default_configENS1_27scan_by_key_config_selectorIllEEZZNS1_16scan_by_key_implILNS1_25lookback_scan_determinismE0ELb0ES3_N6thrust23THRUST_200600_302600_NS16reverse_iteratorIPKlEESD_NSA_IPlEElN6hipcub16HIPCUB_304000_NS3MaxENSH_8EqualityElEE10hipError_tPvRmT2_T3_T4_T5_mT6_T7_P12ihipStream_tbENKUlT_T0_E_clISt17integral_constantIbLb0EES10_EEDaSV_SW_EUlSV_E_NS1_11comp_targetILNS1_3genE9ELNS1_11target_archE1100ELNS1_3gpuE3ELNS1_3repE0EEENS1_30default_config_static_selectorELNS0_4arch9wavefront6targetE1EEEvT1_
	.globl	_ZN7rocprim17ROCPRIM_400000_NS6detail17trampoline_kernelINS0_14default_configENS1_27scan_by_key_config_selectorIllEEZZNS1_16scan_by_key_implILNS1_25lookback_scan_determinismE0ELb0ES3_N6thrust23THRUST_200600_302600_NS16reverse_iteratorIPKlEESD_NSA_IPlEElN6hipcub16HIPCUB_304000_NS3MaxENSH_8EqualityElEE10hipError_tPvRmT2_T3_T4_T5_mT6_T7_P12ihipStream_tbENKUlT_T0_E_clISt17integral_constantIbLb0EES10_EEDaSV_SW_EUlSV_E_NS1_11comp_targetILNS1_3genE9ELNS1_11target_archE1100ELNS1_3gpuE3ELNS1_3repE0EEENS1_30default_config_static_selectorELNS0_4arch9wavefront6targetE1EEEvT1_
	.p2align	8
	.type	_ZN7rocprim17ROCPRIM_400000_NS6detail17trampoline_kernelINS0_14default_configENS1_27scan_by_key_config_selectorIllEEZZNS1_16scan_by_key_implILNS1_25lookback_scan_determinismE0ELb0ES3_N6thrust23THRUST_200600_302600_NS16reverse_iteratorIPKlEESD_NSA_IPlEElN6hipcub16HIPCUB_304000_NS3MaxENSH_8EqualityElEE10hipError_tPvRmT2_T3_T4_T5_mT6_T7_P12ihipStream_tbENKUlT_T0_E_clISt17integral_constantIbLb0EES10_EEDaSV_SW_EUlSV_E_NS1_11comp_targetILNS1_3genE9ELNS1_11target_archE1100ELNS1_3gpuE3ELNS1_3repE0EEENS1_30default_config_static_selectorELNS0_4arch9wavefront6targetE1EEEvT1_,@function
_ZN7rocprim17ROCPRIM_400000_NS6detail17trampoline_kernelINS0_14default_configENS1_27scan_by_key_config_selectorIllEEZZNS1_16scan_by_key_implILNS1_25lookback_scan_determinismE0ELb0ES3_N6thrust23THRUST_200600_302600_NS16reverse_iteratorIPKlEESD_NSA_IPlEElN6hipcub16HIPCUB_304000_NS3MaxENSH_8EqualityElEE10hipError_tPvRmT2_T3_T4_T5_mT6_T7_P12ihipStream_tbENKUlT_T0_E_clISt17integral_constantIbLb0EES10_EEDaSV_SW_EUlSV_E_NS1_11comp_targetILNS1_3genE9ELNS1_11target_archE1100ELNS1_3gpuE3ELNS1_3repE0EEENS1_30default_config_static_selectorELNS0_4arch9wavefront6targetE1EEEvT1_: ; @_ZN7rocprim17ROCPRIM_400000_NS6detail17trampoline_kernelINS0_14default_configENS1_27scan_by_key_config_selectorIllEEZZNS1_16scan_by_key_implILNS1_25lookback_scan_determinismE0ELb0ES3_N6thrust23THRUST_200600_302600_NS16reverse_iteratorIPKlEESD_NSA_IPlEElN6hipcub16HIPCUB_304000_NS3MaxENSH_8EqualityElEE10hipError_tPvRmT2_T3_T4_T5_mT6_T7_P12ihipStream_tbENKUlT_T0_E_clISt17integral_constantIbLb0EES10_EEDaSV_SW_EUlSV_E_NS1_11comp_targetILNS1_3genE9ELNS1_11target_archE1100ELNS1_3gpuE3ELNS1_3repE0EEENS1_30default_config_static_selectorELNS0_4arch9wavefront6targetE1EEEvT1_
; %bb.0:
	.section	.rodata,"a",@progbits
	.p2align	6, 0x0
	.amdhsa_kernel _ZN7rocprim17ROCPRIM_400000_NS6detail17trampoline_kernelINS0_14default_configENS1_27scan_by_key_config_selectorIllEEZZNS1_16scan_by_key_implILNS1_25lookback_scan_determinismE0ELb0ES3_N6thrust23THRUST_200600_302600_NS16reverse_iteratorIPKlEESD_NSA_IPlEElN6hipcub16HIPCUB_304000_NS3MaxENSH_8EqualityElEE10hipError_tPvRmT2_T3_T4_T5_mT6_T7_P12ihipStream_tbENKUlT_T0_E_clISt17integral_constantIbLb0EES10_EEDaSV_SW_EUlSV_E_NS1_11comp_targetILNS1_3genE9ELNS1_11target_archE1100ELNS1_3gpuE3ELNS1_3repE0EEENS1_30default_config_static_selectorELNS0_4arch9wavefront6targetE1EEEvT1_
		.amdhsa_group_segment_fixed_size 0
		.amdhsa_private_segment_fixed_size 0
		.amdhsa_kernarg_size 136
		.amdhsa_user_sgpr_count 2
		.amdhsa_user_sgpr_dispatch_ptr 0
		.amdhsa_user_sgpr_queue_ptr 0
		.amdhsa_user_sgpr_kernarg_segment_ptr 1
		.amdhsa_user_sgpr_dispatch_id 0
		.amdhsa_user_sgpr_kernarg_preload_length 0
		.amdhsa_user_sgpr_kernarg_preload_offset 0
		.amdhsa_user_sgpr_private_segment_size 0
		.amdhsa_uses_dynamic_stack 0
		.amdhsa_enable_private_segment 0
		.amdhsa_system_sgpr_workgroup_id_x 1
		.amdhsa_system_sgpr_workgroup_id_y 0
		.amdhsa_system_sgpr_workgroup_id_z 0
		.amdhsa_system_sgpr_workgroup_info 0
		.amdhsa_system_vgpr_workitem_id 0
		.amdhsa_next_free_vgpr 1
		.amdhsa_next_free_sgpr 0
		.amdhsa_accum_offset 4
		.amdhsa_reserve_vcc 0
		.amdhsa_float_round_mode_32 0
		.amdhsa_float_round_mode_16_64 0
		.amdhsa_float_denorm_mode_32 3
		.amdhsa_float_denorm_mode_16_64 3
		.amdhsa_dx10_clamp 1
		.amdhsa_ieee_mode 1
		.amdhsa_fp16_overflow 0
		.amdhsa_tg_split 0
		.amdhsa_exception_fp_ieee_invalid_op 0
		.amdhsa_exception_fp_denorm_src 0
		.amdhsa_exception_fp_ieee_div_zero 0
		.amdhsa_exception_fp_ieee_overflow 0
		.amdhsa_exception_fp_ieee_underflow 0
		.amdhsa_exception_fp_ieee_inexact 0
		.amdhsa_exception_int_div_zero 0
	.end_amdhsa_kernel
	.section	.text._ZN7rocprim17ROCPRIM_400000_NS6detail17trampoline_kernelINS0_14default_configENS1_27scan_by_key_config_selectorIllEEZZNS1_16scan_by_key_implILNS1_25lookback_scan_determinismE0ELb0ES3_N6thrust23THRUST_200600_302600_NS16reverse_iteratorIPKlEESD_NSA_IPlEElN6hipcub16HIPCUB_304000_NS3MaxENSH_8EqualityElEE10hipError_tPvRmT2_T3_T4_T5_mT6_T7_P12ihipStream_tbENKUlT_T0_E_clISt17integral_constantIbLb0EES10_EEDaSV_SW_EUlSV_E_NS1_11comp_targetILNS1_3genE9ELNS1_11target_archE1100ELNS1_3gpuE3ELNS1_3repE0EEENS1_30default_config_static_selectorELNS0_4arch9wavefront6targetE1EEEvT1_,"axG",@progbits,_ZN7rocprim17ROCPRIM_400000_NS6detail17trampoline_kernelINS0_14default_configENS1_27scan_by_key_config_selectorIllEEZZNS1_16scan_by_key_implILNS1_25lookback_scan_determinismE0ELb0ES3_N6thrust23THRUST_200600_302600_NS16reverse_iteratorIPKlEESD_NSA_IPlEElN6hipcub16HIPCUB_304000_NS3MaxENSH_8EqualityElEE10hipError_tPvRmT2_T3_T4_T5_mT6_T7_P12ihipStream_tbENKUlT_T0_E_clISt17integral_constantIbLb0EES10_EEDaSV_SW_EUlSV_E_NS1_11comp_targetILNS1_3genE9ELNS1_11target_archE1100ELNS1_3gpuE3ELNS1_3repE0EEENS1_30default_config_static_selectorELNS0_4arch9wavefront6targetE1EEEvT1_,comdat
.Lfunc_end144:
	.size	_ZN7rocprim17ROCPRIM_400000_NS6detail17trampoline_kernelINS0_14default_configENS1_27scan_by_key_config_selectorIllEEZZNS1_16scan_by_key_implILNS1_25lookback_scan_determinismE0ELb0ES3_N6thrust23THRUST_200600_302600_NS16reverse_iteratorIPKlEESD_NSA_IPlEElN6hipcub16HIPCUB_304000_NS3MaxENSH_8EqualityElEE10hipError_tPvRmT2_T3_T4_T5_mT6_T7_P12ihipStream_tbENKUlT_T0_E_clISt17integral_constantIbLb0EES10_EEDaSV_SW_EUlSV_E_NS1_11comp_targetILNS1_3genE9ELNS1_11target_archE1100ELNS1_3gpuE3ELNS1_3repE0EEENS1_30default_config_static_selectorELNS0_4arch9wavefront6targetE1EEEvT1_, .Lfunc_end144-_ZN7rocprim17ROCPRIM_400000_NS6detail17trampoline_kernelINS0_14default_configENS1_27scan_by_key_config_selectorIllEEZZNS1_16scan_by_key_implILNS1_25lookback_scan_determinismE0ELb0ES3_N6thrust23THRUST_200600_302600_NS16reverse_iteratorIPKlEESD_NSA_IPlEElN6hipcub16HIPCUB_304000_NS3MaxENSH_8EqualityElEE10hipError_tPvRmT2_T3_T4_T5_mT6_T7_P12ihipStream_tbENKUlT_T0_E_clISt17integral_constantIbLb0EES10_EEDaSV_SW_EUlSV_E_NS1_11comp_targetILNS1_3genE9ELNS1_11target_archE1100ELNS1_3gpuE3ELNS1_3repE0EEENS1_30default_config_static_selectorELNS0_4arch9wavefront6targetE1EEEvT1_
                                        ; -- End function
	.set _ZN7rocprim17ROCPRIM_400000_NS6detail17trampoline_kernelINS0_14default_configENS1_27scan_by_key_config_selectorIllEEZZNS1_16scan_by_key_implILNS1_25lookback_scan_determinismE0ELb0ES3_N6thrust23THRUST_200600_302600_NS16reverse_iteratorIPKlEESD_NSA_IPlEElN6hipcub16HIPCUB_304000_NS3MaxENSH_8EqualityElEE10hipError_tPvRmT2_T3_T4_T5_mT6_T7_P12ihipStream_tbENKUlT_T0_E_clISt17integral_constantIbLb0EES10_EEDaSV_SW_EUlSV_E_NS1_11comp_targetILNS1_3genE9ELNS1_11target_archE1100ELNS1_3gpuE3ELNS1_3repE0EEENS1_30default_config_static_selectorELNS0_4arch9wavefront6targetE1EEEvT1_.num_vgpr, 0
	.set _ZN7rocprim17ROCPRIM_400000_NS6detail17trampoline_kernelINS0_14default_configENS1_27scan_by_key_config_selectorIllEEZZNS1_16scan_by_key_implILNS1_25lookback_scan_determinismE0ELb0ES3_N6thrust23THRUST_200600_302600_NS16reverse_iteratorIPKlEESD_NSA_IPlEElN6hipcub16HIPCUB_304000_NS3MaxENSH_8EqualityElEE10hipError_tPvRmT2_T3_T4_T5_mT6_T7_P12ihipStream_tbENKUlT_T0_E_clISt17integral_constantIbLb0EES10_EEDaSV_SW_EUlSV_E_NS1_11comp_targetILNS1_3genE9ELNS1_11target_archE1100ELNS1_3gpuE3ELNS1_3repE0EEENS1_30default_config_static_selectorELNS0_4arch9wavefront6targetE1EEEvT1_.num_agpr, 0
	.set _ZN7rocprim17ROCPRIM_400000_NS6detail17trampoline_kernelINS0_14default_configENS1_27scan_by_key_config_selectorIllEEZZNS1_16scan_by_key_implILNS1_25lookback_scan_determinismE0ELb0ES3_N6thrust23THRUST_200600_302600_NS16reverse_iteratorIPKlEESD_NSA_IPlEElN6hipcub16HIPCUB_304000_NS3MaxENSH_8EqualityElEE10hipError_tPvRmT2_T3_T4_T5_mT6_T7_P12ihipStream_tbENKUlT_T0_E_clISt17integral_constantIbLb0EES10_EEDaSV_SW_EUlSV_E_NS1_11comp_targetILNS1_3genE9ELNS1_11target_archE1100ELNS1_3gpuE3ELNS1_3repE0EEENS1_30default_config_static_selectorELNS0_4arch9wavefront6targetE1EEEvT1_.numbered_sgpr, 0
	.set _ZN7rocprim17ROCPRIM_400000_NS6detail17trampoline_kernelINS0_14default_configENS1_27scan_by_key_config_selectorIllEEZZNS1_16scan_by_key_implILNS1_25lookback_scan_determinismE0ELb0ES3_N6thrust23THRUST_200600_302600_NS16reverse_iteratorIPKlEESD_NSA_IPlEElN6hipcub16HIPCUB_304000_NS3MaxENSH_8EqualityElEE10hipError_tPvRmT2_T3_T4_T5_mT6_T7_P12ihipStream_tbENKUlT_T0_E_clISt17integral_constantIbLb0EES10_EEDaSV_SW_EUlSV_E_NS1_11comp_targetILNS1_3genE9ELNS1_11target_archE1100ELNS1_3gpuE3ELNS1_3repE0EEENS1_30default_config_static_selectorELNS0_4arch9wavefront6targetE1EEEvT1_.num_named_barrier, 0
	.set _ZN7rocprim17ROCPRIM_400000_NS6detail17trampoline_kernelINS0_14default_configENS1_27scan_by_key_config_selectorIllEEZZNS1_16scan_by_key_implILNS1_25lookback_scan_determinismE0ELb0ES3_N6thrust23THRUST_200600_302600_NS16reverse_iteratorIPKlEESD_NSA_IPlEElN6hipcub16HIPCUB_304000_NS3MaxENSH_8EqualityElEE10hipError_tPvRmT2_T3_T4_T5_mT6_T7_P12ihipStream_tbENKUlT_T0_E_clISt17integral_constantIbLb0EES10_EEDaSV_SW_EUlSV_E_NS1_11comp_targetILNS1_3genE9ELNS1_11target_archE1100ELNS1_3gpuE3ELNS1_3repE0EEENS1_30default_config_static_selectorELNS0_4arch9wavefront6targetE1EEEvT1_.private_seg_size, 0
	.set _ZN7rocprim17ROCPRIM_400000_NS6detail17trampoline_kernelINS0_14default_configENS1_27scan_by_key_config_selectorIllEEZZNS1_16scan_by_key_implILNS1_25lookback_scan_determinismE0ELb0ES3_N6thrust23THRUST_200600_302600_NS16reverse_iteratorIPKlEESD_NSA_IPlEElN6hipcub16HIPCUB_304000_NS3MaxENSH_8EqualityElEE10hipError_tPvRmT2_T3_T4_T5_mT6_T7_P12ihipStream_tbENKUlT_T0_E_clISt17integral_constantIbLb0EES10_EEDaSV_SW_EUlSV_E_NS1_11comp_targetILNS1_3genE9ELNS1_11target_archE1100ELNS1_3gpuE3ELNS1_3repE0EEENS1_30default_config_static_selectorELNS0_4arch9wavefront6targetE1EEEvT1_.uses_vcc, 0
	.set _ZN7rocprim17ROCPRIM_400000_NS6detail17trampoline_kernelINS0_14default_configENS1_27scan_by_key_config_selectorIllEEZZNS1_16scan_by_key_implILNS1_25lookback_scan_determinismE0ELb0ES3_N6thrust23THRUST_200600_302600_NS16reverse_iteratorIPKlEESD_NSA_IPlEElN6hipcub16HIPCUB_304000_NS3MaxENSH_8EqualityElEE10hipError_tPvRmT2_T3_T4_T5_mT6_T7_P12ihipStream_tbENKUlT_T0_E_clISt17integral_constantIbLb0EES10_EEDaSV_SW_EUlSV_E_NS1_11comp_targetILNS1_3genE9ELNS1_11target_archE1100ELNS1_3gpuE3ELNS1_3repE0EEENS1_30default_config_static_selectorELNS0_4arch9wavefront6targetE1EEEvT1_.uses_flat_scratch, 0
	.set _ZN7rocprim17ROCPRIM_400000_NS6detail17trampoline_kernelINS0_14default_configENS1_27scan_by_key_config_selectorIllEEZZNS1_16scan_by_key_implILNS1_25lookback_scan_determinismE0ELb0ES3_N6thrust23THRUST_200600_302600_NS16reverse_iteratorIPKlEESD_NSA_IPlEElN6hipcub16HIPCUB_304000_NS3MaxENSH_8EqualityElEE10hipError_tPvRmT2_T3_T4_T5_mT6_T7_P12ihipStream_tbENKUlT_T0_E_clISt17integral_constantIbLb0EES10_EEDaSV_SW_EUlSV_E_NS1_11comp_targetILNS1_3genE9ELNS1_11target_archE1100ELNS1_3gpuE3ELNS1_3repE0EEENS1_30default_config_static_selectorELNS0_4arch9wavefront6targetE1EEEvT1_.has_dyn_sized_stack, 0
	.set _ZN7rocprim17ROCPRIM_400000_NS6detail17trampoline_kernelINS0_14default_configENS1_27scan_by_key_config_selectorIllEEZZNS1_16scan_by_key_implILNS1_25lookback_scan_determinismE0ELb0ES3_N6thrust23THRUST_200600_302600_NS16reverse_iteratorIPKlEESD_NSA_IPlEElN6hipcub16HIPCUB_304000_NS3MaxENSH_8EqualityElEE10hipError_tPvRmT2_T3_T4_T5_mT6_T7_P12ihipStream_tbENKUlT_T0_E_clISt17integral_constantIbLb0EES10_EEDaSV_SW_EUlSV_E_NS1_11comp_targetILNS1_3genE9ELNS1_11target_archE1100ELNS1_3gpuE3ELNS1_3repE0EEENS1_30default_config_static_selectorELNS0_4arch9wavefront6targetE1EEEvT1_.has_recursion, 0
	.set _ZN7rocprim17ROCPRIM_400000_NS6detail17trampoline_kernelINS0_14default_configENS1_27scan_by_key_config_selectorIllEEZZNS1_16scan_by_key_implILNS1_25lookback_scan_determinismE0ELb0ES3_N6thrust23THRUST_200600_302600_NS16reverse_iteratorIPKlEESD_NSA_IPlEElN6hipcub16HIPCUB_304000_NS3MaxENSH_8EqualityElEE10hipError_tPvRmT2_T3_T4_T5_mT6_T7_P12ihipStream_tbENKUlT_T0_E_clISt17integral_constantIbLb0EES10_EEDaSV_SW_EUlSV_E_NS1_11comp_targetILNS1_3genE9ELNS1_11target_archE1100ELNS1_3gpuE3ELNS1_3repE0EEENS1_30default_config_static_selectorELNS0_4arch9wavefront6targetE1EEEvT1_.has_indirect_call, 0
	.section	.AMDGPU.csdata,"",@progbits
; Kernel info:
; codeLenInByte = 0
; TotalNumSgprs: 6
; NumVgprs: 0
; NumAgprs: 0
; TotalNumVgprs: 0
; ScratchSize: 0
; MemoryBound: 0
; FloatMode: 240
; IeeeMode: 1
; LDSByteSize: 0 bytes/workgroup (compile time only)
; SGPRBlocks: 0
; VGPRBlocks: 0
; NumSGPRsForWavesPerEU: 6
; NumVGPRsForWavesPerEU: 1
; AccumOffset: 4
; Occupancy: 8
; WaveLimiterHint : 0
; COMPUTE_PGM_RSRC2:SCRATCH_EN: 0
; COMPUTE_PGM_RSRC2:USER_SGPR: 2
; COMPUTE_PGM_RSRC2:TRAP_HANDLER: 0
; COMPUTE_PGM_RSRC2:TGID_X_EN: 1
; COMPUTE_PGM_RSRC2:TGID_Y_EN: 0
; COMPUTE_PGM_RSRC2:TGID_Z_EN: 0
; COMPUTE_PGM_RSRC2:TIDIG_COMP_CNT: 0
; COMPUTE_PGM_RSRC3_GFX90A:ACCUM_OFFSET: 0
; COMPUTE_PGM_RSRC3_GFX90A:TG_SPLIT: 0
	.section	.text._ZN7rocprim17ROCPRIM_400000_NS6detail17trampoline_kernelINS0_14default_configENS1_27scan_by_key_config_selectorIllEEZZNS1_16scan_by_key_implILNS1_25lookback_scan_determinismE0ELb0ES3_N6thrust23THRUST_200600_302600_NS16reverse_iteratorIPKlEESD_NSA_IPlEElN6hipcub16HIPCUB_304000_NS3MaxENSH_8EqualityElEE10hipError_tPvRmT2_T3_T4_T5_mT6_T7_P12ihipStream_tbENKUlT_T0_E_clISt17integral_constantIbLb0EES10_EEDaSV_SW_EUlSV_E_NS1_11comp_targetILNS1_3genE8ELNS1_11target_archE1030ELNS1_3gpuE2ELNS1_3repE0EEENS1_30default_config_static_selectorELNS0_4arch9wavefront6targetE1EEEvT1_,"axG",@progbits,_ZN7rocprim17ROCPRIM_400000_NS6detail17trampoline_kernelINS0_14default_configENS1_27scan_by_key_config_selectorIllEEZZNS1_16scan_by_key_implILNS1_25lookback_scan_determinismE0ELb0ES3_N6thrust23THRUST_200600_302600_NS16reverse_iteratorIPKlEESD_NSA_IPlEElN6hipcub16HIPCUB_304000_NS3MaxENSH_8EqualityElEE10hipError_tPvRmT2_T3_T4_T5_mT6_T7_P12ihipStream_tbENKUlT_T0_E_clISt17integral_constantIbLb0EES10_EEDaSV_SW_EUlSV_E_NS1_11comp_targetILNS1_3genE8ELNS1_11target_archE1030ELNS1_3gpuE2ELNS1_3repE0EEENS1_30default_config_static_selectorELNS0_4arch9wavefront6targetE1EEEvT1_,comdat
	.protected	_ZN7rocprim17ROCPRIM_400000_NS6detail17trampoline_kernelINS0_14default_configENS1_27scan_by_key_config_selectorIllEEZZNS1_16scan_by_key_implILNS1_25lookback_scan_determinismE0ELb0ES3_N6thrust23THRUST_200600_302600_NS16reverse_iteratorIPKlEESD_NSA_IPlEElN6hipcub16HIPCUB_304000_NS3MaxENSH_8EqualityElEE10hipError_tPvRmT2_T3_T4_T5_mT6_T7_P12ihipStream_tbENKUlT_T0_E_clISt17integral_constantIbLb0EES10_EEDaSV_SW_EUlSV_E_NS1_11comp_targetILNS1_3genE8ELNS1_11target_archE1030ELNS1_3gpuE2ELNS1_3repE0EEENS1_30default_config_static_selectorELNS0_4arch9wavefront6targetE1EEEvT1_ ; -- Begin function _ZN7rocprim17ROCPRIM_400000_NS6detail17trampoline_kernelINS0_14default_configENS1_27scan_by_key_config_selectorIllEEZZNS1_16scan_by_key_implILNS1_25lookback_scan_determinismE0ELb0ES3_N6thrust23THRUST_200600_302600_NS16reverse_iteratorIPKlEESD_NSA_IPlEElN6hipcub16HIPCUB_304000_NS3MaxENSH_8EqualityElEE10hipError_tPvRmT2_T3_T4_T5_mT6_T7_P12ihipStream_tbENKUlT_T0_E_clISt17integral_constantIbLb0EES10_EEDaSV_SW_EUlSV_E_NS1_11comp_targetILNS1_3genE8ELNS1_11target_archE1030ELNS1_3gpuE2ELNS1_3repE0EEENS1_30default_config_static_selectorELNS0_4arch9wavefront6targetE1EEEvT1_
	.globl	_ZN7rocprim17ROCPRIM_400000_NS6detail17trampoline_kernelINS0_14default_configENS1_27scan_by_key_config_selectorIllEEZZNS1_16scan_by_key_implILNS1_25lookback_scan_determinismE0ELb0ES3_N6thrust23THRUST_200600_302600_NS16reverse_iteratorIPKlEESD_NSA_IPlEElN6hipcub16HIPCUB_304000_NS3MaxENSH_8EqualityElEE10hipError_tPvRmT2_T3_T4_T5_mT6_T7_P12ihipStream_tbENKUlT_T0_E_clISt17integral_constantIbLb0EES10_EEDaSV_SW_EUlSV_E_NS1_11comp_targetILNS1_3genE8ELNS1_11target_archE1030ELNS1_3gpuE2ELNS1_3repE0EEENS1_30default_config_static_selectorELNS0_4arch9wavefront6targetE1EEEvT1_
	.p2align	8
	.type	_ZN7rocprim17ROCPRIM_400000_NS6detail17trampoline_kernelINS0_14default_configENS1_27scan_by_key_config_selectorIllEEZZNS1_16scan_by_key_implILNS1_25lookback_scan_determinismE0ELb0ES3_N6thrust23THRUST_200600_302600_NS16reverse_iteratorIPKlEESD_NSA_IPlEElN6hipcub16HIPCUB_304000_NS3MaxENSH_8EqualityElEE10hipError_tPvRmT2_T3_T4_T5_mT6_T7_P12ihipStream_tbENKUlT_T0_E_clISt17integral_constantIbLb0EES10_EEDaSV_SW_EUlSV_E_NS1_11comp_targetILNS1_3genE8ELNS1_11target_archE1030ELNS1_3gpuE2ELNS1_3repE0EEENS1_30default_config_static_selectorELNS0_4arch9wavefront6targetE1EEEvT1_,@function
_ZN7rocprim17ROCPRIM_400000_NS6detail17trampoline_kernelINS0_14default_configENS1_27scan_by_key_config_selectorIllEEZZNS1_16scan_by_key_implILNS1_25lookback_scan_determinismE0ELb0ES3_N6thrust23THRUST_200600_302600_NS16reverse_iteratorIPKlEESD_NSA_IPlEElN6hipcub16HIPCUB_304000_NS3MaxENSH_8EqualityElEE10hipError_tPvRmT2_T3_T4_T5_mT6_T7_P12ihipStream_tbENKUlT_T0_E_clISt17integral_constantIbLb0EES10_EEDaSV_SW_EUlSV_E_NS1_11comp_targetILNS1_3genE8ELNS1_11target_archE1030ELNS1_3gpuE2ELNS1_3repE0EEENS1_30default_config_static_selectorELNS0_4arch9wavefront6targetE1EEEvT1_: ; @_ZN7rocprim17ROCPRIM_400000_NS6detail17trampoline_kernelINS0_14default_configENS1_27scan_by_key_config_selectorIllEEZZNS1_16scan_by_key_implILNS1_25lookback_scan_determinismE0ELb0ES3_N6thrust23THRUST_200600_302600_NS16reverse_iteratorIPKlEESD_NSA_IPlEElN6hipcub16HIPCUB_304000_NS3MaxENSH_8EqualityElEE10hipError_tPvRmT2_T3_T4_T5_mT6_T7_P12ihipStream_tbENKUlT_T0_E_clISt17integral_constantIbLb0EES10_EEDaSV_SW_EUlSV_E_NS1_11comp_targetILNS1_3genE8ELNS1_11target_archE1030ELNS1_3gpuE2ELNS1_3repE0EEENS1_30default_config_static_selectorELNS0_4arch9wavefront6targetE1EEEvT1_
; %bb.0:
	.section	.rodata,"a",@progbits
	.p2align	6, 0x0
	.amdhsa_kernel _ZN7rocprim17ROCPRIM_400000_NS6detail17trampoline_kernelINS0_14default_configENS1_27scan_by_key_config_selectorIllEEZZNS1_16scan_by_key_implILNS1_25lookback_scan_determinismE0ELb0ES3_N6thrust23THRUST_200600_302600_NS16reverse_iteratorIPKlEESD_NSA_IPlEElN6hipcub16HIPCUB_304000_NS3MaxENSH_8EqualityElEE10hipError_tPvRmT2_T3_T4_T5_mT6_T7_P12ihipStream_tbENKUlT_T0_E_clISt17integral_constantIbLb0EES10_EEDaSV_SW_EUlSV_E_NS1_11comp_targetILNS1_3genE8ELNS1_11target_archE1030ELNS1_3gpuE2ELNS1_3repE0EEENS1_30default_config_static_selectorELNS0_4arch9wavefront6targetE1EEEvT1_
		.amdhsa_group_segment_fixed_size 0
		.amdhsa_private_segment_fixed_size 0
		.amdhsa_kernarg_size 136
		.amdhsa_user_sgpr_count 2
		.amdhsa_user_sgpr_dispatch_ptr 0
		.amdhsa_user_sgpr_queue_ptr 0
		.amdhsa_user_sgpr_kernarg_segment_ptr 1
		.amdhsa_user_sgpr_dispatch_id 0
		.amdhsa_user_sgpr_kernarg_preload_length 0
		.amdhsa_user_sgpr_kernarg_preload_offset 0
		.amdhsa_user_sgpr_private_segment_size 0
		.amdhsa_uses_dynamic_stack 0
		.amdhsa_enable_private_segment 0
		.amdhsa_system_sgpr_workgroup_id_x 1
		.amdhsa_system_sgpr_workgroup_id_y 0
		.amdhsa_system_sgpr_workgroup_id_z 0
		.amdhsa_system_sgpr_workgroup_info 0
		.amdhsa_system_vgpr_workitem_id 0
		.amdhsa_next_free_vgpr 1
		.amdhsa_next_free_sgpr 0
		.amdhsa_accum_offset 4
		.amdhsa_reserve_vcc 0
		.amdhsa_float_round_mode_32 0
		.amdhsa_float_round_mode_16_64 0
		.amdhsa_float_denorm_mode_32 3
		.amdhsa_float_denorm_mode_16_64 3
		.amdhsa_dx10_clamp 1
		.amdhsa_ieee_mode 1
		.amdhsa_fp16_overflow 0
		.amdhsa_tg_split 0
		.amdhsa_exception_fp_ieee_invalid_op 0
		.amdhsa_exception_fp_denorm_src 0
		.amdhsa_exception_fp_ieee_div_zero 0
		.amdhsa_exception_fp_ieee_overflow 0
		.amdhsa_exception_fp_ieee_underflow 0
		.amdhsa_exception_fp_ieee_inexact 0
		.amdhsa_exception_int_div_zero 0
	.end_amdhsa_kernel
	.section	.text._ZN7rocprim17ROCPRIM_400000_NS6detail17trampoline_kernelINS0_14default_configENS1_27scan_by_key_config_selectorIllEEZZNS1_16scan_by_key_implILNS1_25lookback_scan_determinismE0ELb0ES3_N6thrust23THRUST_200600_302600_NS16reverse_iteratorIPKlEESD_NSA_IPlEElN6hipcub16HIPCUB_304000_NS3MaxENSH_8EqualityElEE10hipError_tPvRmT2_T3_T4_T5_mT6_T7_P12ihipStream_tbENKUlT_T0_E_clISt17integral_constantIbLb0EES10_EEDaSV_SW_EUlSV_E_NS1_11comp_targetILNS1_3genE8ELNS1_11target_archE1030ELNS1_3gpuE2ELNS1_3repE0EEENS1_30default_config_static_selectorELNS0_4arch9wavefront6targetE1EEEvT1_,"axG",@progbits,_ZN7rocprim17ROCPRIM_400000_NS6detail17trampoline_kernelINS0_14default_configENS1_27scan_by_key_config_selectorIllEEZZNS1_16scan_by_key_implILNS1_25lookback_scan_determinismE0ELb0ES3_N6thrust23THRUST_200600_302600_NS16reverse_iteratorIPKlEESD_NSA_IPlEElN6hipcub16HIPCUB_304000_NS3MaxENSH_8EqualityElEE10hipError_tPvRmT2_T3_T4_T5_mT6_T7_P12ihipStream_tbENKUlT_T0_E_clISt17integral_constantIbLb0EES10_EEDaSV_SW_EUlSV_E_NS1_11comp_targetILNS1_3genE8ELNS1_11target_archE1030ELNS1_3gpuE2ELNS1_3repE0EEENS1_30default_config_static_selectorELNS0_4arch9wavefront6targetE1EEEvT1_,comdat
.Lfunc_end145:
	.size	_ZN7rocprim17ROCPRIM_400000_NS6detail17trampoline_kernelINS0_14default_configENS1_27scan_by_key_config_selectorIllEEZZNS1_16scan_by_key_implILNS1_25lookback_scan_determinismE0ELb0ES3_N6thrust23THRUST_200600_302600_NS16reverse_iteratorIPKlEESD_NSA_IPlEElN6hipcub16HIPCUB_304000_NS3MaxENSH_8EqualityElEE10hipError_tPvRmT2_T3_T4_T5_mT6_T7_P12ihipStream_tbENKUlT_T0_E_clISt17integral_constantIbLb0EES10_EEDaSV_SW_EUlSV_E_NS1_11comp_targetILNS1_3genE8ELNS1_11target_archE1030ELNS1_3gpuE2ELNS1_3repE0EEENS1_30default_config_static_selectorELNS0_4arch9wavefront6targetE1EEEvT1_, .Lfunc_end145-_ZN7rocprim17ROCPRIM_400000_NS6detail17trampoline_kernelINS0_14default_configENS1_27scan_by_key_config_selectorIllEEZZNS1_16scan_by_key_implILNS1_25lookback_scan_determinismE0ELb0ES3_N6thrust23THRUST_200600_302600_NS16reverse_iteratorIPKlEESD_NSA_IPlEElN6hipcub16HIPCUB_304000_NS3MaxENSH_8EqualityElEE10hipError_tPvRmT2_T3_T4_T5_mT6_T7_P12ihipStream_tbENKUlT_T0_E_clISt17integral_constantIbLb0EES10_EEDaSV_SW_EUlSV_E_NS1_11comp_targetILNS1_3genE8ELNS1_11target_archE1030ELNS1_3gpuE2ELNS1_3repE0EEENS1_30default_config_static_selectorELNS0_4arch9wavefront6targetE1EEEvT1_
                                        ; -- End function
	.set _ZN7rocprim17ROCPRIM_400000_NS6detail17trampoline_kernelINS0_14default_configENS1_27scan_by_key_config_selectorIllEEZZNS1_16scan_by_key_implILNS1_25lookback_scan_determinismE0ELb0ES3_N6thrust23THRUST_200600_302600_NS16reverse_iteratorIPKlEESD_NSA_IPlEElN6hipcub16HIPCUB_304000_NS3MaxENSH_8EqualityElEE10hipError_tPvRmT2_T3_T4_T5_mT6_T7_P12ihipStream_tbENKUlT_T0_E_clISt17integral_constantIbLb0EES10_EEDaSV_SW_EUlSV_E_NS1_11comp_targetILNS1_3genE8ELNS1_11target_archE1030ELNS1_3gpuE2ELNS1_3repE0EEENS1_30default_config_static_selectorELNS0_4arch9wavefront6targetE1EEEvT1_.num_vgpr, 0
	.set _ZN7rocprim17ROCPRIM_400000_NS6detail17trampoline_kernelINS0_14default_configENS1_27scan_by_key_config_selectorIllEEZZNS1_16scan_by_key_implILNS1_25lookback_scan_determinismE0ELb0ES3_N6thrust23THRUST_200600_302600_NS16reverse_iteratorIPKlEESD_NSA_IPlEElN6hipcub16HIPCUB_304000_NS3MaxENSH_8EqualityElEE10hipError_tPvRmT2_T3_T4_T5_mT6_T7_P12ihipStream_tbENKUlT_T0_E_clISt17integral_constantIbLb0EES10_EEDaSV_SW_EUlSV_E_NS1_11comp_targetILNS1_3genE8ELNS1_11target_archE1030ELNS1_3gpuE2ELNS1_3repE0EEENS1_30default_config_static_selectorELNS0_4arch9wavefront6targetE1EEEvT1_.num_agpr, 0
	.set _ZN7rocprim17ROCPRIM_400000_NS6detail17trampoline_kernelINS0_14default_configENS1_27scan_by_key_config_selectorIllEEZZNS1_16scan_by_key_implILNS1_25lookback_scan_determinismE0ELb0ES3_N6thrust23THRUST_200600_302600_NS16reverse_iteratorIPKlEESD_NSA_IPlEElN6hipcub16HIPCUB_304000_NS3MaxENSH_8EqualityElEE10hipError_tPvRmT2_T3_T4_T5_mT6_T7_P12ihipStream_tbENKUlT_T0_E_clISt17integral_constantIbLb0EES10_EEDaSV_SW_EUlSV_E_NS1_11comp_targetILNS1_3genE8ELNS1_11target_archE1030ELNS1_3gpuE2ELNS1_3repE0EEENS1_30default_config_static_selectorELNS0_4arch9wavefront6targetE1EEEvT1_.numbered_sgpr, 0
	.set _ZN7rocprim17ROCPRIM_400000_NS6detail17trampoline_kernelINS0_14default_configENS1_27scan_by_key_config_selectorIllEEZZNS1_16scan_by_key_implILNS1_25lookback_scan_determinismE0ELb0ES3_N6thrust23THRUST_200600_302600_NS16reverse_iteratorIPKlEESD_NSA_IPlEElN6hipcub16HIPCUB_304000_NS3MaxENSH_8EqualityElEE10hipError_tPvRmT2_T3_T4_T5_mT6_T7_P12ihipStream_tbENKUlT_T0_E_clISt17integral_constantIbLb0EES10_EEDaSV_SW_EUlSV_E_NS1_11comp_targetILNS1_3genE8ELNS1_11target_archE1030ELNS1_3gpuE2ELNS1_3repE0EEENS1_30default_config_static_selectorELNS0_4arch9wavefront6targetE1EEEvT1_.num_named_barrier, 0
	.set _ZN7rocprim17ROCPRIM_400000_NS6detail17trampoline_kernelINS0_14default_configENS1_27scan_by_key_config_selectorIllEEZZNS1_16scan_by_key_implILNS1_25lookback_scan_determinismE0ELb0ES3_N6thrust23THRUST_200600_302600_NS16reverse_iteratorIPKlEESD_NSA_IPlEElN6hipcub16HIPCUB_304000_NS3MaxENSH_8EqualityElEE10hipError_tPvRmT2_T3_T4_T5_mT6_T7_P12ihipStream_tbENKUlT_T0_E_clISt17integral_constantIbLb0EES10_EEDaSV_SW_EUlSV_E_NS1_11comp_targetILNS1_3genE8ELNS1_11target_archE1030ELNS1_3gpuE2ELNS1_3repE0EEENS1_30default_config_static_selectorELNS0_4arch9wavefront6targetE1EEEvT1_.private_seg_size, 0
	.set _ZN7rocprim17ROCPRIM_400000_NS6detail17trampoline_kernelINS0_14default_configENS1_27scan_by_key_config_selectorIllEEZZNS1_16scan_by_key_implILNS1_25lookback_scan_determinismE0ELb0ES3_N6thrust23THRUST_200600_302600_NS16reverse_iteratorIPKlEESD_NSA_IPlEElN6hipcub16HIPCUB_304000_NS3MaxENSH_8EqualityElEE10hipError_tPvRmT2_T3_T4_T5_mT6_T7_P12ihipStream_tbENKUlT_T0_E_clISt17integral_constantIbLb0EES10_EEDaSV_SW_EUlSV_E_NS1_11comp_targetILNS1_3genE8ELNS1_11target_archE1030ELNS1_3gpuE2ELNS1_3repE0EEENS1_30default_config_static_selectorELNS0_4arch9wavefront6targetE1EEEvT1_.uses_vcc, 0
	.set _ZN7rocprim17ROCPRIM_400000_NS6detail17trampoline_kernelINS0_14default_configENS1_27scan_by_key_config_selectorIllEEZZNS1_16scan_by_key_implILNS1_25lookback_scan_determinismE0ELb0ES3_N6thrust23THRUST_200600_302600_NS16reverse_iteratorIPKlEESD_NSA_IPlEElN6hipcub16HIPCUB_304000_NS3MaxENSH_8EqualityElEE10hipError_tPvRmT2_T3_T4_T5_mT6_T7_P12ihipStream_tbENKUlT_T0_E_clISt17integral_constantIbLb0EES10_EEDaSV_SW_EUlSV_E_NS1_11comp_targetILNS1_3genE8ELNS1_11target_archE1030ELNS1_3gpuE2ELNS1_3repE0EEENS1_30default_config_static_selectorELNS0_4arch9wavefront6targetE1EEEvT1_.uses_flat_scratch, 0
	.set _ZN7rocprim17ROCPRIM_400000_NS6detail17trampoline_kernelINS0_14default_configENS1_27scan_by_key_config_selectorIllEEZZNS1_16scan_by_key_implILNS1_25lookback_scan_determinismE0ELb0ES3_N6thrust23THRUST_200600_302600_NS16reverse_iteratorIPKlEESD_NSA_IPlEElN6hipcub16HIPCUB_304000_NS3MaxENSH_8EqualityElEE10hipError_tPvRmT2_T3_T4_T5_mT6_T7_P12ihipStream_tbENKUlT_T0_E_clISt17integral_constantIbLb0EES10_EEDaSV_SW_EUlSV_E_NS1_11comp_targetILNS1_3genE8ELNS1_11target_archE1030ELNS1_3gpuE2ELNS1_3repE0EEENS1_30default_config_static_selectorELNS0_4arch9wavefront6targetE1EEEvT1_.has_dyn_sized_stack, 0
	.set _ZN7rocprim17ROCPRIM_400000_NS6detail17trampoline_kernelINS0_14default_configENS1_27scan_by_key_config_selectorIllEEZZNS1_16scan_by_key_implILNS1_25lookback_scan_determinismE0ELb0ES3_N6thrust23THRUST_200600_302600_NS16reverse_iteratorIPKlEESD_NSA_IPlEElN6hipcub16HIPCUB_304000_NS3MaxENSH_8EqualityElEE10hipError_tPvRmT2_T3_T4_T5_mT6_T7_P12ihipStream_tbENKUlT_T0_E_clISt17integral_constantIbLb0EES10_EEDaSV_SW_EUlSV_E_NS1_11comp_targetILNS1_3genE8ELNS1_11target_archE1030ELNS1_3gpuE2ELNS1_3repE0EEENS1_30default_config_static_selectorELNS0_4arch9wavefront6targetE1EEEvT1_.has_recursion, 0
	.set _ZN7rocprim17ROCPRIM_400000_NS6detail17trampoline_kernelINS0_14default_configENS1_27scan_by_key_config_selectorIllEEZZNS1_16scan_by_key_implILNS1_25lookback_scan_determinismE0ELb0ES3_N6thrust23THRUST_200600_302600_NS16reverse_iteratorIPKlEESD_NSA_IPlEElN6hipcub16HIPCUB_304000_NS3MaxENSH_8EqualityElEE10hipError_tPvRmT2_T3_T4_T5_mT6_T7_P12ihipStream_tbENKUlT_T0_E_clISt17integral_constantIbLb0EES10_EEDaSV_SW_EUlSV_E_NS1_11comp_targetILNS1_3genE8ELNS1_11target_archE1030ELNS1_3gpuE2ELNS1_3repE0EEENS1_30default_config_static_selectorELNS0_4arch9wavefront6targetE1EEEvT1_.has_indirect_call, 0
	.section	.AMDGPU.csdata,"",@progbits
; Kernel info:
; codeLenInByte = 0
; TotalNumSgprs: 6
; NumVgprs: 0
; NumAgprs: 0
; TotalNumVgprs: 0
; ScratchSize: 0
; MemoryBound: 0
; FloatMode: 240
; IeeeMode: 1
; LDSByteSize: 0 bytes/workgroup (compile time only)
; SGPRBlocks: 0
; VGPRBlocks: 0
; NumSGPRsForWavesPerEU: 6
; NumVGPRsForWavesPerEU: 1
; AccumOffset: 4
; Occupancy: 8
; WaveLimiterHint : 0
; COMPUTE_PGM_RSRC2:SCRATCH_EN: 0
; COMPUTE_PGM_RSRC2:USER_SGPR: 2
; COMPUTE_PGM_RSRC2:TRAP_HANDLER: 0
; COMPUTE_PGM_RSRC2:TGID_X_EN: 1
; COMPUTE_PGM_RSRC2:TGID_Y_EN: 0
; COMPUTE_PGM_RSRC2:TGID_Z_EN: 0
; COMPUTE_PGM_RSRC2:TIDIG_COMP_CNT: 0
; COMPUTE_PGM_RSRC3_GFX90A:ACCUM_OFFSET: 0
; COMPUTE_PGM_RSRC3_GFX90A:TG_SPLIT: 0
	.section	.text._ZN7rocprim17ROCPRIM_400000_NS6detail30init_device_scan_by_key_kernelINS1_19lookback_scan_stateINS0_5tupleIJlbEEELb1ELb0EEEN6thrust23THRUST_200600_302600_NS16reverse_iteratorIPKlEEjNS1_16block_id_wrapperIjLb1EEEEEvT_jjPNSF_10value_typeET0_PNSt15iterator_traitsISI_E10value_typeEmT1_T2_,"axG",@progbits,_ZN7rocprim17ROCPRIM_400000_NS6detail30init_device_scan_by_key_kernelINS1_19lookback_scan_stateINS0_5tupleIJlbEEELb1ELb0EEEN6thrust23THRUST_200600_302600_NS16reverse_iteratorIPKlEEjNS1_16block_id_wrapperIjLb1EEEEEvT_jjPNSF_10value_typeET0_PNSt15iterator_traitsISI_E10value_typeEmT1_T2_,comdat
	.protected	_ZN7rocprim17ROCPRIM_400000_NS6detail30init_device_scan_by_key_kernelINS1_19lookback_scan_stateINS0_5tupleIJlbEEELb1ELb0EEEN6thrust23THRUST_200600_302600_NS16reverse_iteratorIPKlEEjNS1_16block_id_wrapperIjLb1EEEEEvT_jjPNSF_10value_typeET0_PNSt15iterator_traitsISI_E10value_typeEmT1_T2_ ; -- Begin function _ZN7rocprim17ROCPRIM_400000_NS6detail30init_device_scan_by_key_kernelINS1_19lookback_scan_stateINS0_5tupleIJlbEEELb1ELb0EEEN6thrust23THRUST_200600_302600_NS16reverse_iteratorIPKlEEjNS1_16block_id_wrapperIjLb1EEEEEvT_jjPNSF_10value_typeET0_PNSt15iterator_traitsISI_E10value_typeEmT1_T2_
	.globl	_ZN7rocprim17ROCPRIM_400000_NS6detail30init_device_scan_by_key_kernelINS1_19lookback_scan_stateINS0_5tupleIJlbEEELb1ELb0EEEN6thrust23THRUST_200600_302600_NS16reverse_iteratorIPKlEEjNS1_16block_id_wrapperIjLb1EEEEEvT_jjPNSF_10value_typeET0_PNSt15iterator_traitsISI_E10value_typeEmT1_T2_
	.p2align	8
	.type	_ZN7rocprim17ROCPRIM_400000_NS6detail30init_device_scan_by_key_kernelINS1_19lookback_scan_stateINS0_5tupleIJlbEEELb1ELb0EEEN6thrust23THRUST_200600_302600_NS16reverse_iteratorIPKlEEjNS1_16block_id_wrapperIjLb1EEEEEvT_jjPNSF_10value_typeET0_PNSt15iterator_traitsISI_E10value_typeEmT1_T2_,@function
_ZN7rocprim17ROCPRIM_400000_NS6detail30init_device_scan_by_key_kernelINS1_19lookback_scan_stateINS0_5tupleIJlbEEELb1ELb0EEEN6thrust23THRUST_200600_302600_NS16reverse_iteratorIPKlEEjNS1_16block_id_wrapperIjLb1EEEEEvT_jjPNSF_10value_typeET0_PNSt15iterator_traitsISI_E10value_typeEmT1_T2_: ; @_ZN7rocprim17ROCPRIM_400000_NS6detail30init_device_scan_by_key_kernelINS1_19lookback_scan_stateINS0_5tupleIJlbEEELb1ELb0EEEN6thrust23THRUST_200600_302600_NS16reverse_iteratorIPKlEEjNS1_16block_id_wrapperIjLb1EEEEEvT_jjPNSF_10value_typeET0_PNSt15iterator_traitsISI_E10value_typeEmT1_T2_
; %bb.0:
	s_load_dword s3, s[0:1], 0x5c
	s_load_dwordx8 s[4:11], s[0:1], 0x10
	s_load_dword s20, s[0:1], 0x50
	s_waitcnt lgkmcnt(0)
	s_and_b32 s21, s3, 0xffff
	s_mul_i32 s2, s2, s21
	s_cmp_eq_u64 s[8:9], 0
	v_add_u32_e32 v0, s2, v0
	s_cbranch_scc1 .LBB146_9
; %bb.1:
	s_cmp_lt_u32 s7, s6
	s_cselect_b32 s2, s7, 0
	s_mov_b32 s17, 0
	v_cmp_eq_u32_e32 vcc, s2, v0
	s_and_saveexec_b64 s[2:3], vcc
	s_cbranch_execz .LBB146_8
; %bb.2:
	s_add_i32 s16, s7, 64
	v_mov_b32_e32 v1, s16
	global_load_ubyte v2, v1, s[4:5] sc1
	s_load_dwordx4 s[12:15], s[0:1], 0x0
	v_mov_b32_e32 v1, 0
	s_add_u32 s18, s4, s16
	s_addc_u32 s19, s5, 0
	s_waitcnt vmcnt(0)
	v_cmp_ne_u32_sdwa s[22:23], v2, v1 src0_sel:WORD_0 src1_sel:DWORD
	s_and_b64 vcc, exec, s[22:23]
	v_readfirstlane_b32 s22, v2
	s_cbranch_vccnz .LBB146_7
; %bb.3:
	s_mov_b32 s7, 1
.LBB146_4:                              ; =>This Loop Header: Depth=1
                                        ;     Child Loop BB146_5 Depth 2
	s_mov_b32 s22, s7
.LBB146_5:                              ;   Parent Loop BB146_4 Depth=1
                                        ; =>  This Inner Loop Header: Depth=2
	s_add_i32 s22, s22, -1
	s_cmp_eq_u32 s22, 0
	s_sleep 1
	s_cbranch_scc0 .LBB146_5
; %bb.6:                                ;   in Loop: Header=BB146_4 Depth=1
	global_load_ubyte v2, v1, s[18:19] sc1
	s_cmp_lt_u32 s7, 32
	s_cselect_b64 s[22:23], -1, 0
	s_cmp_lg_u64 s[22:23], 0
	s_addc_u32 s7, s7, 0
	s_waitcnt vmcnt(0)
	v_cmp_ne_u32_sdwa s[22:23], v2, v1 src0_sel:WORD_0 src1_sel:DWORD
	s_and_b64 vcc, exec, s[22:23]
	v_readfirstlane_b32 s22, v2
	s_cbranch_vccz .LBB146_4
.LBB146_7:
	s_and_b32 s7, 0xffff, s22
	s_cmp_eq_u32 s7, 1
	s_waitcnt lgkmcnt(0)
	s_cselect_b32 s7, s13, s15
	s_cselect_b32 s14, s12, s14
	s_lshl_b64 s[12:13], s[16:17], 4
	s_add_u32 s12, s14, s12
	s_addc_u32 s13, s7, s13
	v_mov_b32_e32 v1, 0
	s_waitcnt vmcnt(0)
	global_load_dword v4, v1, s[12:13] sc1
	global_load_dword v5, v1, s[12:13] offset:4 sc1
	global_load_dword v2, v1, s[12:13] offset:8 sc1
	;; [unrolled: 1-line block ×3, first 2 shown]
	s_waitcnt vmcnt(2)
	global_store_dwordx2 v1, v[4:5], s[8:9]
	s_waitcnt vmcnt(2)
	global_store_byte v1, v2, s[8:9] offset:8
.LBB146_8:
	s_or_b64 exec, exec, s[2:3]
.LBB146_9:
	v_cmp_eq_u32_e32 vcc, 0, v0
	s_and_saveexec_b64 s[2:3], vcc
	s_cbranch_execz .LBB146_11
; %bb.10:
	s_load_dwordx2 s[8:9], s[0:1], 0x48
	v_mov_b32_e32 v1, 0
	s_waitcnt lgkmcnt(0)
	global_store_dword v1, v1, s[8:9]
.LBB146_11:
	s_or_b64 exec, exec, s[2:3]
	v_cmp_gt_u32_e32 vcc, s6, v0
	s_and_saveexec_b64 s[2:3], vcc
	s_cbranch_execz .LBB146_13
; %bb.12:
	v_add_u32_e32 v1, 64, v0
	v_mov_b32_e32 v2, 0
	global_store_byte v1, v2, s[4:5]
.LBB146_13:
	s_or_b64 exec, exec, s[2:3]
	v_cmp_gt_u32_e32 vcc, 64, v0
	v_mov_b32_e32 v1, 0
	s_and_saveexec_b64 s[2:3], vcc
	s_cbranch_execz .LBB146_15
; %bb.14:
	s_waitcnt vmcnt(2)
	v_lshl_add_u64 v[2:3], s[4:5], 0, v[0:1]
	v_mov_b32_e32 v4, 0xff
	global_store_byte v[2:3], v4, off
.LBB146_15:
	s_or_b64 exec, exec, s[2:3]
	s_load_dwordx2 s[2:3], s[0:1], 0x38
	s_waitcnt lgkmcnt(0)
	v_cmp_gt_u64_e32 vcc, s[2:3], v[0:1]
	s_and_saveexec_b64 s[4:5], vcc
	s_cbranch_execz .LBB146_18
; %bb.16:
	s_load_dword s6, s[0:1], 0x40
	s_load_dwordx2 s[8:9], s[0:1], 0x30
	v_mov_b32_e32 v5, 0
	s_mul_i32 s0, s20, s21
	v_mov_b32_e32 v2, s10
	s_waitcnt lgkmcnt(0)
	s_add_i32 s4, s6, -1
	v_mov_b32_e32 v4, s4
	v_mad_u64_u32 v[4:5], s[4:5], s6, v0, v[4:5]
	s_mul_hi_u32 s5, s6, s0
	s_mul_i32 s4, s6, s0
	s_lshl_b64 s[6:7], s[4:5], 3
	s_waitcnt vmcnt(2)
	v_mov_b32_e32 v3, s11
	s_mov_b32 s1, 0
	v_not_b32_e32 v5, v5
	v_not_b32_e32 v4, v4
	s_sub_u32 s6, 0, s6
	v_lshl_add_u64 v[2:3], v[4:5], 3, v[2:3]
	s_mov_b64 s[4:5], 0
	s_subb_u32 s7, 0, s7
	v_lshl_add_u64 v[4:5], v[0:1], 3, s[8:9]
	s_lshl_b64 s[8:9], s[0:1], 3
.LBB146_17:                             ; =>This Inner Loop Header: Depth=1
	global_load_dwordx2 v[6:7], v[2:3], off
	v_lshl_add_u64 v[0:1], v[0:1], 0, s[0:1]
	v_cmp_le_u64_e32 vcc, s[2:3], v[0:1]
	v_lshl_add_u64 v[2:3], v[2:3], 0, s[6:7]
	s_or_b64 s[4:5], vcc, s[4:5]
	s_waitcnt vmcnt(0)
	global_store_dwordx2 v[4:5], v[6:7], off
	v_lshl_add_u64 v[4:5], v[4:5], 0, s[8:9]
	s_andn2_b64 exec, exec, s[4:5]
	s_cbranch_execnz .LBB146_17
.LBB146_18:
	s_endpgm
	.section	.rodata,"a",@progbits
	.p2align	6, 0x0
	.amdhsa_kernel _ZN7rocprim17ROCPRIM_400000_NS6detail30init_device_scan_by_key_kernelINS1_19lookback_scan_stateINS0_5tupleIJlbEEELb1ELb0EEEN6thrust23THRUST_200600_302600_NS16reverse_iteratorIPKlEEjNS1_16block_id_wrapperIjLb1EEEEEvT_jjPNSF_10value_typeET0_PNSt15iterator_traitsISI_E10value_typeEmT1_T2_
		.amdhsa_group_segment_fixed_size 0
		.amdhsa_private_segment_fixed_size 0
		.amdhsa_kernarg_size 336
		.amdhsa_user_sgpr_count 2
		.amdhsa_user_sgpr_dispatch_ptr 0
		.amdhsa_user_sgpr_queue_ptr 0
		.amdhsa_user_sgpr_kernarg_segment_ptr 1
		.amdhsa_user_sgpr_dispatch_id 0
		.amdhsa_user_sgpr_kernarg_preload_length 0
		.amdhsa_user_sgpr_kernarg_preload_offset 0
		.amdhsa_user_sgpr_private_segment_size 0
		.amdhsa_uses_dynamic_stack 0
		.amdhsa_enable_private_segment 0
		.amdhsa_system_sgpr_workgroup_id_x 1
		.amdhsa_system_sgpr_workgroup_id_y 0
		.amdhsa_system_sgpr_workgroup_id_z 0
		.amdhsa_system_sgpr_workgroup_info 0
		.amdhsa_system_vgpr_workitem_id 0
		.amdhsa_next_free_vgpr 8
		.amdhsa_next_free_sgpr 24
		.amdhsa_accum_offset 8
		.amdhsa_reserve_vcc 1
		.amdhsa_float_round_mode_32 0
		.amdhsa_float_round_mode_16_64 0
		.amdhsa_float_denorm_mode_32 3
		.amdhsa_float_denorm_mode_16_64 3
		.amdhsa_dx10_clamp 1
		.amdhsa_ieee_mode 1
		.amdhsa_fp16_overflow 0
		.amdhsa_tg_split 0
		.amdhsa_exception_fp_ieee_invalid_op 0
		.amdhsa_exception_fp_denorm_src 0
		.amdhsa_exception_fp_ieee_div_zero 0
		.amdhsa_exception_fp_ieee_overflow 0
		.amdhsa_exception_fp_ieee_underflow 0
		.amdhsa_exception_fp_ieee_inexact 0
		.amdhsa_exception_int_div_zero 0
	.end_amdhsa_kernel
	.section	.text._ZN7rocprim17ROCPRIM_400000_NS6detail30init_device_scan_by_key_kernelINS1_19lookback_scan_stateINS0_5tupleIJlbEEELb1ELb0EEEN6thrust23THRUST_200600_302600_NS16reverse_iteratorIPKlEEjNS1_16block_id_wrapperIjLb1EEEEEvT_jjPNSF_10value_typeET0_PNSt15iterator_traitsISI_E10value_typeEmT1_T2_,"axG",@progbits,_ZN7rocprim17ROCPRIM_400000_NS6detail30init_device_scan_by_key_kernelINS1_19lookback_scan_stateINS0_5tupleIJlbEEELb1ELb0EEEN6thrust23THRUST_200600_302600_NS16reverse_iteratorIPKlEEjNS1_16block_id_wrapperIjLb1EEEEEvT_jjPNSF_10value_typeET0_PNSt15iterator_traitsISI_E10value_typeEmT1_T2_,comdat
.Lfunc_end146:
	.size	_ZN7rocprim17ROCPRIM_400000_NS6detail30init_device_scan_by_key_kernelINS1_19lookback_scan_stateINS0_5tupleIJlbEEELb1ELb0EEEN6thrust23THRUST_200600_302600_NS16reverse_iteratorIPKlEEjNS1_16block_id_wrapperIjLb1EEEEEvT_jjPNSF_10value_typeET0_PNSt15iterator_traitsISI_E10value_typeEmT1_T2_, .Lfunc_end146-_ZN7rocprim17ROCPRIM_400000_NS6detail30init_device_scan_by_key_kernelINS1_19lookback_scan_stateINS0_5tupleIJlbEEELb1ELb0EEEN6thrust23THRUST_200600_302600_NS16reverse_iteratorIPKlEEjNS1_16block_id_wrapperIjLb1EEEEEvT_jjPNSF_10value_typeET0_PNSt15iterator_traitsISI_E10value_typeEmT1_T2_
                                        ; -- End function
	.set _ZN7rocprim17ROCPRIM_400000_NS6detail30init_device_scan_by_key_kernelINS1_19lookback_scan_stateINS0_5tupleIJlbEEELb1ELb0EEEN6thrust23THRUST_200600_302600_NS16reverse_iteratorIPKlEEjNS1_16block_id_wrapperIjLb1EEEEEvT_jjPNSF_10value_typeET0_PNSt15iterator_traitsISI_E10value_typeEmT1_T2_.num_vgpr, 8
	.set _ZN7rocprim17ROCPRIM_400000_NS6detail30init_device_scan_by_key_kernelINS1_19lookback_scan_stateINS0_5tupleIJlbEEELb1ELb0EEEN6thrust23THRUST_200600_302600_NS16reverse_iteratorIPKlEEjNS1_16block_id_wrapperIjLb1EEEEEvT_jjPNSF_10value_typeET0_PNSt15iterator_traitsISI_E10value_typeEmT1_T2_.num_agpr, 0
	.set _ZN7rocprim17ROCPRIM_400000_NS6detail30init_device_scan_by_key_kernelINS1_19lookback_scan_stateINS0_5tupleIJlbEEELb1ELb0EEEN6thrust23THRUST_200600_302600_NS16reverse_iteratorIPKlEEjNS1_16block_id_wrapperIjLb1EEEEEvT_jjPNSF_10value_typeET0_PNSt15iterator_traitsISI_E10value_typeEmT1_T2_.numbered_sgpr, 24
	.set _ZN7rocprim17ROCPRIM_400000_NS6detail30init_device_scan_by_key_kernelINS1_19lookback_scan_stateINS0_5tupleIJlbEEELb1ELb0EEEN6thrust23THRUST_200600_302600_NS16reverse_iteratorIPKlEEjNS1_16block_id_wrapperIjLb1EEEEEvT_jjPNSF_10value_typeET0_PNSt15iterator_traitsISI_E10value_typeEmT1_T2_.num_named_barrier, 0
	.set _ZN7rocprim17ROCPRIM_400000_NS6detail30init_device_scan_by_key_kernelINS1_19lookback_scan_stateINS0_5tupleIJlbEEELb1ELb0EEEN6thrust23THRUST_200600_302600_NS16reverse_iteratorIPKlEEjNS1_16block_id_wrapperIjLb1EEEEEvT_jjPNSF_10value_typeET0_PNSt15iterator_traitsISI_E10value_typeEmT1_T2_.private_seg_size, 0
	.set _ZN7rocprim17ROCPRIM_400000_NS6detail30init_device_scan_by_key_kernelINS1_19lookback_scan_stateINS0_5tupleIJlbEEELb1ELb0EEEN6thrust23THRUST_200600_302600_NS16reverse_iteratorIPKlEEjNS1_16block_id_wrapperIjLb1EEEEEvT_jjPNSF_10value_typeET0_PNSt15iterator_traitsISI_E10value_typeEmT1_T2_.uses_vcc, 1
	.set _ZN7rocprim17ROCPRIM_400000_NS6detail30init_device_scan_by_key_kernelINS1_19lookback_scan_stateINS0_5tupleIJlbEEELb1ELb0EEEN6thrust23THRUST_200600_302600_NS16reverse_iteratorIPKlEEjNS1_16block_id_wrapperIjLb1EEEEEvT_jjPNSF_10value_typeET0_PNSt15iterator_traitsISI_E10value_typeEmT1_T2_.uses_flat_scratch, 0
	.set _ZN7rocprim17ROCPRIM_400000_NS6detail30init_device_scan_by_key_kernelINS1_19lookback_scan_stateINS0_5tupleIJlbEEELb1ELb0EEEN6thrust23THRUST_200600_302600_NS16reverse_iteratorIPKlEEjNS1_16block_id_wrapperIjLb1EEEEEvT_jjPNSF_10value_typeET0_PNSt15iterator_traitsISI_E10value_typeEmT1_T2_.has_dyn_sized_stack, 0
	.set _ZN7rocprim17ROCPRIM_400000_NS6detail30init_device_scan_by_key_kernelINS1_19lookback_scan_stateINS0_5tupleIJlbEEELb1ELb0EEEN6thrust23THRUST_200600_302600_NS16reverse_iteratorIPKlEEjNS1_16block_id_wrapperIjLb1EEEEEvT_jjPNSF_10value_typeET0_PNSt15iterator_traitsISI_E10value_typeEmT1_T2_.has_recursion, 0
	.set _ZN7rocprim17ROCPRIM_400000_NS6detail30init_device_scan_by_key_kernelINS1_19lookback_scan_stateINS0_5tupleIJlbEEELb1ELb0EEEN6thrust23THRUST_200600_302600_NS16reverse_iteratorIPKlEEjNS1_16block_id_wrapperIjLb1EEEEEvT_jjPNSF_10value_typeET0_PNSt15iterator_traitsISI_E10value_typeEmT1_T2_.has_indirect_call, 0
	.section	.AMDGPU.csdata,"",@progbits
; Kernel info:
; codeLenInByte = 632
; TotalNumSgprs: 30
; NumVgprs: 8
; NumAgprs: 0
; TotalNumVgprs: 8
; ScratchSize: 0
; MemoryBound: 0
; FloatMode: 240
; IeeeMode: 1
; LDSByteSize: 0 bytes/workgroup (compile time only)
; SGPRBlocks: 3
; VGPRBlocks: 0
; NumSGPRsForWavesPerEU: 30
; NumVGPRsForWavesPerEU: 8
; AccumOffset: 8
; Occupancy: 8
; WaveLimiterHint : 0
; COMPUTE_PGM_RSRC2:SCRATCH_EN: 0
; COMPUTE_PGM_RSRC2:USER_SGPR: 2
; COMPUTE_PGM_RSRC2:TRAP_HANDLER: 0
; COMPUTE_PGM_RSRC2:TGID_X_EN: 1
; COMPUTE_PGM_RSRC2:TGID_Y_EN: 0
; COMPUTE_PGM_RSRC2:TGID_Z_EN: 0
; COMPUTE_PGM_RSRC2:TIDIG_COMP_CNT: 0
; COMPUTE_PGM_RSRC3_GFX90A:ACCUM_OFFSET: 1
; COMPUTE_PGM_RSRC3_GFX90A:TG_SPLIT: 0
	.section	.text._ZN7rocprim17ROCPRIM_400000_NS6detail17trampoline_kernelINS0_14default_configENS1_27scan_by_key_config_selectorIllEEZZNS1_16scan_by_key_implILNS1_25lookback_scan_determinismE0ELb0ES3_N6thrust23THRUST_200600_302600_NS16reverse_iteratorIPKlEESD_NSA_IPlEElN6hipcub16HIPCUB_304000_NS3MaxENSH_8EqualityElEE10hipError_tPvRmT2_T3_T4_T5_mT6_T7_P12ihipStream_tbENKUlT_T0_E_clISt17integral_constantIbLb1EES10_EEDaSV_SW_EUlSV_E_NS1_11comp_targetILNS1_3genE0ELNS1_11target_archE4294967295ELNS1_3gpuE0ELNS1_3repE0EEENS1_30default_config_static_selectorELNS0_4arch9wavefront6targetE1EEEvT1_,"axG",@progbits,_ZN7rocprim17ROCPRIM_400000_NS6detail17trampoline_kernelINS0_14default_configENS1_27scan_by_key_config_selectorIllEEZZNS1_16scan_by_key_implILNS1_25lookback_scan_determinismE0ELb0ES3_N6thrust23THRUST_200600_302600_NS16reverse_iteratorIPKlEESD_NSA_IPlEElN6hipcub16HIPCUB_304000_NS3MaxENSH_8EqualityElEE10hipError_tPvRmT2_T3_T4_T5_mT6_T7_P12ihipStream_tbENKUlT_T0_E_clISt17integral_constantIbLb1EES10_EEDaSV_SW_EUlSV_E_NS1_11comp_targetILNS1_3genE0ELNS1_11target_archE4294967295ELNS1_3gpuE0ELNS1_3repE0EEENS1_30default_config_static_selectorELNS0_4arch9wavefront6targetE1EEEvT1_,comdat
	.protected	_ZN7rocprim17ROCPRIM_400000_NS6detail17trampoline_kernelINS0_14default_configENS1_27scan_by_key_config_selectorIllEEZZNS1_16scan_by_key_implILNS1_25lookback_scan_determinismE0ELb0ES3_N6thrust23THRUST_200600_302600_NS16reverse_iteratorIPKlEESD_NSA_IPlEElN6hipcub16HIPCUB_304000_NS3MaxENSH_8EqualityElEE10hipError_tPvRmT2_T3_T4_T5_mT6_T7_P12ihipStream_tbENKUlT_T0_E_clISt17integral_constantIbLb1EES10_EEDaSV_SW_EUlSV_E_NS1_11comp_targetILNS1_3genE0ELNS1_11target_archE4294967295ELNS1_3gpuE0ELNS1_3repE0EEENS1_30default_config_static_selectorELNS0_4arch9wavefront6targetE1EEEvT1_ ; -- Begin function _ZN7rocprim17ROCPRIM_400000_NS6detail17trampoline_kernelINS0_14default_configENS1_27scan_by_key_config_selectorIllEEZZNS1_16scan_by_key_implILNS1_25lookback_scan_determinismE0ELb0ES3_N6thrust23THRUST_200600_302600_NS16reverse_iteratorIPKlEESD_NSA_IPlEElN6hipcub16HIPCUB_304000_NS3MaxENSH_8EqualityElEE10hipError_tPvRmT2_T3_T4_T5_mT6_T7_P12ihipStream_tbENKUlT_T0_E_clISt17integral_constantIbLb1EES10_EEDaSV_SW_EUlSV_E_NS1_11comp_targetILNS1_3genE0ELNS1_11target_archE4294967295ELNS1_3gpuE0ELNS1_3repE0EEENS1_30default_config_static_selectorELNS0_4arch9wavefront6targetE1EEEvT1_
	.globl	_ZN7rocprim17ROCPRIM_400000_NS6detail17trampoline_kernelINS0_14default_configENS1_27scan_by_key_config_selectorIllEEZZNS1_16scan_by_key_implILNS1_25lookback_scan_determinismE0ELb0ES3_N6thrust23THRUST_200600_302600_NS16reverse_iteratorIPKlEESD_NSA_IPlEElN6hipcub16HIPCUB_304000_NS3MaxENSH_8EqualityElEE10hipError_tPvRmT2_T3_T4_T5_mT6_T7_P12ihipStream_tbENKUlT_T0_E_clISt17integral_constantIbLb1EES10_EEDaSV_SW_EUlSV_E_NS1_11comp_targetILNS1_3genE0ELNS1_11target_archE4294967295ELNS1_3gpuE0ELNS1_3repE0EEENS1_30default_config_static_selectorELNS0_4arch9wavefront6targetE1EEEvT1_
	.p2align	8
	.type	_ZN7rocprim17ROCPRIM_400000_NS6detail17trampoline_kernelINS0_14default_configENS1_27scan_by_key_config_selectorIllEEZZNS1_16scan_by_key_implILNS1_25lookback_scan_determinismE0ELb0ES3_N6thrust23THRUST_200600_302600_NS16reverse_iteratorIPKlEESD_NSA_IPlEElN6hipcub16HIPCUB_304000_NS3MaxENSH_8EqualityElEE10hipError_tPvRmT2_T3_T4_T5_mT6_T7_P12ihipStream_tbENKUlT_T0_E_clISt17integral_constantIbLb1EES10_EEDaSV_SW_EUlSV_E_NS1_11comp_targetILNS1_3genE0ELNS1_11target_archE4294967295ELNS1_3gpuE0ELNS1_3repE0EEENS1_30default_config_static_selectorELNS0_4arch9wavefront6targetE1EEEvT1_,@function
_ZN7rocprim17ROCPRIM_400000_NS6detail17trampoline_kernelINS0_14default_configENS1_27scan_by_key_config_selectorIllEEZZNS1_16scan_by_key_implILNS1_25lookback_scan_determinismE0ELb0ES3_N6thrust23THRUST_200600_302600_NS16reverse_iteratorIPKlEESD_NSA_IPlEElN6hipcub16HIPCUB_304000_NS3MaxENSH_8EqualityElEE10hipError_tPvRmT2_T3_T4_T5_mT6_T7_P12ihipStream_tbENKUlT_T0_E_clISt17integral_constantIbLb1EES10_EEDaSV_SW_EUlSV_E_NS1_11comp_targetILNS1_3genE0ELNS1_11target_archE4294967295ELNS1_3gpuE0ELNS1_3repE0EEENS1_30default_config_static_selectorELNS0_4arch9wavefront6targetE1EEEvT1_: ; @_ZN7rocprim17ROCPRIM_400000_NS6detail17trampoline_kernelINS0_14default_configENS1_27scan_by_key_config_selectorIllEEZZNS1_16scan_by_key_implILNS1_25lookback_scan_determinismE0ELb0ES3_N6thrust23THRUST_200600_302600_NS16reverse_iteratorIPKlEESD_NSA_IPlEElN6hipcub16HIPCUB_304000_NS3MaxENSH_8EqualityElEE10hipError_tPvRmT2_T3_T4_T5_mT6_T7_P12ihipStream_tbENKUlT_T0_E_clISt17integral_constantIbLb1EES10_EEDaSV_SW_EUlSV_E_NS1_11comp_targetILNS1_3genE0ELNS1_11target_archE4294967295ELNS1_3gpuE0ELNS1_3repE0EEENS1_30default_config_static_selectorELNS0_4arch9wavefront6targetE1EEEvT1_
; %bb.0:
	s_endpgm
	.section	.rodata,"a",@progbits
	.p2align	6, 0x0
	.amdhsa_kernel _ZN7rocprim17ROCPRIM_400000_NS6detail17trampoline_kernelINS0_14default_configENS1_27scan_by_key_config_selectorIllEEZZNS1_16scan_by_key_implILNS1_25lookback_scan_determinismE0ELb0ES3_N6thrust23THRUST_200600_302600_NS16reverse_iteratorIPKlEESD_NSA_IPlEElN6hipcub16HIPCUB_304000_NS3MaxENSH_8EqualityElEE10hipError_tPvRmT2_T3_T4_T5_mT6_T7_P12ihipStream_tbENKUlT_T0_E_clISt17integral_constantIbLb1EES10_EEDaSV_SW_EUlSV_E_NS1_11comp_targetILNS1_3genE0ELNS1_11target_archE4294967295ELNS1_3gpuE0ELNS1_3repE0EEENS1_30default_config_static_selectorELNS0_4arch9wavefront6targetE1EEEvT1_
		.amdhsa_group_segment_fixed_size 0
		.amdhsa_private_segment_fixed_size 0
		.amdhsa_kernarg_size 136
		.amdhsa_user_sgpr_count 2
		.amdhsa_user_sgpr_dispatch_ptr 0
		.amdhsa_user_sgpr_queue_ptr 0
		.amdhsa_user_sgpr_kernarg_segment_ptr 1
		.amdhsa_user_sgpr_dispatch_id 0
		.amdhsa_user_sgpr_kernarg_preload_length 0
		.amdhsa_user_sgpr_kernarg_preload_offset 0
		.amdhsa_user_sgpr_private_segment_size 0
		.amdhsa_uses_dynamic_stack 0
		.amdhsa_enable_private_segment 0
		.amdhsa_system_sgpr_workgroup_id_x 1
		.amdhsa_system_sgpr_workgroup_id_y 0
		.amdhsa_system_sgpr_workgroup_id_z 0
		.amdhsa_system_sgpr_workgroup_info 0
		.amdhsa_system_vgpr_workitem_id 0
		.amdhsa_next_free_vgpr 1
		.amdhsa_next_free_sgpr 0
		.amdhsa_accum_offset 4
		.amdhsa_reserve_vcc 0
		.amdhsa_float_round_mode_32 0
		.amdhsa_float_round_mode_16_64 0
		.amdhsa_float_denorm_mode_32 3
		.amdhsa_float_denorm_mode_16_64 3
		.amdhsa_dx10_clamp 1
		.amdhsa_ieee_mode 1
		.amdhsa_fp16_overflow 0
		.amdhsa_tg_split 0
		.amdhsa_exception_fp_ieee_invalid_op 0
		.amdhsa_exception_fp_denorm_src 0
		.amdhsa_exception_fp_ieee_div_zero 0
		.amdhsa_exception_fp_ieee_overflow 0
		.amdhsa_exception_fp_ieee_underflow 0
		.amdhsa_exception_fp_ieee_inexact 0
		.amdhsa_exception_int_div_zero 0
	.end_amdhsa_kernel
	.section	.text._ZN7rocprim17ROCPRIM_400000_NS6detail17trampoline_kernelINS0_14default_configENS1_27scan_by_key_config_selectorIllEEZZNS1_16scan_by_key_implILNS1_25lookback_scan_determinismE0ELb0ES3_N6thrust23THRUST_200600_302600_NS16reverse_iteratorIPKlEESD_NSA_IPlEElN6hipcub16HIPCUB_304000_NS3MaxENSH_8EqualityElEE10hipError_tPvRmT2_T3_T4_T5_mT6_T7_P12ihipStream_tbENKUlT_T0_E_clISt17integral_constantIbLb1EES10_EEDaSV_SW_EUlSV_E_NS1_11comp_targetILNS1_3genE0ELNS1_11target_archE4294967295ELNS1_3gpuE0ELNS1_3repE0EEENS1_30default_config_static_selectorELNS0_4arch9wavefront6targetE1EEEvT1_,"axG",@progbits,_ZN7rocprim17ROCPRIM_400000_NS6detail17trampoline_kernelINS0_14default_configENS1_27scan_by_key_config_selectorIllEEZZNS1_16scan_by_key_implILNS1_25lookback_scan_determinismE0ELb0ES3_N6thrust23THRUST_200600_302600_NS16reverse_iteratorIPKlEESD_NSA_IPlEElN6hipcub16HIPCUB_304000_NS3MaxENSH_8EqualityElEE10hipError_tPvRmT2_T3_T4_T5_mT6_T7_P12ihipStream_tbENKUlT_T0_E_clISt17integral_constantIbLb1EES10_EEDaSV_SW_EUlSV_E_NS1_11comp_targetILNS1_3genE0ELNS1_11target_archE4294967295ELNS1_3gpuE0ELNS1_3repE0EEENS1_30default_config_static_selectorELNS0_4arch9wavefront6targetE1EEEvT1_,comdat
.Lfunc_end147:
	.size	_ZN7rocprim17ROCPRIM_400000_NS6detail17trampoline_kernelINS0_14default_configENS1_27scan_by_key_config_selectorIllEEZZNS1_16scan_by_key_implILNS1_25lookback_scan_determinismE0ELb0ES3_N6thrust23THRUST_200600_302600_NS16reverse_iteratorIPKlEESD_NSA_IPlEElN6hipcub16HIPCUB_304000_NS3MaxENSH_8EqualityElEE10hipError_tPvRmT2_T3_T4_T5_mT6_T7_P12ihipStream_tbENKUlT_T0_E_clISt17integral_constantIbLb1EES10_EEDaSV_SW_EUlSV_E_NS1_11comp_targetILNS1_3genE0ELNS1_11target_archE4294967295ELNS1_3gpuE0ELNS1_3repE0EEENS1_30default_config_static_selectorELNS0_4arch9wavefront6targetE1EEEvT1_, .Lfunc_end147-_ZN7rocprim17ROCPRIM_400000_NS6detail17trampoline_kernelINS0_14default_configENS1_27scan_by_key_config_selectorIllEEZZNS1_16scan_by_key_implILNS1_25lookback_scan_determinismE0ELb0ES3_N6thrust23THRUST_200600_302600_NS16reverse_iteratorIPKlEESD_NSA_IPlEElN6hipcub16HIPCUB_304000_NS3MaxENSH_8EqualityElEE10hipError_tPvRmT2_T3_T4_T5_mT6_T7_P12ihipStream_tbENKUlT_T0_E_clISt17integral_constantIbLb1EES10_EEDaSV_SW_EUlSV_E_NS1_11comp_targetILNS1_3genE0ELNS1_11target_archE4294967295ELNS1_3gpuE0ELNS1_3repE0EEENS1_30default_config_static_selectorELNS0_4arch9wavefront6targetE1EEEvT1_
                                        ; -- End function
	.set _ZN7rocprim17ROCPRIM_400000_NS6detail17trampoline_kernelINS0_14default_configENS1_27scan_by_key_config_selectorIllEEZZNS1_16scan_by_key_implILNS1_25lookback_scan_determinismE0ELb0ES3_N6thrust23THRUST_200600_302600_NS16reverse_iteratorIPKlEESD_NSA_IPlEElN6hipcub16HIPCUB_304000_NS3MaxENSH_8EqualityElEE10hipError_tPvRmT2_T3_T4_T5_mT6_T7_P12ihipStream_tbENKUlT_T0_E_clISt17integral_constantIbLb1EES10_EEDaSV_SW_EUlSV_E_NS1_11comp_targetILNS1_3genE0ELNS1_11target_archE4294967295ELNS1_3gpuE0ELNS1_3repE0EEENS1_30default_config_static_selectorELNS0_4arch9wavefront6targetE1EEEvT1_.num_vgpr, 0
	.set _ZN7rocprim17ROCPRIM_400000_NS6detail17trampoline_kernelINS0_14default_configENS1_27scan_by_key_config_selectorIllEEZZNS1_16scan_by_key_implILNS1_25lookback_scan_determinismE0ELb0ES3_N6thrust23THRUST_200600_302600_NS16reverse_iteratorIPKlEESD_NSA_IPlEElN6hipcub16HIPCUB_304000_NS3MaxENSH_8EqualityElEE10hipError_tPvRmT2_T3_T4_T5_mT6_T7_P12ihipStream_tbENKUlT_T0_E_clISt17integral_constantIbLb1EES10_EEDaSV_SW_EUlSV_E_NS1_11comp_targetILNS1_3genE0ELNS1_11target_archE4294967295ELNS1_3gpuE0ELNS1_3repE0EEENS1_30default_config_static_selectorELNS0_4arch9wavefront6targetE1EEEvT1_.num_agpr, 0
	.set _ZN7rocprim17ROCPRIM_400000_NS6detail17trampoline_kernelINS0_14default_configENS1_27scan_by_key_config_selectorIllEEZZNS1_16scan_by_key_implILNS1_25lookback_scan_determinismE0ELb0ES3_N6thrust23THRUST_200600_302600_NS16reverse_iteratorIPKlEESD_NSA_IPlEElN6hipcub16HIPCUB_304000_NS3MaxENSH_8EqualityElEE10hipError_tPvRmT2_T3_T4_T5_mT6_T7_P12ihipStream_tbENKUlT_T0_E_clISt17integral_constantIbLb1EES10_EEDaSV_SW_EUlSV_E_NS1_11comp_targetILNS1_3genE0ELNS1_11target_archE4294967295ELNS1_3gpuE0ELNS1_3repE0EEENS1_30default_config_static_selectorELNS0_4arch9wavefront6targetE1EEEvT1_.numbered_sgpr, 0
	.set _ZN7rocprim17ROCPRIM_400000_NS6detail17trampoline_kernelINS0_14default_configENS1_27scan_by_key_config_selectorIllEEZZNS1_16scan_by_key_implILNS1_25lookback_scan_determinismE0ELb0ES3_N6thrust23THRUST_200600_302600_NS16reverse_iteratorIPKlEESD_NSA_IPlEElN6hipcub16HIPCUB_304000_NS3MaxENSH_8EqualityElEE10hipError_tPvRmT2_T3_T4_T5_mT6_T7_P12ihipStream_tbENKUlT_T0_E_clISt17integral_constantIbLb1EES10_EEDaSV_SW_EUlSV_E_NS1_11comp_targetILNS1_3genE0ELNS1_11target_archE4294967295ELNS1_3gpuE0ELNS1_3repE0EEENS1_30default_config_static_selectorELNS0_4arch9wavefront6targetE1EEEvT1_.num_named_barrier, 0
	.set _ZN7rocprim17ROCPRIM_400000_NS6detail17trampoline_kernelINS0_14default_configENS1_27scan_by_key_config_selectorIllEEZZNS1_16scan_by_key_implILNS1_25lookback_scan_determinismE0ELb0ES3_N6thrust23THRUST_200600_302600_NS16reverse_iteratorIPKlEESD_NSA_IPlEElN6hipcub16HIPCUB_304000_NS3MaxENSH_8EqualityElEE10hipError_tPvRmT2_T3_T4_T5_mT6_T7_P12ihipStream_tbENKUlT_T0_E_clISt17integral_constantIbLb1EES10_EEDaSV_SW_EUlSV_E_NS1_11comp_targetILNS1_3genE0ELNS1_11target_archE4294967295ELNS1_3gpuE0ELNS1_3repE0EEENS1_30default_config_static_selectorELNS0_4arch9wavefront6targetE1EEEvT1_.private_seg_size, 0
	.set _ZN7rocprim17ROCPRIM_400000_NS6detail17trampoline_kernelINS0_14default_configENS1_27scan_by_key_config_selectorIllEEZZNS1_16scan_by_key_implILNS1_25lookback_scan_determinismE0ELb0ES3_N6thrust23THRUST_200600_302600_NS16reverse_iteratorIPKlEESD_NSA_IPlEElN6hipcub16HIPCUB_304000_NS3MaxENSH_8EqualityElEE10hipError_tPvRmT2_T3_T4_T5_mT6_T7_P12ihipStream_tbENKUlT_T0_E_clISt17integral_constantIbLb1EES10_EEDaSV_SW_EUlSV_E_NS1_11comp_targetILNS1_3genE0ELNS1_11target_archE4294967295ELNS1_3gpuE0ELNS1_3repE0EEENS1_30default_config_static_selectorELNS0_4arch9wavefront6targetE1EEEvT1_.uses_vcc, 0
	.set _ZN7rocprim17ROCPRIM_400000_NS6detail17trampoline_kernelINS0_14default_configENS1_27scan_by_key_config_selectorIllEEZZNS1_16scan_by_key_implILNS1_25lookback_scan_determinismE0ELb0ES3_N6thrust23THRUST_200600_302600_NS16reverse_iteratorIPKlEESD_NSA_IPlEElN6hipcub16HIPCUB_304000_NS3MaxENSH_8EqualityElEE10hipError_tPvRmT2_T3_T4_T5_mT6_T7_P12ihipStream_tbENKUlT_T0_E_clISt17integral_constantIbLb1EES10_EEDaSV_SW_EUlSV_E_NS1_11comp_targetILNS1_3genE0ELNS1_11target_archE4294967295ELNS1_3gpuE0ELNS1_3repE0EEENS1_30default_config_static_selectorELNS0_4arch9wavefront6targetE1EEEvT1_.uses_flat_scratch, 0
	.set _ZN7rocprim17ROCPRIM_400000_NS6detail17trampoline_kernelINS0_14default_configENS1_27scan_by_key_config_selectorIllEEZZNS1_16scan_by_key_implILNS1_25lookback_scan_determinismE0ELb0ES3_N6thrust23THRUST_200600_302600_NS16reverse_iteratorIPKlEESD_NSA_IPlEElN6hipcub16HIPCUB_304000_NS3MaxENSH_8EqualityElEE10hipError_tPvRmT2_T3_T4_T5_mT6_T7_P12ihipStream_tbENKUlT_T0_E_clISt17integral_constantIbLb1EES10_EEDaSV_SW_EUlSV_E_NS1_11comp_targetILNS1_3genE0ELNS1_11target_archE4294967295ELNS1_3gpuE0ELNS1_3repE0EEENS1_30default_config_static_selectorELNS0_4arch9wavefront6targetE1EEEvT1_.has_dyn_sized_stack, 0
	.set _ZN7rocprim17ROCPRIM_400000_NS6detail17trampoline_kernelINS0_14default_configENS1_27scan_by_key_config_selectorIllEEZZNS1_16scan_by_key_implILNS1_25lookback_scan_determinismE0ELb0ES3_N6thrust23THRUST_200600_302600_NS16reverse_iteratorIPKlEESD_NSA_IPlEElN6hipcub16HIPCUB_304000_NS3MaxENSH_8EqualityElEE10hipError_tPvRmT2_T3_T4_T5_mT6_T7_P12ihipStream_tbENKUlT_T0_E_clISt17integral_constantIbLb1EES10_EEDaSV_SW_EUlSV_E_NS1_11comp_targetILNS1_3genE0ELNS1_11target_archE4294967295ELNS1_3gpuE0ELNS1_3repE0EEENS1_30default_config_static_selectorELNS0_4arch9wavefront6targetE1EEEvT1_.has_recursion, 0
	.set _ZN7rocprim17ROCPRIM_400000_NS6detail17trampoline_kernelINS0_14default_configENS1_27scan_by_key_config_selectorIllEEZZNS1_16scan_by_key_implILNS1_25lookback_scan_determinismE0ELb0ES3_N6thrust23THRUST_200600_302600_NS16reverse_iteratorIPKlEESD_NSA_IPlEElN6hipcub16HIPCUB_304000_NS3MaxENSH_8EqualityElEE10hipError_tPvRmT2_T3_T4_T5_mT6_T7_P12ihipStream_tbENKUlT_T0_E_clISt17integral_constantIbLb1EES10_EEDaSV_SW_EUlSV_E_NS1_11comp_targetILNS1_3genE0ELNS1_11target_archE4294967295ELNS1_3gpuE0ELNS1_3repE0EEENS1_30default_config_static_selectorELNS0_4arch9wavefront6targetE1EEEvT1_.has_indirect_call, 0
	.section	.AMDGPU.csdata,"",@progbits
; Kernel info:
; codeLenInByte = 4
; TotalNumSgprs: 6
; NumVgprs: 0
; NumAgprs: 0
; TotalNumVgprs: 0
; ScratchSize: 0
; MemoryBound: 0
; FloatMode: 240
; IeeeMode: 1
; LDSByteSize: 0 bytes/workgroup (compile time only)
; SGPRBlocks: 0
; VGPRBlocks: 0
; NumSGPRsForWavesPerEU: 6
; NumVGPRsForWavesPerEU: 1
; AccumOffset: 4
; Occupancy: 8
; WaveLimiterHint : 0
; COMPUTE_PGM_RSRC2:SCRATCH_EN: 0
; COMPUTE_PGM_RSRC2:USER_SGPR: 2
; COMPUTE_PGM_RSRC2:TRAP_HANDLER: 0
; COMPUTE_PGM_RSRC2:TGID_X_EN: 1
; COMPUTE_PGM_RSRC2:TGID_Y_EN: 0
; COMPUTE_PGM_RSRC2:TGID_Z_EN: 0
; COMPUTE_PGM_RSRC2:TIDIG_COMP_CNT: 0
; COMPUTE_PGM_RSRC3_GFX90A:ACCUM_OFFSET: 0
; COMPUTE_PGM_RSRC3_GFX90A:TG_SPLIT: 0
	.section	.text._ZN7rocprim17ROCPRIM_400000_NS6detail17trampoline_kernelINS0_14default_configENS1_27scan_by_key_config_selectorIllEEZZNS1_16scan_by_key_implILNS1_25lookback_scan_determinismE0ELb0ES3_N6thrust23THRUST_200600_302600_NS16reverse_iteratorIPKlEESD_NSA_IPlEElN6hipcub16HIPCUB_304000_NS3MaxENSH_8EqualityElEE10hipError_tPvRmT2_T3_T4_T5_mT6_T7_P12ihipStream_tbENKUlT_T0_E_clISt17integral_constantIbLb1EES10_EEDaSV_SW_EUlSV_E_NS1_11comp_targetILNS1_3genE10ELNS1_11target_archE1201ELNS1_3gpuE5ELNS1_3repE0EEENS1_30default_config_static_selectorELNS0_4arch9wavefront6targetE1EEEvT1_,"axG",@progbits,_ZN7rocprim17ROCPRIM_400000_NS6detail17trampoline_kernelINS0_14default_configENS1_27scan_by_key_config_selectorIllEEZZNS1_16scan_by_key_implILNS1_25lookback_scan_determinismE0ELb0ES3_N6thrust23THRUST_200600_302600_NS16reverse_iteratorIPKlEESD_NSA_IPlEElN6hipcub16HIPCUB_304000_NS3MaxENSH_8EqualityElEE10hipError_tPvRmT2_T3_T4_T5_mT6_T7_P12ihipStream_tbENKUlT_T0_E_clISt17integral_constantIbLb1EES10_EEDaSV_SW_EUlSV_E_NS1_11comp_targetILNS1_3genE10ELNS1_11target_archE1201ELNS1_3gpuE5ELNS1_3repE0EEENS1_30default_config_static_selectorELNS0_4arch9wavefront6targetE1EEEvT1_,comdat
	.protected	_ZN7rocprim17ROCPRIM_400000_NS6detail17trampoline_kernelINS0_14default_configENS1_27scan_by_key_config_selectorIllEEZZNS1_16scan_by_key_implILNS1_25lookback_scan_determinismE0ELb0ES3_N6thrust23THRUST_200600_302600_NS16reverse_iteratorIPKlEESD_NSA_IPlEElN6hipcub16HIPCUB_304000_NS3MaxENSH_8EqualityElEE10hipError_tPvRmT2_T3_T4_T5_mT6_T7_P12ihipStream_tbENKUlT_T0_E_clISt17integral_constantIbLb1EES10_EEDaSV_SW_EUlSV_E_NS1_11comp_targetILNS1_3genE10ELNS1_11target_archE1201ELNS1_3gpuE5ELNS1_3repE0EEENS1_30default_config_static_selectorELNS0_4arch9wavefront6targetE1EEEvT1_ ; -- Begin function _ZN7rocprim17ROCPRIM_400000_NS6detail17trampoline_kernelINS0_14default_configENS1_27scan_by_key_config_selectorIllEEZZNS1_16scan_by_key_implILNS1_25lookback_scan_determinismE0ELb0ES3_N6thrust23THRUST_200600_302600_NS16reverse_iteratorIPKlEESD_NSA_IPlEElN6hipcub16HIPCUB_304000_NS3MaxENSH_8EqualityElEE10hipError_tPvRmT2_T3_T4_T5_mT6_T7_P12ihipStream_tbENKUlT_T0_E_clISt17integral_constantIbLb1EES10_EEDaSV_SW_EUlSV_E_NS1_11comp_targetILNS1_3genE10ELNS1_11target_archE1201ELNS1_3gpuE5ELNS1_3repE0EEENS1_30default_config_static_selectorELNS0_4arch9wavefront6targetE1EEEvT1_
	.globl	_ZN7rocprim17ROCPRIM_400000_NS6detail17trampoline_kernelINS0_14default_configENS1_27scan_by_key_config_selectorIllEEZZNS1_16scan_by_key_implILNS1_25lookback_scan_determinismE0ELb0ES3_N6thrust23THRUST_200600_302600_NS16reverse_iteratorIPKlEESD_NSA_IPlEElN6hipcub16HIPCUB_304000_NS3MaxENSH_8EqualityElEE10hipError_tPvRmT2_T3_T4_T5_mT6_T7_P12ihipStream_tbENKUlT_T0_E_clISt17integral_constantIbLb1EES10_EEDaSV_SW_EUlSV_E_NS1_11comp_targetILNS1_3genE10ELNS1_11target_archE1201ELNS1_3gpuE5ELNS1_3repE0EEENS1_30default_config_static_selectorELNS0_4arch9wavefront6targetE1EEEvT1_
	.p2align	8
	.type	_ZN7rocprim17ROCPRIM_400000_NS6detail17trampoline_kernelINS0_14default_configENS1_27scan_by_key_config_selectorIllEEZZNS1_16scan_by_key_implILNS1_25lookback_scan_determinismE0ELb0ES3_N6thrust23THRUST_200600_302600_NS16reverse_iteratorIPKlEESD_NSA_IPlEElN6hipcub16HIPCUB_304000_NS3MaxENSH_8EqualityElEE10hipError_tPvRmT2_T3_T4_T5_mT6_T7_P12ihipStream_tbENKUlT_T0_E_clISt17integral_constantIbLb1EES10_EEDaSV_SW_EUlSV_E_NS1_11comp_targetILNS1_3genE10ELNS1_11target_archE1201ELNS1_3gpuE5ELNS1_3repE0EEENS1_30default_config_static_selectorELNS0_4arch9wavefront6targetE1EEEvT1_,@function
_ZN7rocprim17ROCPRIM_400000_NS6detail17trampoline_kernelINS0_14default_configENS1_27scan_by_key_config_selectorIllEEZZNS1_16scan_by_key_implILNS1_25lookback_scan_determinismE0ELb0ES3_N6thrust23THRUST_200600_302600_NS16reverse_iteratorIPKlEESD_NSA_IPlEElN6hipcub16HIPCUB_304000_NS3MaxENSH_8EqualityElEE10hipError_tPvRmT2_T3_T4_T5_mT6_T7_P12ihipStream_tbENKUlT_T0_E_clISt17integral_constantIbLb1EES10_EEDaSV_SW_EUlSV_E_NS1_11comp_targetILNS1_3genE10ELNS1_11target_archE1201ELNS1_3gpuE5ELNS1_3repE0EEENS1_30default_config_static_selectorELNS0_4arch9wavefront6targetE1EEEvT1_: ; @_ZN7rocprim17ROCPRIM_400000_NS6detail17trampoline_kernelINS0_14default_configENS1_27scan_by_key_config_selectorIllEEZZNS1_16scan_by_key_implILNS1_25lookback_scan_determinismE0ELb0ES3_N6thrust23THRUST_200600_302600_NS16reverse_iteratorIPKlEESD_NSA_IPlEElN6hipcub16HIPCUB_304000_NS3MaxENSH_8EqualityElEE10hipError_tPvRmT2_T3_T4_T5_mT6_T7_P12ihipStream_tbENKUlT_T0_E_clISt17integral_constantIbLb1EES10_EEDaSV_SW_EUlSV_E_NS1_11comp_targetILNS1_3genE10ELNS1_11target_archE1201ELNS1_3gpuE5ELNS1_3repE0EEENS1_30default_config_static_selectorELNS0_4arch9wavefront6targetE1EEEvT1_
; %bb.0:
	.section	.rodata,"a",@progbits
	.p2align	6, 0x0
	.amdhsa_kernel _ZN7rocprim17ROCPRIM_400000_NS6detail17trampoline_kernelINS0_14default_configENS1_27scan_by_key_config_selectorIllEEZZNS1_16scan_by_key_implILNS1_25lookback_scan_determinismE0ELb0ES3_N6thrust23THRUST_200600_302600_NS16reverse_iteratorIPKlEESD_NSA_IPlEElN6hipcub16HIPCUB_304000_NS3MaxENSH_8EqualityElEE10hipError_tPvRmT2_T3_T4_T5_mT6_T7_P12ihipStream_tbENKUlT_T0_E_clISt17integral_constantIbLb1EES10_EEDaSV_SW_EUlSV_E_NS1_11comp_targetILNS1_3genE10ELNS1_11target_archE1201ELNS1_3gpuE5ELNS1_3repE0EEENS1_30default_config_static_selectorELNS0_4arch9wavefront6targetE1EEEvT1_
		.amdhsa_group_segment_fixed_size 0
		.amdhsa_private_segment_fixed_size 0
		.amdhsa_kernarg_size 136
		.amdhsa_user_sgpr_count 2
		.amdhsa_user_sgpr_dispatch_ptr 0
		.amdhsa_user_sgpr_queue_ptr 0
		.amdhsa_user_sgpr_kernarg_segment_ptr 1
		.amdhsa_user_sgpr_dispatch_id 0
		.amdhsa_user_sgpr_kernarg_preload_length 0
		.amdhsa_user_sgpr_kernarg_preload_offset 0
		.amdhsa_user_sgpr_private_segment_size 0
		.amdhsa_uses_dynamic_stack 0
		.amdhsa_enable_private_segment 0
		.amdhsa_system_sgpr_workgroup_id_x 1
		.amdhsa_system_sgpr_workgroup_id_y 0
		.amdhsa_system_sgpr_workgroup_id_z 0
		.amdhsa_system_sgpr_workgroup_info 0
		.amdhsa_system_vgpr_workitem_id 0
		.amdhsa_next_free_vgpr 1
		.amdhsa_next_free_sgpr 0
		.amdhsa_accum_offset 4
		.amdhsa_reserve_vcc 0
		.amdhsa_float_round_mode_32 0
		.amdhsa_float_round_mode_16_64 0
		.amdhsa_float_denorm_mode_32 3
		.amdhsa_float_denorm_mode_16_64 3
		.amdhsa_dx10_clamp 1
		.amdhsa_ieee_mode 1
		.amdhsa_fp16_overflow 0
		.amdhsa_tg_split 0
		.amdhsa_exception_fp_ieee_invalid_op 0
		.amdhsa_exception_fp_denorm_src 0
		.amdhsa_exception_fp_ieee_div_zero 0
		.amdhsa_exception_fp_ieee_overflow 0
		.amdhsa_exception_fp_ieee_underflow 0
		.amdhsa_exception_fp_ieee_inexact 0
		.amdhsa_exception_int_div_zero 0
	.end_amdhsa_kernel
	.section	.text._ZN7rocprim17ROCPRIM_400000_NS6detail17trampoline_kernelINS0_14default_configENS1_27scan_by_key_config_selectorIllEEZZNS1_16scan_by_key_implILNS1_25lookback_scan_determinismE0ELb0ES3_N6thrust23THRUST_200600_302600_NS16reverse_iteratorIPKlEESD_NSA_IPlEElN6hipcub16HIPCUB_304000_NS3MaxENSH_8EqualityElEE10hipError_tPvRmT2_T3_T4_T5_mT6_T7_P12ihipStream_tbENKUlT_T0_E_clISt17integral_constantIbLb1EES10_EEDaSV_SW_EUlSV_E_NS1_11comp_targetILNS1_3genE10ELNS1_11target_archE1201ELNS1_3gpuE5ELNS1_3repE0EEENS1_30default_config_static_selectorELNS0_4arch9wavefront6targetE1EEEvT1_,"axG",@progbits,_ZN7rocprim17ROCPRIM_400000_NS6detail17trampoline_kernelINS0_14default_configENS1_27scan_by_key_config_selectorIllEEZZNS1_16scan_by_key_implILNS1_25lookback_scan_determinismE0ELb0ES3_N6thrust23THRUST_200600_302600_NS16reverse_iteratorIPKlEESD_NSA_IPlEElN6hipcub16HIPCUB_304000_NS3MaxENSH_8EqualityElEE10hipError_tPvRmT2_T3_T4_T5_mT6_T7_P12ihipStream_tbENKUlT_T0_E_clISt17integral_constantIbLb1EES10_EEDaSV_SW_EUlSV_E_NS1_11comp_targetILNS1_3genE10ELNS1_11target_archE1201ELNS1_3gpuE5ELNS1_3repE0EEENS1_30default_config_static_selectorELNS0_4arch9wavefront6targetE1EEEvT1_,comdat
.Lfunc_end148:
	.size	_ZN7rocprim17ROCPRIM_400000_NS6detail17trampoline_kernelINS0_14default_configENS1_27scan_by_key_config_selectorIllEEZZNS1_16scan_by_key_implILNS1_25lookback_scan_determinismE0ELb0ES3_N6thrust23THRUST_200600_302600_NS16reverse_iteratorIPKlEESD_NSA_IPlEElN6hipcub16HIPCUB_304000_NS3MaxENSH_8EqualityElEE10hipError_tPvRmT2_T3_T4_T5_mT6_T7_P12ihipStream_tbENKUlT_T0_E_clISt17integral_constantIbLb1EES10_EEDaSV_SW_EUlSV_E_NS1_11comp_targetILNS1_3genE10ELNS1_11target_archE1201ELNS1_3gpuE5ELNS1_3repE0EEENS1_30default_config_static_selectorELNS0_4arch9wavefront6targetE1EEEvT1_, .Lfunc_end148-_ZN7rocprim17ROCPRIM_400000_NS6detail17trampoline_kernelINS0_14default_configENS1_27scan_by_key_config_selectorIllEEZZNS1_16scan_by_key_implILNS1_25lookback_scan_determinismE0ELb0ES3_N6thrust23THRUST_200600_302600_NS16reverse_iteratorIPKlEESD_NSA_IPlEElN6hipcub16HIPCUB_304000_NS3MaxENSH_8EqualityElEE10hipError_tPvRmT2_T3_T4_T5_mT6_T7_P12ihipStream_tbENKUlT_T0_E_clISt17integral_constantIbLb1EES10_EEDaSV_SW_EUlSV_E_NS1_11comp_targetILNS1_3genE10ELNS1_11target_archE1201ELNS1_3gpuE5ELNS1_3repE0EEENS1_30default_config_static_selectorELNS0_4arch9wavefront6targetE1EEEvT1_
                                        ; -- End function
	.set _ZN7rocprim17ROCPRIM_400000_NS6detail17trampoline_kernelINS0_14default_configENS1_27scan_by_key_config_selectorIllEEZZNS1_16scan_by_key_implILNS1_25lookback_scan_determinismE0ELb0ES3_N6thrust23THRUST_200600_302600_NS16reverse_iteratorIPKlEESD_NSA_IPlEElN6hipcub16HIPCUB_304000_NS3MaxENSH_8EqualityElEE10hipError_tPvRmT2_T3_T4_T5_mT6_T7_P12ihipStream_tbENKUlT_T0_E_clISt17integral_constantIbLb1EES10_EEDaSV_SW_EUlSV_E_NS1_11comp_targetILNS1_3genE10ELNS1_11target_archE1201ELNS1_3gpuE5ELNS1_3repE0EEENS1_30default_config_static_selectorELNS0_4arch9wavefront6targetE1EEEvT1_.num_vgpr, 0
	.set _ZN7rocprim17ROCPRIM_400000_NS6detail17trampoline_kernelINS0_14default_configENS1_27scan_by_key_config_selectorIllEEZZNS1_16scan_by_key_implILNS1_25lookback_scan_determinismE0ELb0ES3_N6thrust23THRUST_200600_302600_NS16reverse_iteratorIPKlEESD_NSA_IPlEElN6hipcub16HIPCUB_304000_NS3MaxENSH_8EqualityElEE10hipError_tPvRmT2_T3_T4_T5_mT6_T7_P12ihipStream_tbENKUlT_T0_E_clISt17integral_constantIbLb1EES10_EEDaSV_SW_EUlSV_E_NS1_11comp_targetILNS1_3genE10ELNS1_11target_archE1201ELNS1_3gpuE5ELNS1_3repE0EEENS1_30default_config_static_selectorELNS0_4arch9wavefront6targetE1EEEvT1_.num_agpr, 0
	.set _ZN7rocprim17ROCPRIM_400000_NS6detail17trampoline_kernelINS0_14default_configENS1_27scan_by_key_config_selectorIllEEZZNS1_16scan_by_key_implILNS1_25lookback_scan_determinismE0ELb0ES3_N6thrust23THRUST_200600_302600_NS16reverse_iteratorIPKlEESD_NSA_IPlEElN6hipcub16HIPCUB_304000_NS3MaxENSH_8EqualityElEE10hipError_tPvRmT2_T3_T4_T5_mT6_T7_P12ihipStream_tbENKUlT_T0_E_clISt17integral_constantIbLb1EES10_EEDaSV_SW_EUlSV_E_NS1_11comp_targetILNS1_3genE10ELNS1_11target_archE1201ELNS1_3gpuE5ELNS1_3repE0EEENS1_30default_config_static_selectorELNS0_4arch9wavefront6targetE1EEEvT1_.numbered_sgpr, 0
	.set _ZN7rocprim17ROCPRIM_400000_NS6detail17trampoline_kernelINS0_14default_configENS1_27scan_by_key_config_selectorIllEEZZNS1_16scan_by_key_implILNS1_25lookback_scan_determinismE0ELb0ES3_N6thrust23THRUST_200600_302600_NS16reverse_iteratorIPKlEESD_NSA_IPlEElN6hipcub16HIPCUB_304000_NS3MaxENSH_8EqualityElEE10hipError_tPvRmT2_T3_T4_T5_mT6_T7_P12ihipStream_tbENKUlT_T0_E_clISt17integral_constantIbLb1EES10_EEDaSV_SW_EUlSV_E_NS1_11comp_targetILNS1_3genE10ELNS1_11target_archE1201ELNS1_3gpuE5ELNS1_3repE0EEENS1_30default_config_static_selectorELNS0_4arch9wavefront6targetE1EEEvT1_.num_named_barrier, 0
	.set _ZN7rocprim17ROCPRIM_400000_NS6detail17trampoline_kernelINS0_14default_configENS1_27scan_by_key_config_selectorIllEEZZNS1_16scan_by_key_implILNS1_25lookback_scan_determinismE0ELb0ES3_N6thrust23THRUST_200600_302600_NS16reverse_iteratorIPKlEESD_NSA_IPlEElN6hipcub16HIPCUB_304000_NS3MaxENSH_8EqualityElEE10hipError_tPvRmT2_T3_T4_T5_mT6_T7_P12ihipStream_tbENKUlT_T0_E_clISt17integral_constantIbLb1EES10_EEDaSV_SW_EUlSV_E_NS1_11comp_targetILNS1_3genE10ELNS1_11target_archE1201ELNS1_3gpuE5ELNS1_3repE0EEENS1_30default_config_static_selectorELNS0_4arch9wavefront6targetE1EEEvT1_.private_seg_size, 0
	.set _ZN7rocprim17ROCPRIM_400000_NS6detail17trampoline_kernelINS0_14default_configENS1_27scan_by_key_config_selectorIllEEZZNS1_16scan_by_key_implILNS1_25lookback_scan_determinismE0ELb0ES3_N6thrust23THRUST_200600_302600_NS16reverse_iteratorIPKlEESD_NSA_IPlEElN6hipcub16HIPCUB_304000_NS3MaxENSH_8EqualityElEE10hipError_tPvRmT2_T3_T4_T5_mT6_T7_P12ihipStream_tbENKUlT_T0_E_clISt17integral_constantIbLb1EES10_EEDaSV_SW_EUlSV_E_NS1_11comp_targetILNS1_3genE10ELNS1_11target_archE1201ELNS1_3gpuE5ELNS1_3repE0EEENS1_30default_config_static_selectorELNS0_4arch9wavefront6targetE1EEEvT1_.uses_vcc, 0
	.set _ZN7rocprim17ROCPRIM_400000_NS6detail17trampoline_kernelINS0_14default_configENS1_27scan_by_key_config_selectorIllEEZZNS1_16scan_by_key_implILNS1_25lookback_scan_determinismE0ELb0ES3_N6thrust23THRUST_200600_302600_NS16reverse_iteratorIPKlEESD_NSA_IPlEElN6hipcub16HIPCUB_304000_NS3MaxENSH_8EqualityElEE10hipError_tPvRmT2_T3_T4_T5_mT6_T7_P12ihipStream_tbENKUlT_T0_E_clISt17integral_constantIbLb1EES10_EEDaSV_SW_EUlSV_E_NS1_11comp_targetILNS1_3genE10ELNS1_11target_archE1201ELNS1_3gpuE5ELNS1_3repE0EEENS1_30default_config_static_selectorELNS0_4arch9wavefront6targetE1EEEvT1_.uses_flat_scratch, 0
	.set _ZN7rocprim17ROCPRIM_400000_NS6detail17trampoline_kernelINS0_14default_configENS1_27scan_by_key_config_selectorIllEEZZNS1_16scan_by_key_implILNS1_25lookback_scan_determinismE0ELb0ES3_N6thrust23THRUST_200600_302600_NS16reverse_iteratorIPKlEESD_NSA_IPlEElN6hipcub16HIPCUB_304000_NS3MaxENSH_8EqualityElEE10hipError_tPvRmT2_T3_T4_T5_mT6_T7_P12ihipStream_tbENKUlT_T0_E_clISt17integral_constantIbLb1EES10_EEDaSV_SW_EUlSV_E_NS1_11comp_targetILNS1_3genE10ELNS1_11target_archE1201ELNS1_3gpuE5ELNS1_3repE0EEENS1_30default_config_static_selectorELNS0_4arch9wavefront6targetE1EEEvT1_.has_dyn_sized_stack, 0
	.set _ZN7rocprim17ROCPRIM_400000_NS6detail17trampoline_kernelINS0_14default_configENS1_27scan_by_key_config_selectorIllEEZZNS1_16scan_by_key_implILNS1_25lookback_scan_determinismE0ELb0ES3_N6thrust23THRUST_200600_302600_NS16reverse_iteratorIPKlEESD_NSA_IPlEElN6hipcub16HIPCUB_304000_NS3MaxENSH_8EqualityElEE10hipError_tPvRmT2_T3_T4_T5_mT6_T7_P12ihipStream_tbENKUlT_T0_E_clISt17integral_constantIbLb1EES10_EEDaSV_SW_EUlSV_E_NS1_11comp_targetILNS1_3genE10ELNS1_11target_archE1201ELNS1_3gpuE5ELNS1_3repE0EEENS1_30default_config_static_selectorELNS0_4arch9wavefront6targetE1EEEvT1_.has_recursion, 0
	.set _ZN7rocprim17ROCPRIM_400000_NS6detail17trampoline_kernelINS0_14default_configENS1_27scan_by_key_config_selectorIllEEZZNS1_16scan_by_key_implILNS1_25lookback_scan_determinismE0ELb0ES3_N6thrust23THRUST_200600_302600_NS16reverse_iteratorIPKlEESD_NSA_IPlEElN6hipcub16HIPCUB_304000_NS3MaxENSH_8EqualityElEE10hipError_tPvRmT2_T3_T4_T5_mT6_T7_P12ihipStream_tbENKUlT_T0_E_clISt17integral_constantIbLb1EES10_EEDaSV_SW_EUlSV_E_NS1_11comp_targetILNS1_3genE10ELNS1_11target_archE1201ELNS1_3gpuE5ELNS1_3repE0EEENS1_30default_config_static_selectorELNS0_4arch9wavefront6targetE1EEEvT1_.has_indirect_call, 0
	.section	.AMDGPU.csdata,"",@progbits
; Kernel info:
; codeLenInByte = 0
; TotalNumSgprs: 6
; NumVgprs: 0
; NumAgprs: 0
; TotalNumVgprs: 0
; ScratchSize: 0
; MemoryBound: 0
; FloatMode: 240
; IeeeMode: 1
; LDSByteSize: 0 bytes/workgroup (compile time only)
; SGPRBlocks: 0
; VGPRBlocks: 0
; NumSGPRsForWavesPerEU: 6
; NumVGPRsForWavesPerEU: 1
; AccumOffset: 4
; Occupancy: 8
; WaveLimiterHint : 0
; COMPUTE_PGM_RSRC2:SCRATCH_EN: 0
; COMPUTE_PGM_RSRC2:USER_SGPR: 2
; COMPUTE_PGM_RSRC2:TRAP_HANDLER: 0
; COMPUTE_PGM_RSRC2:TGID_X_EN: 1
; COMPUTE_PGM_RSRC2:TGID_Y_EN: 0
; COMPUTE_PGM_RSRC2:TGID_Z_EN: 0
; COMPUTE_PGM_RSRC2:TIDIG_COMP_CNT: 0
; COMPUTE_PGM_RSRC3_GFX90A:ACCUM_OFFSET: 0
; COMPUTE_PGM_RSRC3_GFX90A:TG_SPLIT: 0
	.section	.text._ZN7rocprim17ROCPRIM_400000_NS6detail17trampoline_kernelINS0_14default_configENS1_27scan_by_key_config_selectorIllEEZZNS1_16scan_by_key_implILNS1_25lookback_scan_determinismE0ELb0ES3_N6thrust23THRUST_200600_302600_NS16reverse_iteratorIPKlEESD_NSA_IPlEElN6hipcub16HIPCUB_304000_NS3MaxENSH_8EqualityElEE10hipError_tPvRmT2_T3_T4_T5_mT6_T7_P12ihipStream_tbENKUlT_T0_E_clISt17integral_constantIbLb1EES10_EEDaSV_SW_EUlSV_E_NS1_11comp_targetILNS1_3genE5ELNS1_11target_archE942ELNS1_3gpuE9ELNS1_3repE0EEENS1_30default_config_static_selectorELNS0_4arch9wavefront6targetE1EEEvT1_,"axG",@progbits,_ZN7rocprim17ROCPRIM_400000_NS6detail17trampoline_kernelINS0_14default_configENS1_27scan_by_key_config_selectorIllEEZZNS1_16scan_by_key_implILNS1_25lookback_scan_determinismE0ELb0ES3_N6thrust23THRUST_200600_302600_NS16reverse_iteratorIPKlEESD_NSA_IPlEElN6hipcub16HIPCUB_304000_NS3MaxENSH_8EqualityElEE10hipError_tPvRmT2_T3_T4_T5_mT6_T7_P12ihipStream_tbENKUlT_T0_E_clISt17integral_constantIbLb1EES10_EEDaSV_SW_EUlSV_E_NS1_11comp_targetILNS1_3genE5ELNS1_11target_archE942ELNS1_3gpuE9ELNS1_3repE0EEENS1_30default_config_static_selectorELNS0_4arch9wavefront6targetE1EEEvT1_,comdat
	.protected	_ZN7rocprim17ROCPRIM_400000_NS6detail17trampoline_kernelINS0_14default_configENS1_27scan_by_key_config_selectorIllEEZZNS1_16scan_by_key_implILNS1_25lookback_scan_determinismE0ELb0ES3_N6thrust23THRUST_200600_302600_NS16reverse_iteratorIPKlEESD_NSA_IPlEElN6hipcub16HIPCUB_304000_NS3MaxENSH_8EqualityElEE10hipError_tPvRmT2_T3_T4_T5_mT6_T7_P12ihipStream_tbENKUlT_T0_E_clISt17integral_constantIbLb1EES10_EEDaSV_SW_EUlSV_E_NS1_11comp_targetILNS1_3genE5ELNS1_11target_archE942ELNS1_3gpuE9ELNS1_3repE0EEENS1_30default_config_static_selectorELNS0_4arch9wavefront6targetE1EEEvT1_ ; -- Begin function _ZN7rocprim17ROCPRIM_400000_NS6detail17trampoline_kernelINS0_14default_configENS1_27scan_by_key_config_selectorIllEEZZNS1_16scan_by_key_implILNS1_25lookback_scan_determinismE0ELb0ES3_N6thrust23THRUST_200600_302600_NS16reverse_iteratorIPKlEESD_NSA_IPlEElN6hipcub16HIPCUB_304000_NS3MaxENSH_8EqualityElEE10hipError_tPvRmT2_T3_T4_T5_mT6_T7_P12ihipStream_tbENKUlT_T0_E_clISt17integral_constantIbLb1EES10_EEDaSV_SW_EUlSV_E_NS1_11comp_targetILNS1_3genE5ELNS1_11target_archE942ELNS1_3gpuE9ELNS1_3repE0EEENS1_30default_config_static_selectorELNS0_4arch9wavefront6targetE1EEEvT1_
	.globl	_ZN7rocprim17ROCPRIM_400000_NS6detail17trampoline_kernelINS0_14default_configENS1_27scan_by_key_config_selectorIllEEZZNS1_16scan_by_key_implILNS1_25lookback_scan_determinismE0ELb0ES3_N6thrust23THRUST_200600_302600_NS16reverse_iteratorIPKlEESD_NSA_IPlEElN6hipcub16HIPCUB_304000_NS3MaxENSH_8EqualityElEE10hipError_tPvRmT2_T3_T4_T5_mT6_T7_P12ihipStream_tbENKUlT_T0_E_clISt17integral_constantIbLb1EES10_EEDaSV_SW_EUlSV_E_NS1_11comp_targetILNS1_3genE5ELNS1_11target_archE942ELNS1_3gpuE9ELNS1_3repE0EEENS1_30default_config_static_selectorELNS0_4arch9wavefront6targetE1EEEvT1_
	.p2align	8
	.type	_ZN7rocprim17ROCPRIM_400000_NS6detail17trampoline_kernelINS0_14default_configENS1_27scan_by_key_config_selectorIllEEZZNS1_16scan_by_key_implILNS1_25lookback_scan_determinismE0ELb0ES3_N6thrust23THRUST_200600_302600_NS16reverse_iteratorIPKlEESD_NSA_IPlEElN6hipcub16HIPCUB_304000_NS3MaxENSH_8EqualityElEE10hipError_tPvRmT2_T3_T4_T5_mT6_T7_P12ihipStream_tbENKUlT_T0_E_clISt17integral_constantIbLb1EES10_EEDaSV_SW_EUlSV_E_NS1_11comp_targetILNS1_3genE5ELNS1_11target_archE942ELNS1_3gpuE9ELNS1_3repE0EEENS1_30default_config_static_selectorELNS0_4arch9wavefront6targetE1EEEvT1_,@function
_ZN7rocprim17ROCPRIM_400000_NS6detail17trampoline_kernelINS0_14default_configENS1_27scan_by_key_config_selectorIllEEZZNS1_16scan_by_key_implILNS1_25lookback_scan_determinismE0ELb0ES3_N6thrust23THRUST_200600_302600_NS16reverse_iteratorIPKlEESD_NSA_IPlEElN6hipcub16HIPCUB_304000_NS3MaxENSH_8EqualityElEE10hipError_tPvRmT2_T3_T4_T5_mT6_T7_P12ihipStream_tbENKUlT_T0_E_clISt17integral_constantIbLb1EES10_EEDaSV_SW_EUlSV_E_NS1_11comp_targetILNS1_3genE5ELNS1_11target_archE942ELNS1_3gpuE9ELNS1_3repE0EEENS1_30default_config_static_selectorELNS0_4arch9wavefront6targetE1EEEvT1_: ; @_ZN7rocprim17ROCPRIM_400000_NS6detail17trampoline_kernelINS0_14default_configENS1_27scan_by_key_config_selectorIllEEZZNS1_16scan_by_key_implILNS1_25lookback_scan_determinismE0ELb0ES3_N6thrust23THRUST_200600_302600_NS16reverse_iteratorIPKlEESD_NSA_IPlEElN6hipcub16HIPCUB_304000_NS3MaxENSH_8EqualityElEE10hipError_tPvRmT2_T3_T4_T5_mT6_T7_P12ihipStream_tbENKUlT_T0_E_clISt17integral_constantIbLb1EES10_EEDaSV_SW_EUlSV_E_NS1_11comp_targetILNS1_3genE5ELNS1_11target_archE942ELNS1_3gpuE9ELNS1_3repE0EEENS1_30default_config_static_selectorELNS0_4arch9wavefront6targetE1EEEvT1_
; %bb.0:
	.section	.rodata,"a",@progbits
	.p2align	6, 0x0
	.amdhsa_kernel _ZN7rocprim17ROCPRIM_400000_NS6detail17trampoline_kernelINS0_14default_configENS1_27scan_by_key_config_selectorIllEEZZNS1_16scan_by_key_implILNS1_25lookback_scan_determinismE0ELb0ES3_N6thrust23THRUST_200600_302600_NS16reverse_iteratorIPKlEESD_NSA_IPlEElN6hipcub16HIPCUB_304000_NS3MaxENSH_8EqualityElEE10hipError_tPvRmT2_T3_T4_T5_mT6_T7_P12ihipStream_tbENKUlT_T0_E_clISt17integral_constantIbLb1EES10_EEDaSV_SW_EUlSV_E_NS1_11comp_targetILNS1_3genE5ELNS1_11target_archE942ELNS1_3gpuE9ELNS1_3repE0EEENS1_30default_config_static_selectorELNS0_4arch9wavefront6targetE1EEEvT1_
		.amdhsa_group_segment_fixed_size 0
		.amdhsa_private_segment_fixed_size 0
		.amdhsa_kernarg_size 136
		.amdhsa_user_sgpr_count 2
		.amdhsa_user_sgpr_dispatch_ptr 0
		.amdhsa_user_sgpr_queue_ptr 0
		.amdhsa_user_sgpr_kernarg_segment_ptr 1
		.amdhsa_user_sgpr_dispatch_id 0
		.amdhsa_user_sgpr_kernarg_preload_length 0
		.amdhsa_user_sgpr_kernarg_preload_offset 0
		.amdhsa_user_sgpr_private_segment_size 0
		.amdhsa_uses_dynamic_stack 0
		.amdhsa_enable_private_segment 0
		.amdhsa_system_sgpr_workgroup_id_x 1
		.amdhsa_system_sgpr_workgroup_id_y 0
		.amdhsa_system_sgpr_workgroup_id_z 0
		.amdhsa_system_sgpr_workgroup_info 0
		.amdhsa_system_vgpr_workitem_id 0
		.amdhsa_next_free_vgpr 1
		.amdhsa_next_free_sgpr 0
		.amdhsa_accum_offset 4
		.amdhsa_reserve_vcc 0
		.amdhsa_float_round_mode_32 0
		.amdhsa_float_round_mode_16_64 0
		.amdhsa_float_denorm_mode_32 3
		.amdhsa_float_denorm_mode_16_64 3
		.amdhsa_dx10_clamp 1
		.amdhsa_ieee_mode 1
		.amdhsa_fp16_overflow 0
		.amdhsa_tg_split 0
		.amdhsa_exception_fp_ieee_invalid_op 0
		.amdhsa_exception_fp_denorm_src 0
		.amdhsa_exception_fp_ieee_div_zero 0
		.amdhsa_exception_fp_ieee_overflow 0
		.amdhsa_exception_fp_ieee_underflow 0
		.amdhsa_exception_fp_ieee_inexact 0
		.amdhsa_exception_int_div_zero 0
	.end_amdhsa_kernel
	.section	.text._ZN7rocprim17ROCPRIM_400000_NS6detail17trampoline_kernelINS0_14default_configENS1_27scan_by_key_config_selectorIllEEZZNS1_16scan_by_key_implILNS1_25lookback_scan_determinismE0ELb0ES3_N6thrust23THRUST_200600_302600_NS16reverse_iteratorIPKlEESD_NSA_IPlEElN6hipcub16HIPCUB_304000_NS3MaxENSH_8EqualityElEE10hipError_tPvRmT2_T3_T4_T5_mT6_T7_P12ihipStream_tbENKUlT_T0_E_clISt17integral_constantIbLb1EES10_EEDaSV_SW_EUlSV_E_NS1_11comp_targetILNS1_3genE5ELNS1_11target_archE942ELNS1_3gpuE9ELNS1_3repE0EEENS1_30default_config_static_selectorELNS0_4arch9wavefront6targetE1EEEvT1_,"axG",@progbits,_ZN7rocprim17ROCPRIM_400000_NS6detail17trampoline_kernelINS0_14default_configENS1_27scan_by_key_config_selectorIllEEZZNS1_16scan_by_key_implILNS1_25lookback_scan_determinismE0ELb0ES3_N6thrust23THRUST_200600_302600_NS16reverse_iteratorIPKlEESD_NSA_IPlEElN6hipcub16HIPCUB_304000_NS3MaxENSH_8EqualityElEE10hipError_tPvRmT2_T3_T4_T5_mT6_T7_P12ihipStream_tbENKUlT_T0_E_clISt17integral_constantIbLb1EES10_EEDaSV_SW_EUlSV_E_NS1_11comp_targetILNS1_3genE5ELNS1_11target_archE942ELNS1_3gpuE9ELNS1_3repE0EEENS1_30default_config_static_selectorELNS0_4arch9wavefront6targetE1EEEvT1_,comdat
.Lfunc_end149:
	.size	_ZN7rocprim17ROCPRIM_400000_NS6detail17trampoline_kernelINS0_14default_configENS1_27scan_by_key_config_selectorIllEEZZNS1_16scan_by_key_implILNS1_25lookback_scan_determinismE0ELb0ES3_N6thrust23THRUST_200600_302600_NS16reverse_iteratorIPKlEESD_NSA_IPlEElN6hipcub16HIPCUB_304000_NS3MaxENSH_8EqualityElEE10hipError_tPvRmT2_T3_T4_T5_mT6_T7_P12ihipStream_tbENKUlT_T0_E_clISt17integral_constantIbLb1EES10_EEDaSV_SW_EUlSV_E_NS1_11comp_targetILNS1_3genE5ELNS1_11target_archE942ELNS1_3gpuE9ELNS1_3repE0EEENS1_30default_config_static_selectorELNS0_4arch9wavefront6targetE1EEEvT1_, .Lfunc_end149-_ZN7rocprim17ROCPRIM_400000_NS6detail17trampoline_kernelINS0_14default_configENS1_27scan_by_key_config_selectorIllEEZZNS1_16scan_by_key_implILNS1_25lookback_scan_determinismE0ELb0ES3_N6thrust23THRUST_200600_302600_NS16reverse_iteratorIPKlEESD_NSA_IPlEElN6hipcub16HIPCUB_304000_NS3MaxENSH_8EqualityElEE10hipError_tPvRmT2_T3_T4_T5_mT6_T7_P12ihipStream_tbENKUlT_T0_E_clISt17integral_constantIbLb1EES10_EEDaSV_SW_EUlSV_E_NS1_11comp_targetILNS1_3genE5ELNS1_11target_archE942ELNS1_3gpuE9ELNS1_3repE0EEENS1_30default_config_static_selectorELNS0_4arch9wavefront6targetE1EEEvT1_
                                        ; -- End function
	.set _ZN7rocprim17ROCPRIM_400000_NS6detail17trampoline_kernelINS0_14default_configENS1_27scan_by_key_config_selectorIllEEZZNS1_16scan_by_key_implILNS1_25lookback_scan_determinismE0ELb0ES3_N6thrust23THRUST_200600_302600_NS16reverse_iteratorIPKlEESD_NSA_IPlEElN6hipcub16HIPCUB_304000_NS3MaxENSH_8EqualityElEE10hipError_tPvRmT2_T3_T4_T5_mT6_T7_P12ihipStream_tbENKUlT_T0_E_clISt17integral_constantIbLb1EES10_EEDaSV_SW_EUlSV_E_NS1_11comp_targetILNS1_3genE5ELNS1_11target_archE942ELNS1_3gpuE9ELNS1_3repE0EEENS1_30default_config_static_selectorELNS0_4arch9wavefront6targetE1EEEvT1_.num_vgpr, 0
	.set _ZN7rocprim17ROCPRIM_400000_NS6detail17trampoline_kernelINS0_14default_configENS1_27scan_by_key_config_selectorIllEEZZNS1_16scan_by_key_implILNS1_25lookback_scan_determinismE0ELb0ES3_N6thrust23THRUST_200600_302600_NS16reverse_iteratorIPKlEESD_NSA_IPlEElN6hipcub16HIPCUB_304000_NS3MaxENSH_8EqualityElEE10hipError_tPvRmT2_T3_T4_T5_mT6_T7_P12ihipStream_tbENKUlT_T0_E_clISt17integral_constantIbLb1EES10_EEDaSV_SW_EUlSV_E_NS1_11comp_targetILNS1_3genE5ELNS1_11target_archE942ELNS1_3gpuE9ELNS1_3repE0EEENS1_30default_config_static_selectorELNS0_4arch9wavefront6targetE1EEEvT1_.num_agpr, 0
	.set _ZN7rocprim17ROCPRIM_400000_NS6detail17trampoline_kernelINS0_14default_configENS1_27scan_by_key_config_selectorIllEEZZNS1_16scan_by_key_implILNS1_25lookback_scan_determinismE0ELb0ES3_N6thrust23THRUST_200600_302600_NS16reverse_iteratorIPKlEESD_NSA_IPlEElN6hipcub16HIPCUB_304000_NS3MaxENSH_8EqualityElEE10hipError_tPvRmT2_T3_T4_T5_mT6_T7_P12ihipStream_tbENKUlT_T0_E_clISt17integral_constantIbLb1EES10_EEDaSV_SW_EUlSV_E_NS1_11comp_targetILNS1_3genE5ELNS1_11target_archE942ELNS1_3gpuE9ELNS1_3repE0EEENS1_30default_config_static_selectorELNS0_4arch9wavefront6targetE1EEEvT1_.numbered_sgpr, 0
	.set _ZN7rocprim17ROCPRIM_400000_NS6detail17trampoline_kernelINS0_14default_configENS1_27scan_by_key_config_selectorIllEEZZNS1_16scan_by_key_implILNS1_25lookback_scan_determinismE0ELb0ES3_N6thrust23THRUST_200600_302600_NS16reverse_iteratorIPKlEESD_NSA_IPlEElN6hipcub16HIPCUB_304000_NS3MaxENSH_8EqualityElEE10hipError_tPvRmT2_T3_T4_T5_mT6_T7_P12ihipStream_tbENKUlT_T0_E_clISt17integral_constantIbLb1EES10_EEDaSV_SW_EUlSV_E_NS1_11comp_targetILNS1_3genE5ELNS1_11target_archE942ELNS1_3gpuE9ELNS1_3repE0EEENS1_30default_config_static_selectorELNS0_4arch9wavefront6targetE1EEEvT1_.num_named_barrier, 0
	.set _ZN7rocprim17ROCPRIM_400000_NS6detail17trampoline_kernelINS0_14default_configENS1_27scan_by_key_config_selectorIllEEZZNS1_16scan_by_key_implILNS1_25lookback_scan_determinismE0ELb0ES3_N6thrust23THRUST_200600_302600_NS16reverse_iteratorIPKlEESD_NSA_IPlEElN6hipcub16HIPCUB_304000_NS3MaxENSH_8EqualityElEE10hipError_tPvRmT2_T3_T4_T5_mT6_T7_P12ihipStream_tbENKUlT_T0_E_clISt17integral_constantIbLb1EES10_EEDaSV_SW_EUlSV_E_NS1_11comp_targetILNS1_3genE5ELNS1_11target_archE942ELNS1_3gpuE9ELNS1_3repE0EEENS1_30default_config_static_selectorELNS0_4arch9wavefront6targetE1EEEvT1_.private_seg_size, 0
	.set _ZN7rocprim17ROCPRIM_400000_NS6detail17trampoline_kernelINS0_14default_configENS1_27scan_by_key_config_selectorIllEEZZNS1_16scan_by_key_implILNS1_25lookback_scan_determinismE0ELb0ES3_N6thrust23THRUST_200600_302600_NS16reverse_iteratorIPKlEESD_NSA_IPlEElN6hipcub16HIPCUB_304000_NS3MaxENSH_8EqualityElEE10hipError_tPvRmT2_T3_T4_T5_mT6_T7_P12ihipStream_tbENKUlT_T0_E_clISt17integral_constantIbLb1EES10_EEDaSV_SW_EUlSV_E_NS1_11comp_targetILNS1_3genE5ELNS1_11target_archE942ELNS1_3gpuE9ELNS1_3repE0EEENS1_30default_config_static_selectorELNS0_4arch9wavefront6targetE1EEEvT1_.uses_vcc, 0
	.set _ZN7rocprim17ROCPRIM_400000_NS6detail17trampoline_kernelINS0_14default_configENS1_27scan_by_key_config_selectorIllEEZZNS1_16scan_by_key_implILNS1_25lookback_scan_determinismE0ELb0ES3_N6thrust23THRUST_200600_302600_NS16reverse_iteratorIPKlEESD_NSA_IPlEElN6hipcub16HIPCUB_304000_NS3MaxENSH_8EqualityElEE10hipError_tPvRmT2_T3_T4_T5_mT6_T7_P12ihipStream_tbENKUlT_T0_E_clISt17integral_constantIbLb1EES10_EEDaSV_SW_EUlSV_E_NS1_11comp_targetILNS1_3genE5ELNS1_11target_archE942ELNS1_3gpuE9ELNS1_3repE0EEENS1_30default_config_static_selectorELNS0_4arch9wavefront6targetE1EEEvT1_.uses_flat_scratch, 0
	.set _ZN7rocprim17ROCPRIM_400000_NS6detail17trampoline_kernelINS0_14default_configENS1_27scan_by_key_config_selectorIllEEZZNS1_16scan_by_key_implILNS1_25lookback_scan_determinismE0ELb0ES3_N6thrust23THRUST_200600_302600_NS16reverse_iteratorIPKlEESD_NSA_IPlEElN6hipcub16HIPCUB_304000_NS3MaxENSH_8EqualityElEE10hipError_tPvRmT2_T3_T4_T5_mT6_T7_P12ihipStream_tbENKUlT_T0_E_clISt17integral_constantIbLb1EES10_EEDaSV_SW_EUlSV_E_NS1_11comp_targetILNS1_3genE5ELNS1_11target_archE942ELNS1_3gpuE9ELNS1_3repE0EEENS1_30default_config_static_selectorELNS0_4arch9wavefront6targetE1EEEvT1_.has_dyn_sized_stack, 0
	.set _ZN7rocprim17ROCPRIM_400000_NS6detail17trampoline_kernelINS0_14default_configENS1_27scan_by_key_config_selectorIllEEZZNS1_16scan_by_key_implILNS1_25lookback_scan_determinismE0ELb0ES3_N6thrust23THRUST_200600_302600_NS16reverse_iteratorIPKlEESD_NSA_IPlEElN6hipcub16HIPCUB_304000_NS3MaxENSH_8EqualityElEE10hipError_tPvRmT2_T3_T4_T5_mT6_T7_P12ihipStream_tbENKUlT_T0_E_clISt17integral_constantIbLb1EES10_EEDaSV_SW_EUlSV_E_NS1_11comp_targetILNS1_3genE5ELNS1_11target_archE942ELNS1_3gpuE9ELNS1_3repE0EEENS1_30default_config_static_selectorELNS0_4arch9wavefront6targetE1EEEvT1_.has_recursion, 0
	.set _ZN7rocprim17ROCPRIM_400000_NS6detail17trampoline_kernelINS0_14default_configENS1_27scan_by_key_config_selectorIllEEZZNS1_16scan_by_key_implILNS1_25lookback_scan_determinismE0ELb0ES3_N6thrust23THRUST_200600_302600_NS16reverse_iteratorIPKlEESD_NSA_IPlEElN6hipcub16HIPCUB_304000_NS3MaxENSH_8EqualityElEE10hipError_tPvRmT2_T3_T4_T5_mT6_T7_P12ihipStream_tbENKUlT_T0_E_clISt17integral_constantIbLb1EES10_EEDaSV_SW_EUlSV_E_NS1_11comp_targetILNS1_3genE5ELNS1_11target_archE942ELNS1_3gpuE9ELNS1_3repE0EEENS1_30default_config_static_selectorELNS0_4arch9wavefront6targetE1EEEvT1_.has_indirect_call, 0
	.section	.AMDGPU.csdata,"",@progbits
; Kernel info:
; codeLenInByte = 0
; TotalNumSgprs: 6
; NumVgprs: 0
; NumAgprs: 0
; TotalNumVgprs: 0
; ScratchSize: 0
; MemoryBound: 0
; FloatMode: 240
; IeeeMode: 1
; LDSByteSize: 0 bytes/workgroup (compile time only)
; SGPRBlocks: 0
; VGPRBlocks: 0
; NumSGPRsForWavesPerEU: 6
; NumVGPRsForWavesPerEU: 1
; AccumOffset: 4
; Occupancy: 8
; WaveLimiterHint : 0
; COMPUTE_PGM_RSRC2:SCRATCH_EN: 0
; COMPUTE_PGM_RSRC2:USER_SGPR: 2
; COMPUTE_PGM_RSRC2:TRAP_HANDLER: 0
; COMPUTE_PGM_RSRC2:TGID_X_EN: 1
; COMPUTE_PGM_RSRC2:TGID_Y_EN: 0
; COMPUTE_PGM_RSRC2:TGID_Z_EN: 0
; COMPUTE_PGM_RSRC2:TIDIG_COMP_CNT: 0
; COMPUTE_PGM_RSRC3_GFX90A:ACCUM_OFFSET: 0
; COMPUTE_PGM_RSRC3_GFX90A:TG_SPLIT: 0
	.section	.text._ZN7rocprim17ROCPRIM_400000_NS6detail17trampoline_kernelINS0_14default_configENS1_27scan_by_key_config_selectorIllEEZZNS1_16scan_by_key_implILNS1_25lookback_scan_determinismE0ELb0ES3_N6thrust23THRUST_200600_302600_NS16reverse_iteratorIPKlEESD_NSA_IPlEElN6hipcub16HIPCUB_304000_NS3MaxENSH_8EqualityElEE10hipError_tPvRmT2_T3_T4_T5_mT6_T7_P12ihipStream_tbENKUlT_T0_E_clISt17integral_constantIbLb1EES10_EEDaSV_SW_EUlSV_E_NS1_11comp_targetILNS1_3genE4ELNS1_11target_archE910ELNS1_3gpuE8ELNS1_3repE0EEENS1_30default_config_static_selectorELNS0_4arch9wavefront6targetE1EEEvT1_,"axG",@progbits,_ZN7rocprim17ROCPRIM_400000_NS6detail17trampoline_kernelINS0_14default_configENS1_27scan_by_key_config_selectorIllEEZZNS1_16scan_by_key_implILNS1_25lookback_scan_determinismE0ELb0ES3_N6thrust23THRUST_200600_302600_NS16reverse_iteratorIPKlEESD_NSA_IPlEElN6hipcub16HIPCUB_304000_NS3MaxENSH_8EqualityElEE10hipError_tPvRmT2_T3_T4_T5_mT6_T7_P12ihipStream_tbENKUlT_T0_E_clISt17integral_constantIbLb1EES10_EEDaSV_SW_EUlSV_E_NS1_11comp_targetILNS1_3genE4ELNS1_11target_archE910ELNS1_3gpuE8ELNS1_3repE0EEENS1_30default_config_static_selectorELNS0_4arch9wavefront6targetE1EEEvT1_,comdat
	.protected	_ZN7rocprim17ROCPRIM_400000_NS6detail17trampoline_kernelINS0_14default_configENS1_27scan_by_key_config_selectorIllEEZZNS1_16scan_by_key_implILNS1_25lookback_scan_determinismE0ELb0ES3_N6thrust23THRUST_200600_302600_NS16reverse_iteratorIPKlEESD_NSA_IPlEElN6hipcub16HIPCUB_304000_NS3MaxENSH_8EqualityElEE10hipError_tPvRmT2_T3_T4_T5_mT6_T7_P12ihipStream_tbENKUlT_T0_E_clISt17integral_constantIbLb1EES10_EEDaSV_SW_EUlSV_E_NS1_11comp_targetILNS1_3genE4ELNS1_11target_archE910ELNS1_3gpuE8ELNS1_3repE0EEENS1_30default_config_static_selectorELNS0_4arch9wavefront6targetE1EEEvT1_ ; -- Begin function _ZN7rocprim17ROCPRIM_400000_NS6detail17trampoline_kernelINS0_14default_configENS1_27scan_by_key_config_selectorIllEEZZNS1_16scan_by_key_implILNS1_25lookback_scan_determinismE0ELb0ES3_N6thrust23THRUST_200600_302600_NS16reverse_iteratorIPKlEESD_NSA_IPlEElN6hipcub16HIPCUB_304000_NS3MaxENSH_8EqualityElEE10hipError_tPvRmT2_T3_T4_T5_mT6_T7_P12ihipStream_tbENKUlT_T0_E_clISt17integral_constantIbLb1EES10_EEDaSV_SW_EUlSV_E_NS1_11comp_targetILNS1_3genE4ELNS1_11target_archE910ELNS1_3gpuE8ELNS1_3repE0EEENS1_30default_config_static_selectorELNS0_4arch9wavefront6targetE1EEEvT1_
	.globl	_ZN7rocprim17ROCPRIM_400000_NS6detail17trampoline_kernelINS0_14default_configENS1_27scan_by_key_config_selectorIllEEZZNS1_16scan_by_key_implILNS1_25lookback_scan_determinismE0ELb0ES3_N6thrust23THRUST_200600_302600_NS16reverse_iteratorIPKlEESD_NSA_IPlEElN6hipcub16HIPCUB_304000_NS3MaxENSH_8EqualityElEE10hipError_tPvRmT2_T3_T4_T5_mT6_T7_P12ihipStream_tbENKUlT_T0_E_clISt17integral_constantIbLb1EES10_EEDaSV_SW_EUlSV_E_NS1_11comp_targetILNS1_3genE4ELNS1_11target_archE910ELNS1_3gpuE8ELNS1_3repE0EEENS1_30default_config_static_selectorELNS0_4arch9wavefront6targetE1EEEvT1_
	.p2align	8
	.type	_ZN7rocprim17ROCPRIM_400000_NS6detail17trampoline_kernelINS0_14default_configENS1_27scan_by_key_config_selectorIllEEZZNS1_16scan_by_key_implILNS1_25lookback_scan_determinismE0ELb0ES3_N6thrust23THRUST_200600_302600_NS16reverse_iteratorIPKlEESD_NSA_IPlEElN6hipcub16HIPCUB_304000_NS3MaxENSH_8EqualityElEE10hipError_tPvRmT2_T3_T4_T5_mT6_T7_P12ihipStream_tbENKUlT_T0_E_clISt17integral_constantIbLb1EES10_EEDaSV_SW_EUlSV_E_NS1_11comp_targetILNS1_3genE4ELNS1_11target_archE910ELNS1_3gpuE8ELNS1_3repE0EEENS1_30default_config_static_selectorELNS0_4arch9wavefront6targetE1EEEvT1_,@function
_ZN7rocprim17ROCPRIM_400000_NS6detail17trampoline_kernelINS0_14default_configENS1_27scan_by_key_config_selectorIllEEZZNS1_16scan_by_key_implILNS1_25lookback_scan_determinismE0ELb0ES3_N6thrust23THRUST_200600_302600_NS16reverse_iteratorIPKlEESD_NSA_IPlEElN6hipcub16HIPCUB_304000_NS3MaxENSH_8EqualityElEE10hipError_tPvRmT2_T3_T4_T5_mT6_T7_P12ihipStream_tbENKUlT_T0_E_clISt17integral_constantIbLb1EES10_EEDaSV_SW_EUlSV_E_NS1_11comp_targetILNS1_3genE4ELNS1_11target_archE910ELNS1_3gpuE8ELNS1_3repE0EEENS1_30default_config_static_selectorELNS0_4arch9wavefront6targetE1EEEvT1_: ; @_ZN7rocprim17ROCPRIM_400000_NS6detail17trampoline_kernelINS0_14default_configENS1_27scan_by_key_config_selectorIllEEZZNS1_16scan_by_key_implILNS1_25lookback_scan_determinismE0ELb0ES3_N6thrust23THRUST_200600_302600_NS16reverse_iteratorIPKlEESD_NSA_IPlEElN6hipcub16HIPCUB_304000_NS3MaxENSH_8EqualityElEE10hipError_tPvRmT2_T3_T4_T5_mT6_T7_P12ihipStream_tbENKUlT_T0_E_clISt17integral_constantIbLb1EES10_EEDaSV_SW_EUlSV_E_NS1_11comp_targetILNS1_3genE4ELNS1_11target_archE910ELNS1_3gpuE8ELNS1_3repE0EEENS1_30default_config_static_selectorELNS0_4arch9wavefront6targetE1EEEvT1_
; %bb.0:
	.section	.rodata,"a",@progbits
	.p2align	6, 0x0
	.amdhsa_kernel _ZN7rocprim17ROCPRIM_400000_NS6detail17trampoline_kernelINS0_14default_configENS1_27scan_by_key_config_selectorIllEEZZNS1_16scan_by_key_implILNS1_25lookback_scan_determinismE0ELb0ES3_N6thrust23THRUST_200600_302600_NS16reverse_iteratorIPKlEESD_NSA_IPlEElN6hipcub16HIPCUB_304000_NS3MaxENSH_8EqualityElEE10hipError_tPvRmT2_T3_T4_T5_mT6_T7_P12ihipStream_tbENKUlT_T0_E_clISt17integral_constantIbLb1EES10_EEDaSV_SW_EUlSV_E_NS1_11comp_targetILNS1_3genE4ELNS1_11target_archE910ELNS1_3gpuE8ELNS1_3repE0EEENS1_30default_config_static_selectorELNS0_4arch9wavefront6targetE1EEEvT1_
		.amdhsa_group_segment_fixed_size 0
		.amdhsa_private_segment_fixed_size 0
		.amdhsa_kernarg_size 136
		.amdhsa_user_sgpr_count 2
		.amdhsa_user_sgpr_dispatch_ptr 0
		.amdhsa_user_sgpr_queue_ptr 0
		.amdhsa_user_sgpr_kernarg_segment_ptr 1
		.amdhsa_user_sgpr_dispatch_id 0
		.amdhsa_user_sgpr_kernarg_preload_length 0
		.amdhsa_user_sgpr_kernarg_preload_offset 0
		.amdhsa_user_sgpr_private_segment_size 0
		.amdhsa_uses_dynamic_stack 0
		.amdhsa_enable_private_segment 0
		.amdhsa_system_sgpr_workgroup_id_x 1
		.amdhsa_system_sgpr_workgroup_id_y 0
		.amdhsa_system_sgpr_workgroup_id_z 0
		.amdhsa_system_sgpr_workgroup_info 0
		.amdhsa_system_vgpr_workitem_id 0
		.amdhsa_next_free_vgpr 1
		.amdhsa_next_free_sgpr 0
		.amdhsa_accum_offset 4
		.amdhsa_reserve_vcc 0
		.amdhsa_float_round_mode_32 0
		.amdhsa_float_round_mode_16_64 0
		.amdhsa_float_denorm_mode_32 3
		.amdhsa_float_denorm_mode_16_64 3
		.amdhsa_dx10_clamp 1
		.amdhsa_ieee_mode 1
		.amdhsa_fp16_overflow 0
		.amdhsa_tg_split 0
		.amdhsa_exception_fp_ieee_invalid_op 0
		.amdhsa_exception_fp_denorm_src 0
		.amdhsa_exception_fp_ieee_div_zero 0
		.amdhsa_exception_fp_ieee_overflow 0
		.amdhsa_exception_fp_ieee_underflow 0
		.amdhsa_exception_fp_ieee_inexact 0
		.amdhsa_exception_int_div_zero 0
	.end_amdhsa_kernel
	.section	.text._ZN7rocprim17ROCPRIM_400000_NS6detail17trampoline_kernelINS0_14default_configENS1_27scan_by_key_config_selectorIllEEZZNS1_16scan_by_key_implILNS1_25lookback_scan_determinismE0ELb0ES3_N6thrust23THRUST_200600_302600_NS16reverse_iteratorIPKlEESD_NSA_IPlEElN6hipcub16HIPCUB_304000_NS3MaxENSH_8EqualityElEE10hipError_tPvRmT2_T3_T4_T5_mT6_T7_P12ihipStream_tbENKUlT_T0_E_clISt17integral_constantIbLb1EES10_EEDaSV_SW_EUlSV_E_NS1_11comp_targetILNS1_3genE4ELNS1_11target_archE910ELNS1_3gpuE8ELNS1_3repE0EEENS1_30default_config_static_selectorELNS0_4arch9wavefront6targetE1EEEvT1_,"axG",@progbits,_ZN7rocprim17ROCPRIM_400000_NS6detail17trampoline_kernelINS0_14default_configENS1_27scan_by_key_config_selectorIllEEZZNS1_16scan_by_key_implILNS1_25lookback_scan_determinismE0ELb0ES3_N6thrust23THRUST_200600_302600_NS16reverse_iteratorIPKlEESD_NSA_IPlEElN6hipcub16HIPCUB_304000_NS3MaxENSH_8EqualityElEE10hipError_tPvRmT2_T3_T4_T5_mT6_T7_P12ihipStream_tbENKUlT_T0_E_clISt17integral_constantIbLb1EES10_EEDaSV_SW_EUlSV_E_NS1_11comp_targetILNS1_3genE4ELNS1_11target_archE910ELNS1_3gpuE8ELNS1_3repE0EEENS1_30default_config_static_selectorELNS0_4arch9wavefront6targetE1EEEvT1_,comdat
.Lfunc_end150:
	.size	_ZN7rocprim17ROCPRIM_400000_NS6detail17trampoline_kernelINS0_14default_configENS1_27scan_by_key_config_selectorIllEEZZNS1_16scan_by_key_implILNS1_25lookback_scan_determinismE0ELb0ES3_N6thrust23THRUST_200600_302600_NS16reverse_iteratorIPKlEESD_NSA_IPlEElN6hipcub16HIPCUB_304000_NS3MaxENSH_8EqualityElEE10hipError_tPvRmT2_T3_T4_T5_mT6_T7_P12ihipStream_tbENKUlT_T0_E_clISt17integral_constantIbLb1EES10_EEDaSV_SW_EUlSV_E_NS1_11comp_targetILNS1_3genE4ELNS1_11target_archE910ELNS1_3gpuE8ELNS1_3repE0EEENS1_30default_config_static_selectorELNS0_4arch9wavefront6targetE1EEEvT1_, .Lfunc_end150-_ZN7rocprim17ROCPRIM_400000_NS6detail17trampoline_kernelINS0_14default_configENS1_27scan_by_key_config_selectorIllEEZZNS1_16scan_by_key_implILNS1_25lookback_scan_determinismE0ELb0ES3_N6thrust23THRUST_200600_302600_NS16reverse_iteratorIPKlEESD_NSA_IPlEElN6hipcub16HIPCUB_304000_NS3MaxENSH_8EqualityElEE10hipError_tPvRmT2_T3_T4_T5_mT6_T7_P12ihipStream_tbENKUlT_T0_E_clISt17integral_constantIbLb1EES10_EEDaSV_SW_EUlSV_E_NS1_11comp_targetILNS1_3genE4ELNS1_11target_archE910ELNS1_3gpuE8ELNS1_3repE0EEENS1_30default_config_static_selectorELNS0_4arch9wavefront6targetE1EEEvT1_
                                        ; -- End function
	.set _ZN7rocprim17ROCPRIM_400000_NS6detail17trampoline_kernelINS0_14default_configENS1_27scan_by_key_config_selectorIllEEZZNS1_16scan_by_key_implILNS1_25lookback_scan_determinismE0ELb0ES3_N6thrust23THRUST_200600_302600_NS16reverse_iteratorIPKlEESD_NSA_IPlEElN6hipcub16HIPCUB_304000_NS3MaxENSH_8EqualityElEE10hipError_tPvRmT2_T3_T4_T5_mT6_T7_P12ihipStream_tbENKUlT_T0_E_clISt17integral_constantIbLb1EES10_EEDaSV_SW_EUlSV_E_NS1_11comp_targetILNS1_3genE4ELNS1_11target_archE910ELNS1_3gpuE8ELNS1_3repE0EEENS1_30default_config_static_selectorELNS0_4arch9wavefront6targetE1EEEvT1_.num_vgpr, 0
	.set _ZN7rocprim17ROCPRIM_400000_NS6detail17trampoline_kernelINS0_14default_configENS1_27scan_by_key_config_selectorIllEEZZNS1_16scan_by_key_implILNS1_25lookback_scan_determinismE0ELb0ES3_N6thrust23THRUST_200600_302600_NS16reverse_iteratorIPKlEESD_NSA_IPlEElN6hipcub16HIPCUB_304000_NS3MaxENSH_8EqualityElEE10hipError_tPvRmT2_T3_T4_T5_mT6_T7_P12ihipStream_tbENKUlT_T0_E_clISt17integral_constantIbLb1EES10_EEDaSV_SW_EUlSV_E_NS1_11comp_targetILNS1_3genE4ELNS1_11target_archE910ELNS1_3gpuE8ELNS1_3repE0EEENS1_30default_config_static_selectorELNS0_4arch9wavefront6targetE1EEEvT1_.num_agpr, 0
	.set _ZN7rocprim17ROCPRIM_400000_NS6detail17trampoline_kernelINS0_14default_configENS1_27scan_by_key_config_selectorIllEEZZNS1_16scan_by_key_implILNS1_25lookback_scan_determinismE0ELb0ES3_N6thrust23THRUST_200600_302600_NS16reverse_iteratorIPKlEESD_NSA_IPlEElN6hipcub16HIPCUB_304000_NS3MaxENSH_8EqualityElEE10hipError_tPvRmT2_T3_T4_T5_mT6_T7_P12ihipStream_tbENKUlT_T0_E_clISt17integral_constantIbLb1EES10_EEDaSV_SW_EUlSV_E_NS1_11comp_targetILNS1_3genE4ELNS1_11target_archE910ELNS1_3gpuE8ELNS1_3repE0EEENS1_30default_config_static_selectorELNS0_4arch9wavefront6targetE1EEEvT1_.numbered_sgpr, 0
	.set _ZN7rocprim17ROCPRIM_400000_NS6detail17trampoline_kernelINS0_14default_configENS1_27scan_by_key_config_selectorIllEEZZNS1_16scan_by_key_implILNS1_25lookback_scan_determinismE0ELb0ES3_N6thrust23THRUST_200600_302600_NS16reverse_iteratorIPKlEESD_NSA_IPlEElN6hipcub16HIPCUB_304000_NS3MaxENSH_8EqualityElEE10hipError_tPvRmT2_T3_T4_T5_mT6_T7_P12ihipStream_tbENKUlT_T0_E_clISt17integral_constantIbLb1EES10_EEDaSV_SW_EUlSV_E_NS1_11comp_targetILNS1_3genE4ELNS1_11target_archE910ELNS1_3gpuE8ELNS1_3repE0EEENS1_30default_config_static_selectorELNS0_4arch9wavefront6targetE1EEEvT1_.num_named_barrier, 0
	.set _ZN7rocprim17ROCPRIM_400000_NS6detail17trampoline_kernelINS0_14default_configENS1_27scan_by_key_config_selectorIllEEZZNS1_16scan_by_key_implILNS1_25lookback_scan_determinismE0ELb0ES3_N6thrust23THRUST_200600_302600_NS16reverse_iteratorIPKlEESD_NSA_IPlEElN6hipcub16HIPCUB_304000_NS3MaxENSH_8EqualityElEE10hipError_tPvRmT2_T3_T4_T5_mT6_T7_P12ihipStream_tbENKUlT_T0_E_clISt17integral_constantIbLb1EES10_EEDaSV_SW_EUlSV_E_NS1_11comp_targetILNS1_3genE4ELNS1_11target_archE910ELNS1_3gpuE8ELNS1_3repE0EEENS1_30default_config_static_selectorELNS0_4arch9wavefront6targetE1EEEvT1_.private_seg_size, 0
	.set _ZN7rocprim17ROCPRIM_400000_NS6detail17trampoline_kernelINS0_14default_configENS1_27scan_by_key_config_selectorIllEEZZNS1_16scan_by_key_implILNS1_25lookback_scan_determinismE0ELb0ES3_N6thrust23THRUST_200600_302600_NS16reverse_iteratorIPKlEESD_NSA_IPlEElN6hipcub16HIPCUB_304000_NS3MaxENSH_8EqualityElEE10hipError_tPvRmT2_T3_T4_T5_mT6_T7_P12ihipStream_tbENKUlT_T0_E_clISt17integral_constantIbLb1EES10_EEDaSV_SW_EUlSV_E_NS1_11comp_targetILNS1_3genE4ELNS1_11target_archE910ELNS1_3gpuE8ELNS1_3repE0EEENS1_30default_config_static_selectorELNS0_4arch9wavefront6targetE1EEEvT1_.uses_vcc, 0
	.set _ZN7rocprim17ROCPRIM_400000_NS6detail17trampoline_kernelINS0_14default_configENS1_27scan_by_key_config_selectorIllEEZZNS1_16scan_by_key_implILNS1_25lookback_scan_determinismE0ELb0ES3_N6thrust23THRUST_200600_302600_NS16reverse_iteratorIPKlEESD_NSA_IPlEElN6hipcub16HIPCUB_304000_NS3MaxENSH_8EqualityElEE10hipError_tPvRmT2_T3_T4_T5_mT6_T7_P12ihipStream_tbENKUlT_T0_E_clISt17integral_constantIbLb1EES10_EEDaSV_SW_EUlSV_E_NS1_11comp_targetILNS1_3genE4ELNS1_11target_archE910ELNS1_3gpuE8ELNS1_3repE0EEENS1_30default_config_static_selectorELNS0_4arch9wavefront6targetE1EEEvT1_.uses_flat_scratch, 0
	.set _ZN7rocprim17ROCPRIM_400000_NS6detail17trampoline_kernelINS0_14default_configENS1_27scan_by_key_config_selectorIllEEZZNS1_16scan_by_key_implILNS1_25lookback_scan_determinismE0ELb0ES3_N6thrust23THRUST_200600_302600_NS16reverse_iteratorIPKlEESD_NSA_IPlEElN6hipcub16HIPCUB_304000_NS3MaxENSH_8EqualityElEE10hipError_tPvRmT2_T3_T4_T5_mT6_T7_P12ihipStream_tbENKUlT_T0_E_clISt17integral_constantIbLb1EES10_EEDaSV_SW_EUlSV_E_NS1_11comp_targetILNS1_3genE4ELNS1_11target_archE910ELNS1_3gpuE8ELNS1_3repE0EEENS1_30default_config_static_selectorELNS0_4arch9wavefront6targetE1EEEvT1_.has_dyn_sized_stack, 0
	.set _ZN7rocprim17ROCPRIM_400000_NS6detail17trampoline_kernelINS0_14default_configENS1_27scan_by_key_config_selectorIllEEZZNS1_16scan_by_key_implILNS1_25lookback_scan_determinismE0ELb0ES3_N6thrust23THRUST_200600_302600_NS16reverse_iteratorIPKlEESD_NSA_IPlEElN6hipcub16HIPCUB_304000_NS3MaxENSH_8EqualityElEE10hipError_tPvRmT2_T3_T4_T5_mT6_T7_P12ihipStream_tbENKUlT_T0_E_clISt17integral_constantIbLb1EES10_EEDaSV_SW_EUlSV_E_NS1_11comp_targetILNS1_3genE4ELNS1_11target_archE910ELNS1_3gpuE8ELNS1_3repE0EEENS1_30default_config_static_selectorELNS0_4arch9wavefront6targetE1EEEvT1_.has_recursion, 0
	.set _ZN7rocprim17ROCPRIM_400000_NS6detail17trampoline_kernelINS0_14default_configENS1_27scan_by_key_config_selectorIllEEZZNS1_16scan_by_key_implILNS1_25lookback_scan_determinismE0ELb0ES3_N6thrust23THRUST_200600_302600_NS16reverse_iteratorIPKlEESD_NSA_IPlEElN6hipcub16HIPCUB_304000_NS3MaxENSH_8EqualityElEE10hipError_tPvRmT2_T3_T4_T5_mT6_T7_P12ihipStream_tbENKUlT_T0_E_clISt17integral_constantIbLb1EES10_EEDaSV_SW_EUlSV_E_NS1_11comp_targetILNS1_3genE4ELNS1_11target_archE910ELNS1_3gpuE8ELNS1_3repE0EEENS1_30default_config_static_selectorELNS0_4arch9wavefront6targetE1EEEvT1_.has_indirect_call, 0
	.section	.AMDGPU.csdata,"",@progbits
; Kernel info:
; codeLenInByte = 0
; TotalNumSgprs: 6
; NumVgprs: 0
; NumAgprs: 0
; TotalNumVgprs: 0
; ScratchSize: 0
; MemoryBound: 0
; FloatMode: 240
; IeeeMode: 1
; LDSByteSize: 0 bytes/workgroup (compile time only)
; SGPRBlocks: 0
; VGPRBlocks: 0
; NumSGPRsForWavesPerEU: 6
; NumVGPRsForWavesPerEU: 1
; AccumOffset: 4
; Occupancy: 8
; WaveLimiterHint : 0
; COMPUTE_PGM_RSRC2:SCRATCH_EN: 0
; COMPUTE_PGM_RSRC2:USER_SGPR: 2
; COMPUTE_PGM_RSRC2:TRAP_HANDLER: 0
; COMPUTE_PGM_RSRC2:TGID_X_EN: 1
; COMPUTE_PGM_RSRC2:TGID_Y_EN: 0
; COMPUTE_PGM_RSRC2:TGID_Z_EN: 0
; COMPUTE_PGM_RSRC2:TIDIG_COMP_CNT: 0
; COMPUTE_PGM_RSRC3_GFX90A:ACCUM_OFFSET: 0
; COMPUTE_PGM_RSRC3_GFX90A:TG_SPLIT: 0
	.section	.text._ZN7rocprim17ROCPRIM_400000_NS6detail17trampoline_kernelINS0_14default_configENS1_27scan_by_key_config_selectorIllEEZZNS1_16scan_by_key_implILNS1_25lookback_scan_determinismE0ELb0ES3_N6thrust23THRUST_200600_302600_NS16reverse_iteratorIPKlEESD_NSA_IPlEElN6hipcub16HIPCUB_304000_NS3MaxENSH_8EqualityElEE10hipError_tPvRmT2_T3_T4_T5_mT6_T7_P12ihipStream_tbENKUlT_T0_E_clISt17integral_constantIbLb1EES10_EEDaSV_SW_EUlSV_E_NS1_11comp_targetILNS1_3genE3ELNS1_11target_archE908ELNS1_3gpuE7ELNS1_3repE0EEENS1_30default_config_static_selectorELNS0_4arch9wavefront6targetE1EEEvT1_,"axG",@progbits,_ZN7rocprim17ROCPRIM_400000_NS6detail17trampoline_kernelINS0_14default_configENS1_27scan_by_key_config_selectorIllEEZZNS1_16scan_by_key_implILNS1_25lookback_scan_determinismE0ELb0ES3_N6thrust23THRUST_200600_302600_NS16reverse_iteratorIPKlEESD_NSA_IPlEElN6hipcub16HIPCUB_304000_NS3MaxENSH_8EqualityElEE10hipError_tPvRmT2_T3_T4_T5_mT6_T7_P12ihipStream_tbENKUlT_T0_E_clISt17integral_constantIbLb1EES10_EEDaSV_SW_EUlSV_E_NS1_11comp_targetILNS1_3genE3ELNS1_11target_archE908ELNS1_3gpuE7ELNS1_3repE0EEENS1_30default_config_static_selectorELNS0_4arch9wavefront6targetE1EEEvT1_,comdat
	.protected	_ZN7rocprim17ROCPRIM_400000_NS6detail17trampoline_kernelINS0_14default_configENS1_27scan_by_key_config_selectorIllEEZZNS1_16scan_by_key_implILNS1_25lookback_scan_determinismE0ELb0ES3_N6thrust23THRUST_200600_302600_NS16reverse_iteratorIPKlEESD_NSA_IPlEElN6hipcub16HIPCUB_304000_NS3MaxENSH_8EqualityElEE10hipError_tPvRmT2_T3_T4_T5_mT6_T7_P12ihipStream_tbENKUlT_T0_E_clISt17integral_constantIbLb1EES10_EEDaSV_SW_EUlSV_E_NS1_11comp_targetILNS1_3genE3ELNS1_11target_archE908ELNS1_3gpuE7ELNS1_3repE0EEENS1_30default_config_static_selectorELNS0_4arch9wavefront6targetE1EEEvT1_ ; -- Begin function _ZN7rocprim17ROCPRIM_400000_NS6detail17trampoline_kernelINS0_14default_configENS1_27scan_by_key_config_selectorIllEEZZNS1_16scan_by_key_implILNS1_25lookback_scan_determinismE0ELb0ES3_N6thrust23THRUST_200600_302600_NS16reverse_iteratorIPKlEESD_NSA_IPlEElN6hipcub16HIPCUB_304000_NS3MaxENSH_8EqualityElEE10hipError_tPvRmT2_T3_T4_T5_mT6_T7_P12ihipStream_tbENKUlT_T0_E_clISt17integral_constantIbLb1EES10_EEDaSV_SW_EUlSV_E_NS1_11comp_targetILNS1_3genE3ELNS1_11target_archE908ELNS1_3gpuE7ELNS1_3repE0EEENS1_30default_config_static_selectorELNS0_4arch9wavefront6targetE1EEEvT1_
	.globl	_ZN7rocprim17ROCPRIM_400000_NS6detail17trampoline_kernelINS0_14default_configENS1_27scan_by_key_config_selectorIllEEZZNS1_16scan_by_key_implILNS1_25lookback_scan_determinismE0ELb0ES3_N6thrust23THRUST_200600_302600_NS16reverse_iteratorIPKlEESD_NSA_IPlEElN6hipcub16HIPCUB_304000_NS3MaxENSH_8EqualityElEE10hipError_tPvRmT2_T3_T4_T5_mT6_T7_P12ihipStream_tbENKUlT_T0_E_clISt17integral_constantIbLb1EES10_EEDaSV_SW_EUlSV_E_NS1_11comp_targetILNS1_3genE3ELNS1_11target_archE908ELNS1_3gpuE7ELNS1_3repE0EEENS1_30default_config_static_selectorELNS0_4arch9wavefront6targetE1EEEvT1_
	.p2align	8
	.type	_ZN7rocprim17ROCPRIM_400000_NS6detail17trampoline_kernelINS0_14default_configENS1_27scan_by_key_config_selectorIllEEZZNS1_16scan_by_key_implILNS1_25lookback_scan_determinismE0ELb0ES3_N6thrust23THRUST_200600_302600_NS16reverse_iteratorIPKlEESD_NSA_IPlEElN6hipcub16HIPCUB_304000_NS3MaxENSH_8EqualityElEE10hipError_tPvRmT2_T3_T4_T5_mT6_T7_P12ihipStream_tbENKUlT_T0_E_clISt17integral_constantIbLb1EES10_EEDaSV_SW_EUlSV_E_NS1_11comp_targetILNS1_3genE3ELNS1_11target_archE908ELNS1_3gpuE7ELNS1_3repE0EEENS1_30default_config_static_selectorELNS0_4arch9wavefront6targetE1EEEvT1_,@function
_ZN7rocprim17ROCPRIM_400000_NS6detail17trampoline_kernelINS0_14default_configENS1_27scan_by_key_config_selectorIllEEZZNS1_16scan_by_key_implILNS1_25lookback_scan_determinismE0ELb0ES3_N6thrust23THRUST_200600_302600_NS16reverse_iteratorIPKlEESD_NSA_IPlEElN6hipcub16HIPCUB_304000_NS3MaxENSH_8EqualityElEE10hipError_tPvRmT2_T3_T4_T5_mT6_T7_P12ihipStream_tbENKUlT_T0_E_clISt17integral_constantIbLb1EES10_EEDaSV_SW_EUlSV_E_NS1_11comp_targetILNS1_3genE3ELNS1_11target_archE908ELNS1_3gpuE7ELNS1_3repE0EEENS1_30default_config_static_selectorELNS0_4arch9wavefront6targetE1EEEvT1_: ; @_ZN7rocprim17ROCPRIM_400000_NS6detail17trampoline_kernelINS0_14default_configENS1_27scan_by_key_config_selectorIllEEZZNS1_16scan_by_key_implILNS1_25lookback_scan_determinismE0ELb0ES3_N6thrust23THRUST_200600_302600_NS16reverse_iteratorIPKlEESD_NSA_IPlEElN6hipcub16HIPCUB_304000_NS3MaxENSH_8EqualityElEE10hipError_tPvRmT2_T3_T4_T5_mT6_T7_P12ihipStream_tbENKUlT_T0_E_clISt17integral_constantIbLb1EES10_EEDaSV_SW_EUlSV_E_NS1_11comp_targetILNS1_3genE3ELNS1_11target_archE908ELNS1_3gpuE7ELNS1_3repE0EEENS1_30default_config_static_selectorELNS0_4arch9wavefront6targetE1EEEvT1_
; %bb.0:
	.section	.rodata,"a",@progbits
	.p2align	6, 0x0
	.amdhsa_kernel _ZN7rocprim17ROCPRIM_400000_NS6detail17trampoline_kernelINS0_14default_configENS1_27scan_by_key_config_selectorIllEEZZNS1_16scan_by_key_implILNS1_25lookback_scan_determinismE0ELb0ES3_N6thrust23THRUST_200600_302600_NS16reverse_iteratorIPKlEESD_NSA_IPlEElN6hipcub16HIPCUB_304000_NS3MaxENSH_8EqualityElEE10hipError_tPvRmT2_T3_T4_T5_mT6_T7_P12ihipStream_tbENKUlT_T0_E_clISt17integral_constantIbLb1EES10_EEDaSV_SW_EUlSV_E_NS1_11comp_targetILNS1_3genE3ELNS1_11target_archE908ELNS1_3gpuE7ELNS1_3repE0EEENS1_30default_config_static_selectorELNS0_4arch9wavefront6targetE1EEEvT1_
		.amdhsa_group_segment_fixed_size 0
		.amdhsa_private_segment_fixed_size 0
		.amdhsa_kernarg_size 136
		.amdhsa_user_sgpr_count 2
		.amdhsa_user_sgpr_dispatch_ptr 0
		.amdhsa_user_sgpr_queue_ptr 0
		.amdhsa_user_sgpr_kernarg_segment_ptr 1
		.amdhsa_user_sgpr_dispatch_id 0
		.amdhsa_user_sgpr_kernarg_preload_length 0
		.amdhsa_user_sgpr_kernarg_preload_offset 0
		.amdhsa_user_sgpr_private_segment_size 0
		.amdhsa_uses_dynamic_stack 0
		.amdhsa_enable_private_segment 0
		.amdhsa_system_sgpr_workgroup_id_x 1
		.amdhsa_system_sgpr_workgroup_id_y 0
		.amdhsa_system_sgpr_workgroup_id_z 0
		.amdhsa_system_sgpr_workgroup_info 0
		.amdhsa_system_vgpr_workitem_id 0
		.amdhsa_next_free_vgpr 1
		.amdhsa_next_free_sgpr 0
		.amdhsa_accum_offset 4
		.amdhsa_reserve_vcc 0
		.amdhsa_float_round_mode_32 0
		.amdhsa_float_round_mode_16_64 0
		.amdhsa_float_denorm_mode_32 3
		.amdhsa_float_denorm_mode_16_64 3
		.amdhsa_dx10_clamp 1
		.amdhsa_ieee_mode 1
		.amdhsa_fp16_overflow 0
		.amdhsa_tg_split 0
		.amdhsa_exception_fp_ieee_invalid_op 0
		.amdhsa_exception_fp_denorm_src 0
		.amdhsa_exception_fp_ieee_div_zero 0
		.amdhsa_exception_fp_ieee_overflow 0
		.amdhsa_exception_fp_ieee_underflow 0
		.amdhsa_exception_fp_ieee_inexact 0
		.amdhsa_exception_int_div_zero 0
	.end_amdhsa_kernel
	.section	.text._ZN7rocprim17ROCPRIM_400000_NS6detail17trampoline_kernelINS0_14default_configENS1_27scan_by_key_config_selectorIllEEZZNS1_16scan_by_key_implILNS1_25lookback_scan_determinismE0ELb0ES3_N6thrust23THRUST_200600_302600_NS16reverse_iteratorIPKlEESD_NSA_IPlEElN6hipcub16HIPCUB_304000_NS3MaxENSH_8EqualityElEE10hipError_tPvRmT2_T3_T4_T5_mT6_T7_P12ihipStream_tbENKUlT_T0_E_clISt17integral_constantIbLb1EES10_EEDaSV_SW_EUlSV_E_NS1_11comp_targetILNS1_3genE3ELNS1_11target_archE908ELNS1_3gpuE7ELNS1_3repE0EEENS1_30default_config_static_selectorELNS0_4arch9wavefront6targetE1EEEvT1_,"axG",@progbits,_ZN7rocprim17ROCPRIM_400000_NS6detail17trampoline_kernelINS0_14default_configENS1_27scan_by_key_config_selectorIllEEZZNS1_16scan_by_key_implILNS1_25lookback_scan_determinismE0ELb0ES3_N6thrust23THRUST_200600_302600_NS16reverse_iteratorIPKlEESD_NSA_IPlEElN6hipcub16HIPCUB_304000_NS3MaxENSH_8EqualityElEE10hipError_tPvRmT2_T3_T4_T5_mT6_T7_P12ihipStream_tbENKUlT_T0_E_clISt17integral_constantIbLb1EES10_EEDaSV_SW_EUlSV_E_NS1_11comp_targetILNS1_3genE3ELNS1_11target_archE908ELNS1_3gpuE7ELNS1_3repE0EEENS1_30default_config_static_selectorELNS0_4arch9wavefront6targetE1EEEvT1_,comdat
.Lfunc_end151:
	.size	_ZN7rocprim17ROCPRIM_400000_NS6detail17trampoline_kernelINS0_14default_configENS1_27scan_by_key_config_selectorIllEEZZNS1_16scan_by_key_implILNS1_25lookback_scan_determinismE0ELb0ES3_N6thrust23THRUST_200600_302600_NS16reverse_iteratorIPKlEESD_NSA_IPlEElN6hipcub16HIPCUB_304000_NS3MaxENSH_8EqualityElEE10hipError_tPvRmT2_T3_T4_T5_mT6_T7_P12ihipStream_tbENKUlT_T0_E_clISt17integral_constantIbLb1EES10_EEDaSV_SW_EUlSV_E_NS1_11comp_targetILNS1_3genE3ELNS1_11target_archE908ELNS1_3gpuE7ELNS1_3repE0EEENS1_30default_config_static_selectorELNS0_4arch9wavefront6targetE1EEEvT1_, .Lfunc_end151-_ZN7rocprim17ROCPRIM_400000_NS6detail17trampoline_kernelINS0_14default_configENS1_27scan_by_key_config_selectorIllEEZZNS1_16scan_by_key_implILNS1_25lookback_scan_determinismE0ELb0ES3_N6thrust23THRUST_200600_302600_NS16reverse_iteratorIPKlEESD_NSA_IPlEElN6hipcub16HIPCUB_304000_NS3MaxENSH_8EqualityElEE10hipError_tPvRmT2_T3_T4_T5_mT6_T7_P12ihipStream_tbENKUlT_T0_E_clISt17integral_constantIbLb1EES10_EEDaSV_SW_EUlSV_E_NS1_11comp_targetILNS1_3genE3ELNS1_11target_archE908ELNS1_3gpuE7ELNS1_3repE0EEENS1_30default_config_static_selectorELNS0_4arch9wavefront6targetE1EEEvT1_
                                        ; -- End function
	.set _ZN7rocprim17ROCPRIM_400000_NS6detail17trampoline_kernelINS0_14default_configENS1_27scan_by_key_config_selectorIllEEZZNS1_16scan_by_key_implILNS1_25lookback_scan_determinismE0ELb0ES3_N6thrust23THRUST_200600_302600_NS16reverse_iteratorIPKlEESD_NSA_IPlEElN6hipcub16HIPCUB_304000_NS3MaxENSH_8EqualityElEE10hipError_tPvRmT2_T3_T4_T5_mT6_T7_P12ihipStream_tbENKUlT_T0_E_clISt17integral_constantIbLb1EES10_EEDaSV_SW_EUlSV_E_NS1_11comp_targetILNS1_3genE3ELNS1_11target_archE908ELNS1_3gpuE7ELNS1_3repE0EEENS1_30default_config_static_selectorELNS0_4arch9wavefront6targetE1EEEvT1_.num_vgpr, 0
	.set _ZN7rocprim17ROCPRIM_400000_NS6detail17trampoline_kernelINS0_14default_configENS1_27scan_by_key_config_selectorIllEEZZNS1_16scan_by_key_implILNS1_25lookback_scan_determinismE0ELb0ES3_N6thrust23THRUST_200600_302600_NS16reverse_iteratorIPKlEESD_NSA_IPlEElN6hipcub16HIPCUB_304000_NS3MaxENSH_8EqualityElEE10hipError_tPvRmT2_T3_T4_T5_mT6_T7_P12ihipStream_tbENKUlT_T0_E_clISt17integral_constantIbLb1EES10_EEDaSV_SW_EUlSV_E_NS1_11comp_targetILNS1_3genE3ELNS1_11target_archE908ELNS1_3gpuE7ELNS1_3repE0EEENS1_30default_config_static_selectorELNS0_4arch9wavefront6targetE1EEEvT1_.num_agpr, 0
	.set _ZN7rocprim17ROCPRIM_400000_NS6detail17trampoline_kernelINS0_14default_configENS1_27scan_by_key_config_selectorIllEEZZNS1_16scan_by_key_implILNS1_25lookback_scan_determinismE0ELb0ES3_N6thrust23THRUST_200600_302600_NS16reverse_iteratorIPKlEESD_NSA_IPlEElN6hipcub16HIPCUB_304000_NS3MaxENSH_8EqualityElEE10hipError_tPvRmT2_T3_T4_T5_mT6_T7_P12ihipStream_tbENKUlT_T0_E_clISt17integral_constantIbLb1EES10_EEDaSV_SW_EUlSV_E_NS1_11comp_targetILNS1_3genE3ELNS1_11target_archE908ELNS1_3gpuE7ELNS1_3repE0EEENS1_30default_config_static_selectorELNS0_4arch9wavefront6targetE1EEEvT1_.numbered_sgpr, 0
	.set _ZN7rocprim17ROCPRIM_400000_NS6detail17trampoline_kernelINS0_14default_configENS1_27scan_by_key_config_selectorIllEEZZNS1_16scan_by_key_implILNS1_25lookback_scan_determinismE0ELb0ES3_N6thrust23THRUST_200600_302600_NS16reverse_iteratorIPKlEESD_NSA_IPlEElN6hipcub16HIPCUB_304000_NS3MaxENSH_8EqualityElEE10hipError_tPvRmT2_T3_T4_T5_mT6_T7_P12ihipStream_tbENKUlT_T0_E_clISt17integral_constantIbLb1EES10_EEDaSV_SW_EUlSV_E_NS1_11comp_targetILNS1_3genE3ELNS1_11target_archE908ELNS1_3gpuE7ELNS1_3repE0EEENS1_30default_config_static_selectorELNS0_4arch9wavefront6targetE1EEEvT1_.num_named_barrier, 0
	.set _ZN7rocprim17ROCPRIM_400000_NS6detail17trampoline_kernelINS0_14default_configENS1_27scan_by_key_config_selectorIllEEZZNS1_16scan_by_key_implILNS1_25lookback_scan_determinismE0ELb0ES3_N6thrust23THRUST_200600_302600_NS16reverse_iteratorIPKlEESD_NSA_IPlEElN6hipcub16HIPCUB_304000_NS3MaxENSH_8EqualityElEE10hipError_tPvRmT2_T3_T4_T5_mT6_T7_P12ihipStream_tbENKUlT_T0_E_clISt17integral_constantIbLb1EES10_EEDaSV_SW_EUlSV_E_NS1_11comp_targetILNS1_3genE3ELNS1_11target_archE908ELNS1_3gpuE7ELNS1_3repE0EEENS1_30default_config_static_selectorELNS0_4arch9wavefront6targetE1EEEvT1_.private_seg_size, 0
	.set _ZN7rocprim17ROCPRIM_400000_NS6detail17trampoline_kernelINS0_14default_configENS1_27scan_by_key_config_selectorIllEEZZNS1_16scan_by_key_implILNS1_25lookback_scan_determinismE0ELb0ES3_N6thrust23THRUST_200600_302600_NS16reverse_iteratorIPKlEESD_NSA_IPlEElN6hipcub16HIPCUB_304000_NS3MaxENSH_8EqualityElEE10hipError_tPvRmT2_T3_T4_T5_mT6_T7_P12ihipStream_tbENKUlT_T0_E_clISt17integral_constantIbLb1EES10_EEDaSV_SW_EUlSV_E_NS1_11comp_targetILNS1_3genE3ELNS1_11target_archE908ELNS1_3gpuE7ELNS1_3repE0EEENS1_30default_config_static_selectorELNS0_4arch9wavefront6targetE1EEEvT1_.uses_vcc, 0
	.set _ZN7rocprim17ROCPRIM_400000_NS6detail17trampoline_kernelINS0_14default_configENS1_27scan_by_key_config_selectorIllEEZZNS1_16scan_by_key_implILNS1_25lookback_scan_determinismE0ELb0ES3_N6thrust23THRUST_200600_302600_NS16reverse_iteratorIPKlEESD_NSA_IPlEElN6hipcub16HIPCUB_304000_NS3MaxENSH_8EqualityElEE10hipError_tPvRmT2_T3_T4_T5_mT6_T7_P12ihipStream_tbENKUlT_T0_E_clISt17integral_constantIbLb1EES10_EEDaSV_SW_EUlSV_E_NS1_11comp_targetILNS1_3genE3ELNS1_11target_archE908ELNS1_3gpuE7ELNS1_3repE0EEENS1_30default_config_static_selectorELNS0_4arch9wavefront6targetE1EEEvT1_.uses_flat_scratch, 0
	.set _ZN7rocprim17ROCPRIM_400000_NS6detail17trampoline_kernelINS0_14default_configENS1_27scan_by_key_config_selectorIllEEZZNS1_16scan_by_key_implILNS1_25lookback_scan_determinismE0ELb0ES3_N6thrust23THRUST_200600_302600_NS16reverse_iteratorIPKlEESD_NSA_IPlEElN6hipcub16HIPCUB_304000_NS3MaxENSH_8EqualityElEE10hipError_tPvRmT2_T3_T4_T5_mT6_T7_P12ihipStream_tbENKUlT_T0_E_clISt17integral_constantIbLb1EES10_EEDaSV_SW_EUlSV_E_NS1_11comp_targetILNS1_3genE3ELNS1_11target_archE908ELNS1_3gpuE7ELNS1_3repE0EEENS1_30default_config_static_selectorELNS0_4arch9wavefront6targetE1EEEvT1_.has_dyn_sized_stack, 0
	.set _ZN7rocprim17ROCPRIM_400000_NS6detail17trampoline_kernelINS0_14default_configENS1_27scan_by_key_config_selectorIllEEZZNS1_16scan_by_key_implILNS1_25lookback_scan_determinismE0ELb0ES3_N6thrust23THRUST_200600_302600_NS16reverse_iteratorIPKlEESD_NSA_IPlEElN6hipcub16HIPCUB_304000_NS3MaxENSH_8EqualityElEE10hipError_tPvRmT2_T3_T4_T5_mT6_T7_P12ihipStream_tbENKUlT_T0_E_clISt17integral_constantIbLb1EES10_EEDaSV_SW_EUlSV_E_NS1_11comp_targetILNS1_3genE3ELNS1_11target_archE908ELNS1_3gpuE7ELNS1_3repE0EEENS1_30default_config_static_selectorELNS0_4arch9wavefront6targetE1EEEvT1_.has_recursion, 0
	.set _ZN7rocprim17ROCPRIM_400000_NS6detail17trampoline_kernelINS0_14default_configENS1_27scan_by_key_config_selectorIllEEZZNS1_16scan_by_key_implILNS1_25lookback_scan_determinismE0ELb0ES3_N6thrust23THRUST_200600_302600_NS16reverse_iteratorIPKlEESD_NSA_IPlEElN6hipcub16HIPCUB_304000_NS3MaxENSH_8EqualityElEE10hipError_tPvRmT2_T3_T4_T5_mT6_T7_P12ihipStream_tbENKUlT_T0_E_clISt17integral_constantIbLb1EES10_EEDaSV_SW_EUlSV_E_NS1_11comp_targetILNS1_3genE3ELNS1_11target_archE908ELNS1_3gpuE7ELNS1_3repE0EEENS1_30default_config_static_selectorELNS0_4arch9wavefront6targetE1EEEvT1_.has_indirect_call, 0
	.section	.AMDGPU.csdata,"",@progbits
; Kernel info:
; codeLenInByte = 0
; TotalNumSgprs: 6
; NumVgprs: 0
; NumAgprs: 0
; TotalNumVgprs: 0
; ScratchSize: 0
; MemoryBound: 0
; FloatMode: 240
; IeeeMode: 1
; LDSByteSize: 0 bytes/workgroup (compile time only)
; SGPRBlocks: 0
; VGPRBlocks: 0
; NumSGPRsForWavesPerEU: 6
; NumVGPRsForWavesPerEU: 1
; AccumOffset: 4
; Occupancy: 8
; WaveLimiterHint : 0
; COMPUTE_PGM_RSRC2:SCRATCH_EN: 0
; COMPUTE_PGM_RSRC2:USER_SGPR: 2
; COMPUTE_PGM_RSRC2:TRAP_HANDLER: 0
; COMPUTE_PGM_RSRC2:TGID_X_EN: 1
; COMPUTE_PGM_RSRC2:TGID_Y_EN: 0
; COMPUTE_PGM_RSRC2:TGID_Z_EN: 0
; COMPUTE_PGM_RSRC2:TIDIG_COMP_CNT: 0
; COMPUTE_PGM_RSRC3_GFX90A:ACCUM_OFFSET: 0
; COMPUTE_PGM_RSRC3_GFX90A:TG_SPLIT: 0
	.section	.text._ZN7rocprim17ROCPRIM_400000_NS6detail17trampoline_kernelINS0_14default_configENS1_27scan_by_key_config_selectorIllEEZZNS1_16scan_by_key_implILNS1_25lookback_scan_determinismE0ELb0ES3_N6thrust23THRUST_200600_302600_NS16reverse_iteratorIPKlEESD_NSA_IPlEElN6hipcub16HIPCUB_304000_NS3MaxENSH_8EqualityElEE10hipError_tPvRmT2_T3_T4_T5_mT6_T7_P12ihipStream_tbENKUlT_T0_E_clISt17integral_constantIbLb1EES10_EEDaSV_SW_EUlSV_E_NS1_11comp_targetILNS1_3genE2ELNS1_11target_archE906ELNS1_3gpuE6ELNS1_3repE0EEENS1_30default_config_static_selectorELNS0_4arch9wavefront6targetE1EEEvT1_,"axG",@progbits,_ZN7rocprim17ROCPRIM_400000_NS6detail17trampoline_kernelINS0_14default_configENS1_27scan_by_key_config_selectorIllEEZZNS1_16scan_by_key_implILNS1_25lookback_scan_determinismE0ELb0ES3_N6thrust23THRUST_200600_302600_NS16reverse_iteratorIPKlEESD_NSA_IPlEElN6hipcub16HIPCUB_304000_NS3MaxENSH_8EqualityElEE10hipError_tPvRmT2_T3_T4_T5_mT6_T7_P12ihipStream_tbENKUlT_T0_E_clISt17integral_constantIbLb1EES10_EEDaSV_SW_EUlSV_E_NS1_11comp_targetILNS1_3genE2ELNS1_11target_archE906ELNS1_3gpuE6ELNS1_3repE0EEENS1_30default_config_static_selectorELNS0_4arch9wavefront6targetE1EEEvT1_,comdat
	.protected	_ZN7rocprim17ROCPRIM_400000_NS6detail17trampoline_kernelINS0_14default_configENS1_27scan_by_key_config_selectorIllEEZZNS1_16scan_by_key_implILNS1_25lookback_scan_determinismE0ELb0ES3_N6thrust23THRUST_200600_302600_NS16reverse_iteratorIPKlEESD_NSA_IPlEElN6hipcub16HIPCUB_304000_NS3MaxENSH_8EqualityElEE10hipError_tPvRmT2_T3_T4_T5_mT6_T7_P12ihipStream_tbENKUlT_T0_E_clISt17integral_constantIbLb1EES10_EEDaSV_SW_EUlSV_E_NS1_11comp_targetILNS1_3genE2ELNS1_11target_archE906ELNS1_3gpuE6ELNS1_3repE0EEENS1_30default_config_static_selectorELNS0_4arch9wavefront6targetE1EEEvT1_ ; -- Begin function _ZN7rocprim17ROCPRIM_400000_NS6detail17trampoline_kernelINS0_14default_configENS1_27scan_by_key_config_selectorIllEEZZNS1_16scan_by_key_implILNS1_25lookback_scan_determinismE0ELb0ES3_N6thrust23THRUST_200600_302600_NS16reverse_iteratorIPKlEESD_NSA_IPlEElN6hipcub16HIPCUB_304000_NS3MaxENSH_8EqualityElEE10hipError_tPvRmT2_T3_T4_T5_mT6_T7_P12ihipStream_tbENKUlT_T0_E_clISt17integral_constantIbLb1EES10_EEDaSV_SW_EUlSV_E_NS1_11comp_targetILNS1_3genE2ELNS1_11target_archE906ELNS1_3gpuE6ELNS1_3repE0EEENS1_30default_config_static_selectorELNS0_4arch9wavefront6targetE1EEEvT1_
	.globl	_ZN7rocprim17ROCPRIM_400000_NS6detail17trampoline_kernelINS0_14default_configENS1_27scan_by_key_config_selectorIllEEZZNS1_16scan_by_key_implILNS1_25lookback_scan_determinismE0ELb0ES3_N6thrust23THRUST_200600_302600_NS16reverse_iteratorIPKlEESD_NSA_IPlEElN6hipcub16HIPCUB_304000_NS3MaxENSH_8EqualityElEE10hipError_tPvRmT2_T3_T4_T5_mT6_T7_P12ihipStream_tbENKUlT_T0_E_clISt17integral_constantIbLb1EES10_EEDaSV_SW_EUlSV_E_NS1_11comp_targetILNS1_3genE2ELNS1_11target_archE906ELNS1_3gpuE6ELNS1_3repE0EEENS1_30default_config_static_selectorELNS0_4arch9wavefront6targetE1EEEvT1_
	.p2align	8
	.type	_ZN7rocprim17ROCPRIM_400000_NS6detail17trampoline_kernelINS0_14default_configENS1_27scan_by_key_config_selectorIllEEZZNS1_16scan_by_key_implILNS1_25lookback_scan_determinismE0ELb0ES3_N6thrust23THRUST_200600_302600_NS16reverse_iteratorIPKlEESD_NSA_IPlEElN6hipcub16HIPCUB_304000_NS3MaxENSH_8EqualityElEE10hipError_tPvRmT2_T3_T4_T5_mT6_T7_P12ihipStream_tbENKUlT_T0_E_clISt17integral_constantIbLb1EES10_EEDaSV_SW_EUlSV_E_NS1_11comp_targetILNS1_3genE2ELNS1_11target_archE906ELNS1_3gpuE6ELNS1_3repE0EEENS1_30default_config_static_selectorELNS0_4arch9wavefront6targetE1EEEvT1_,@function
_ZN7rocprim17ROCPRIM_400000_NS6detail17trampoline_kernelINS0_14default_configENS1_27scan_by_key_config_selectorIllEEZZNS1_16scan_by_key_implILNS1_25lookback_scan_determinismE0ELb0ES3_N6thrust23THRUST_200600_302600_NS16reverse_iteratorIPKlEESD_NSA_IPlEElN6hipcub16HIPCUB_304000_NS3MaxENSH_8EqualityElEE10hipError_tPvRmT2_T3_T4_T5_mT6_T7_P12ihipStream_tbENKUlT_T0_E_clISt17integral_constantIbLb1EES10_EEDaSV_SW_EUlSV_E_NS1_11comp_targetILNS1_3genE2ELNS1_11target_archE906ELNS1_3gpuE6ELNS1_3repE0EEENS1_30default_config_static_selectorELNS0_4arch9wavefront6targetE1EEEvT1_: ; @_ZN7rocprim17ROCPRIM_400000_NS6detail17trampoline_kernelINS0_14default_configENS1_27scan_by_key_config_selectorIllEEZZNS1_16scan_by_key_implILNS1_25lookback_scan_determinismE0ELb0ES3_N6thrust23THRUST_200600_302600_NS16reverse_iteratorIPKlEESD_NSA_IPlEElN6hipcub16HIPCUB_304000_NS3MaxENSH_8EqualityElEE10hipError_tPvRmT2_T3_T4_T5_mT6_T7_P12ihipStream_tbENKUlT_T0_E_clISt17integral_constantIbLb1EES10_EEDaSV_SW_EUlSV_E_NS1_11comp_targetILNS1_3genE2ELNS1_11target_archE906ELNS1_3gpuE6ELNS1_3repE0EEENS1_30default_config_static_selectorELNS0_4arch9wavefront6targetE1EEEvT1_
; %bb.0:
	.section	.rodata,"a",@progbits
	.p2align	6, 0x0
	.amdhsa_kernel _ZN7rocprim17ROCPRIM_400000_NS6detail17trampoline_kernelINS0_14default_configENS1_27scan_by_key_config_selectorIllEEZZNS1_16scan_by_key_implILNS1_25lookback_scan_determinismE0ELb0ES3_N6thrust23THRUST_200600_302600_NS16reverse_iteratorIPKlEESD_NSA_IPlEElN6hipcub16HIPCUB_304000_NS3MaxENSH_8EqualityElEE10hipError_tPvRmT2_T3_T4_T5_mT6_T7_P12ihipStream_tbENKUlT_T0_E_clISt17integral_constantIbLb1EES10_EEDaSV_SW_EUlSV_E_NS1_11comp_targetILNS1_3genE2ELNS1_11target_archE906ELNS1_3gpuE6ELNS1_3repE0EEENS1_30default_config_static_selectorELNS0_4arch9wavefront6targetE1EEEvT1_
		.amdhsa_group_segment_fixed_size 0
		.amdhsa_private_segment_fixed_size 0
		.amdhsa_kernarg_size 136
		.amdhsa_user_sgpr_count 2
		.amdhsa_user_sgpr_dispatch_ptr 0
		.amdhsa_user_sgpr_queue_ptr 0
		.amdhsa_user_sgpr_kernarg_segment_ptr 1
		.amdhsa_user_sgpr_dispatch_id 0
		.amdhsa_user_sgpr_kernarg_preload_length 0
		.amdhsa_user_sgpr_kernarg_preload_offset 0
		.amdhsa_user_sgpr_private_segment_size 0
		.amdhsa_uses_dynamic_stack 0
		.amdhsa_enable_private_segment 0
		.amdhsa_system_sgpr_workgroup_id_x 1
		.amdhsa_system_sgpr_workgroup_id_y 0
		.amdhsa_system_sgpr_workgroup_id_z 0
		.amdhsa_system_sgpr_workgroup_info 0
		.amdhsa_system_vgpr_workitem_id 0
		.amdhsa_next_free_vgpr 1
		.amdhsa_next_free_sgpr 0
		.amdhsa_accum_offset 4
		.amdhsa_reserve_vcc 0
		.amdhsa_float_round_mode_32 0
		.amdhsa_float_round_mode_16_64 0
		.amdhsa_float_denorm_mode_32 3
		.amdhsa_float_denorm_mode_16_64 3
		.amdhsa_dx10_clamp 1
		.amdhsa_ieee_mode 1
		.amdhsa_fp16_overflow 0
		.amdhsa_tg_split 0
		.amdhsa_exception_fp_ieee_invalid_op 0
		.amdhsa_exception_fp_denorm_src 0
		.amdhsa_exception_fp_ieee_div_zero 0
		.amdhsa_exception_fp_ieee_overflow 0
		.amdhsa_exception_fp_ieee_underflow 0
		.amdhsa_exception_fp_ieee_inexact 0
		.amdhsa_exception_int_div_zero 0
	.end_amdhsa_kernel
	.section	.text._ZN7rocprim17ROCPRIM_400000_NS6detail17trampoline_kernelINS0_14default_configENS1_27scan_by_key_config_selectorIllEEZZNS1_16scan_by_key_implILNS1_25lookback_scan_determinismE0ELb0ES3_N6thrust23THRUST_200600_302600_NS16reverse_iteratorIPKlEESD_NSA_IPlEElN6hipcub16HIPCUB_304000_NS3MaxENSH_8EqualityElEE10hipError_tPvRmT2_T3_T4_T5_mT6_T7_P12ihipStream_tbENKUlT_T0_E_clISt17integral_constantIbLb1EES10_EEDaSV_SW_EUlSV_E_NS1_11comp_targetILNS1_3genE2ELNS1_11target_archE906ELNS1_3gpuE6ELNS1_3repE0EEENS1_30default_config_static_selectorELNS0_4arch9wavefront6targetE1EEEvT1_,"axG",@progbits,_ZN7rocprim17ROCPRIM_400000_NS6detail17trampoline_kernelINS0_14default_configENS1_27scan_by_key_config_selectorIllEEZZNS1_16scan_by_key_implILNS1_25lookback_scan_determinismE0ELb0ES3_N6thrust23THRUST_200600_302600_NS16reverse_iteratorIPKlEESD_NSA_IPlEElN6hipcub16HIPCUB_304000_NS3MaxENSH_8EqualityElEE10hipError_tPvRmT2_T3_T4_T5_mT6_T7_P12ihipStream_tbENKUlT_T0_E_clISt17integral_constantIbLb1EES10_EEDaSV_SW_EUlSV_E_NS1_11comp_targetILNS1_3genE2ELNS1_11target_archE906ELNS1_3gpuE6ELNS1_3repE0EEENS1_30default_config_static_selectorELNS0_4arch9wavefront6targetE1EEEvT1_,comdat
.Lfunc_end152:
	.size	_ZN7rocprim17ROCPRIM_400000_NS6detail17trampoline_kernelINS0_14default_configENS1_27scan_by_key_config_selectorIllEEZZNS1_16scan_by_key_implILNS1_25lookback_scan_determinismE0ELb0ES3_N6thrust23THRUST_200600_302600_NS16reverse_iteratorIPKlEESD_NSA_IPlEElN6hipcub16HIPCUB_304000_NS3MaxENSH_8EqualityElEE10hipError_tPvRmT2_T3_T4_T5_mT6_T7_P12ihipStream_tbENKUlT_T0_E_clISt17integral_constantIbLb1EES10_EEDaSV_SW_EUlSV_E_NS1_11comp_targetILNS1_3genE2ELNS1_11target_archE906ELNS1_3gpuE6ELNS1_3repE0EEENS1_30default_config_static_selectorELNS0_4arch9wavefront6targetE1EEEvT1_, .Lfunc_end152-_ZN7rocprim17ROCPRIM_400000_NS6detail17trampoline_kernelINS0_14default_configENS1_27scan_by_key_config_selectorIllEEZZNS1_16scan_by_key_implILNS1_25lookback_scan_determinismE0ELb0ES3_N6thrust23THRUST_200600_302600_NS16reverse_iteratorIPKlEESD_NSA_IPlEElN6hipcub16HIPCUB_304000_NS3MaxENSH_8EqualityElEE10hipError_tPvRmT2_T3_T4_T5_mT6_T7_P12ihipStream_tbENKUlT_T0_E_clISt17integral_constantIbLb1EES10_EEDaSV_SW_EUlSV_E_NS1_11comp_targetILNS1_3genE2ELNS1_11target_archE906ELNS1_3gpuE6ELNS1_3repE0EEENS1_30default_config_static_selectorELNS0_4arch9wavefront6targetE1EEEvT1_
                                        ; -- End function
	.set _ZN7rocprim17ROCPRIM_400000_NS6detail17trampoline_kernelINS0_14default_configENS1_27scan_by_key_config_selectorIllEEZZNS1_16scan_by_key_implILNS1_25lookback_scan_determinismE0ELb0ES3_N6thrust23THRUST_200600_302600_NS16reverse_iteratorIPKlEESD_NSA_IPlEElN6hipcub16HIPCUB_304000_NS3MaxENSH_8EqualityElEE10hipError_tPvRmT2_T3_T4_T5_mT6_T7_P12ihipStream_tbENKUlT_T0_E_clISt17integral_constantIbLb1EES10_EEDaSV_SW_EUlSV_E_NS1_11comp_targetILNS1_3genE2ELNS1_11target_archE906ELNS1_3gpuE6ELNS1_3repE0EEENS1_30default_config_static_selectorELNS0_4arch9wavefront6targetE1EEEvT1_.num_vgpr, 0
	.set _ZN7rocprim17ROCPRIM_400000_NS6detail17trampoline_kernelINS0_14default_configENS1_27scan_by_key_config_selectorIllEEZZNS1_16scan_by_key_implILNS1_25lookback_scan_determinismE0ELb0ES3_N6thrust23THRUST_200600_302600_NS16reverse_iteratorIPKlEESD_NSA_IPlEElN6hipcub16HIPCUB_304000_NS3MaxENSH_8EqualityElEE10hipError_tPvRmT2_T3_T4_T5_mT6_T7_P12ihipStream_tbENKUlT_T0_E_clISt17integral_constantIbLb1EES10_EEDaSV_SW_EUlSV_E_NS1_11comp_targetILNS1_3genE2ELNS1_11target_archE906ELNS1_3gpuE6ELNS1_3repE0EEENS1_30default_config_static_selectorELNS0_4arch9wavefront6targetE1EEEvT1_.num_agpr, 0
	.set _ZN7rocprim17ROCPRIM_400000_NS6detail17trampoline_kernelINS0_14default_configENS1_27scan_by_key_config_selectorIllEEZZNS1_16scan_by_key_implILNS1_25lookback_scan_determinismE0ELb0ES3_N6thrust23THRUST_200600_302600_NS16reverse_iteratorIPKlEESD_NSA_IPlEElN6hipcub16HIPCUB_304000_NS3MaxENSH_8EqualityElEE10hipError_tPvRmT2_T3_T4_T5_mT6_T7_P12ihipStream_tbENKUlT_T0_E_clISt17integral_constantIbLb1EES10_EEDaSV_SW_EUlSV_E_NS1_11comp_targetILNS1_3genE2ELNS1_11target_archE906ELNS1_3gpuE6ELNS1_3repE0EEENS1_30default_config_static_selectorELNS0_4arch9wavefront6targetE1EEEvT1_.numbered_sgpr, 0
	.set _ZN7rocprim17ROCPRIM_400000_NS6detail17trampoline_kernelINS0_14default_configENS1_27scan_by_key_config_selectorIllEEZZNS1_16scan_by_key_implILNS1_25lookback_scan_determinismE0ELb0ES3_N6thrust23THRUST_200600_302600_NS16reverse_iteratorIPKlEESD_NSA_IPlEElN6hipcub16HIPCUB_304000_NS3MaxENSH_8EqualityElEE10hipError_tPvRmT2_T3_T4_T5_mT6_T7_P12ihipStream_tbENKUlT_T0_E_clISt17integral_constantIbLb1EES10_EEDaSV_SW_EUlSV_E_NS1_11comp_targetILNS1_3genE2ELNS1_11target_archE906ELNS1_3gpuE6ELNS1_3repE0EEENS1_30default_config_static_selectorELNS0_4arch9wavefront6targetE1EEEvT1_.num_named_barrier, 0
	.set _ZN7rocprim17ROCPRIM_400000_NS6detail17trampoline_kernelINS0_14default_configENS1_27scan_by_key_config_selectorIllEEZZNS1_16scan_by_key_implILNS1_25lookback_scan_determinismE0ELb0ES3_N6thrust23THRUST_200600_302600_NS16reverse_iteratorIPKlEESD_NSA_IPlEElN6hipcub16HIPCUB_304000_NS3MaxENSH_8EqualityElEE10hipError_tPvRmT2_T3_T4_T5_mT6_T7_P12ihipStream_tbENKUlT_T0_E_clISt17integral_constantIbLb1EES10_EEDaSV_SW_EUlSV_E_NS1_11comp_targetILNS1_3genE2ELNS1_11target_archE906ELNS1_3gpuE6ELNS1_3repE0EEENS1_30default_config_static_selectorELNS0_4arch9wavefront6targetE1EEEvT1_.private_seg_size, 0
	.set _ZN7rocprim17ROCPRIM_400000_NS6detail17trampoline_kernelINS0_14default_configENS1_27scan_by_key_config_selectorIllEEZZNS1_16scan_by_key_implILNS1_25lookback_scan_determinismE0ELb0ES3_N6thrust23THRUST_200600_302600_NS16reverse_iteratorIPKlEESD_NSA_IPlEElN6hipcub16HIPCUB_304000_NS3MaxENSH_8EqualityElEE10hipError_tPvRmT2_T3_T4_T5_mT6_T7_P12ihipStream_tbENKUlT_T0_E_clISt17integral_constantIbLb1EES10_EEDaSV_SW_EUlSV_E_NS1_11comp_targetILNS1_3genE2ELNS1_11target_archE906ELNS1_3gpuE6ELNS1_3repE0EEENS1_30default_config_static_selectorELNS0_4arch9wavefront6targetE1EEEvT1_.uses_vcc, 0
	.set _ZN7rocprim17ROCPRIM_400000_NS6detail17trampoline_kernelINS0_14default_configENS1_27scan_by_key_config_selectorIllEEZZNS1_16scan_by_key_implILNS1_25lookback_scan_determinismE0ELb0ES3_N6thrust23THRUST_200600_302600_NS16reverse_iteratorIPKlEESD_NSA_IPlEElN6hipcub16HIPCUB_304000_NS3MaxENSH_8EqualityElEE10hipError_tPvRmT2_T3_T4_T5_mT6_T7_P12ihipStream_tbENKUlT_T0_E_clISt17integral_constantIbLb1EES10_EEDaSV_SW_EUlSV_E_NS1_11comp_targetILNS1_3genE2ELNS1_11target_archE906ELNS1_3gpuE6ELNS1_3repE0EEENS1_30default_config_static_selectorELNS0_4arch9wavefront6targetE1EEEvT1_.uses_flat_scratch, 0
	.set _ZN7rocprim17ROCPRIM_400000_NS6detail17trampoline_kernelINS0_14default_configENS1_27scan_by_key_config_selectorIllEEZZNS1_16scan_by_key_implILNS1_25lookback_scan_determinismE0ELb0ES3_N6thrust23THRUST_200600_302600_NS16reverse_iteratorIPKlEESD_NSA_IPlEElN6hipcub16HIPCUB_304000_NS3MaxENSH_8EqualityElEE10hipError_tPvRmT2_T3_T4_T5_mT6_T7_P12ihipStream_tbENKUlT_T0_E_clISt17integral_constantIbLb1EES10_EEDaSV_SW_EUlSV_E_NS1_11comp_targetILNS1_3genE2ELNS1_11target_archE906ELNS1_3gpuE6ELNS1_3repE0EEENS1_30default_config_static_selectorELNS0_4arch9wavefront6targetE1EEEvT1_.has_dyn_sized_stack, 0
	.set _ZN7rocprim17ROCPRIM_400000_NS6detail17trampoline_kernelINS0_14default_configENS1_27scan_by_key_config_selectorIllEEZZNS1_16scan_by_key_implILNS1_25lookback_scan_determinismE0ELb0ES3_N6thrust23THRUST_200600_302600_NS16reverse_iteratorIPKlEESD_NSA_IPlEElN6hipcub16HIPCUB_304000_NS3MaxENSH_8EqualityElEE10hipError_tPvRmT2_T3_T4_T5_mT6_T7_P12ihipStream_tbENKUlT_T0_E_clISt17integral_constantIbLb1EES10_EEDaSV_SW_EUlSV_E_NS1_11comp_targetILNS1_3genE2ELNS1_11target_archE906ELNS1_3gpuE6ELNS1_3repE0EEENS1_30default_config_static_selectorELNS0_4arch9wavefront6targetE1EEEvT1_.has_recursion, 0
	.set _ZN7rocprim17ROCPRIM_400000_NS6detail17trampoline_kernelINS0_14default_configENS1_27scan_by_key_config_selectorIllEEZZNS1_16scan_by_key_implILNS1_25lookback_scan_determinismE0ELb0ES3_N6thrust23THRUST_200600_302600_NS16reverse_iteratorIPKlEESD_NSA_IPlEElN6hipcub16HIPCUB_304000_NS3MaxENSH_8EqualityElEE10hipError_tPvRmT2_T3_T4_T5_mT6_T7_P12ihipStream_tbENKUlT_T0_E_clISt17integral_constantIbLb1EES10_EEDaSV_SW_EUlSV_E_NS1_11comp_targetILNS1_3genE2ELNS1_11target_archE906ELNS1_3gpuE6ELNS1_3repE0EEENS1_30default_config_static_selectorELNS0_4arch9wavefront6targetE1EEEvT1_.has_indirect_call, 0
	.section	.AMDGPU.csdata,"",@progbits
; Kernel info:
; codeLenInByte = 0
; TotalNumSgprs: 6
; NumVgprs: 0
; NumAgprs: 0
; TotalNumVgprs: 0
; ScratchSize: 0
; MemoryBound: 0
; FloatMode: 240
; IeeeMode: 1
; LDSByteSize: 0 bytes/workgroup (compile time only)
; SGPRBlocks: 0
; VGPRBlocks: 0
; NumSGPRsForWavesPerEU: 6
; NumVGPRsForWavesPerEU: 1
; AccumOffset: 4
; Occupancy: 8
; WaveLimiterHint : 0
; COMPUTE_PGM_RSRC2:SCRATCH_EN: 0
; COMPUTE_PGM_RSRC2:USER_SGPR: 2
; COMPUTE_PGM_RSRC2:TRAP_HANDLER: 0
; COMPUTE_PGM_RSRC2:TGID_X_EN: 1
; COMPUTE_PGM_RSRC2:TGID_Y_EN: 0
; COMPUTE_PGM_RSRC2:TGID_Z_EN: 0
; COMPUTE_PGM_RSRC2:TIDIG_COMP_CNT: 0
; COMPUTE_PGM_RSRC3_GFX90A:ACCUM_OFFSET: 0
; COMPUTE_PGM_RSRC3_GFX90A:TG_SPLIT: 0
	.section	.text._ZN7rocprim17ROCPRIM_400000_NS6detail17trampoline_kernelINS0_14default_configENS1_27scan_by_key_config_selectorIllEEZZNS1_16scan_by_key_implILNS1_25lookback_scan_determinismE0ELb0ES3_N6thrust23THRUST_200600_302600_NS16reverse_iteratorIPKlEESD_NSA_IPlEElN6hipcub16HIPCUB_304000_NS3MaxENSH_8EqualityElEE10hipError_tPvRmT2_T3_T4_T5_mT6_T7_P12ihipStream_tbENKUlT_T0_E_clISt17integral_constantIbLb1EES10_EEDaSV_SW_EUlSV_E_NS1_11comp_targetILNS1_3genE10ELNS1_11target_archE1200ELNS1_3gpuE4ELNS1_3repE0EEENS1_30default_config_static_selectorELNS0_4arch9wavefront6targetE1EEEvT1_,"axG",@progbits,_ZN7rocprim17ROCPRIM_400000_NS6detail17trampoline_kernelINS0_14default_configENS1_27scan_by_key_config_selectorIllEEZZNS1_16scan_by_key_implILNS1_25lookback_scan_determinismE0ELb0ES3_N6thrust23THRUST_200600_302600_NS16reverse_iteratorIPKlEESD_NSA_IPlEElN6hipcub16HIPCUB_304000_NS3MaxENSH_8EqualityElEE10hipError_tPvRmT2_T3_T4_T5_mT6_T7_P12ihipStream_tbENKUlT_T0_E_clISt17integral_constantIbLb1EES10_EEDaSV_SW_EUlSV_E_NS1_11comp_targetILNS1_3genE10ELNS1_11target_archE1200ELNS1_3gpuE4ELNS1_3repE0EEENS1_30default_config_static_selectorELNS0_4arch9wavefront6targetE1EEEvT1_,comdat
	.protected	_ZN7rocprim17ROCPRIM_400000_NS6detail17trampoline_kernelINS0_14default_configENS1_27scan_by_key_config_selectorIllEEZZNS1_16scan_by_key_implILNS1_25lookback_scan_determinismE0ELb0ES3_N6thrust23THRUST_200600_302600_NS16reverse_iteratorIPKlEESD_NSA_IPlEElN6hipcub16HIPCUB_304000_NS3MaxENSH_8EqualityElEE10hipError_tPvRmT2_T3_T4_T5_mT6_T7_P12ihipStream_tbENKUlT_T0_E_clISt17integral_constantIbLb1EES10_EEDaSV_SW_EUlSV_E_NS1_11comp_targetILNS1_3genE10ELNS1_11target_archE1200ELNS1_3gpuE4ELNS1_3repE0EEENS1_30default_config_static_selectorELNS0_4arch9wavefront6targetE1EEEvT1_ ; -- Begin function _ZN7rocprim17ROCPRIM_400000_NS6detail17trampoline_kernelINS0_14default_configENS1_27scan_by_key_config_selectorIllEEZZNS1_16scan_by_key_implILNS1_25lookback_scan_determinismE0ELb0ES3_N6thrust23THRUST_200600_302600_NS16reverse_iteratorIPKlEESD_NSA_IPlEElN6hipcub16HIPCUB_304000_NS3MaxENSH_8EqualityElEE10hipError_tPvRmT2_T3_T4_T5_mT6_T7_P12ihipStream_tbENKUlT_T0_E_clISt17integral_constantIbLb1EES10_EEDaSV_SW_EUlSV_E_NS1_11comp_targetILNS1_3genE10ELNS1_11target_archE1200ELNS1_3gpuE4ELNS1_3repE0EEENS1_30default_config_static_selectorELNS0_4arch9wavefront6targetE1EEEvT1_
	.globl	_ZN7rocprim17ROCPRIM_400000_NS6detail17trampoline_kernelINS0_14default_configENS1_27scan_by_key_config_selectorIllEEZZNS1_16scan_by_key_implILNS1_25lookback_scan_determinismE0ELb0ES3_N6thrust23THRUST_200600_302600_NS16reverse_iteratorIPKlEESD_NSA_IPlEElN6hipcub16HIPCUB_304000_NS3MaxENSH_8EqualityElEE10hipError_tPvRmT2_T3_T4_T5_mT6_T7_P12ihipStream_tbENKUlT_T0_E_clISt17integral_constantIbLb1EES10_EEDaSV_SW_EUlSV_E_NS1_11comp_targetILNS1_3genE10ELNS1_11target_archE1200ELNS1_3gpuE4ELNS1_3repE0EEENS1_30default_config_static_selectorELNS0_4arch9wavefront6targetE1EEEvT1_
	.p2align	8
	.type	_ZN7rocprim17ROCPRIM_400000_NS6detail17trampoline_kernelINS0_14default_configENS1_27scan_by_key_config_selectorIllEEZZNS1_16scan_by_key_implILNS1_25lookback_scan_determinismE0ELb0ES3_N6thrust23THRUST_200600_302600_NS16reverse_iteratorIPKlEESD_NSA_IPlEElN6hipcub16HIPCUB_304000_NS3MaxENSH_8EqualityElEE10hipError_tPvRmT2_T3_T4_T5_mT6_T7_P12ihipStream_tbENKUlT_T0_E_clISt17integral_constantIbLb1EES10_EEDaSV_SW_EUlSV_E_NS1_11comp_targetILNS1_3genE10ELNS1_11target_archE1200ELNS1_3gpuE4ELNS1_3repE0EEENS1_30default_config_static_selectorELNS0_4arch9wavefront6targetE1EEEvT1_,@function
_ZN7rocprim17ROCPRIM_400000_NS6detail17trampoline_kernelINS0_14default_configENS1_27scan_by_key_config_selectorIllEEZZNS1_16scan_by_key_implILNS1_25lookback_scan_determinismE0ELb0ES3_N6thrust23THRUST_200600_302600_NS16reverse_iteratorIPKlEESD_NSA_IPlEElN6hipcub16HIPCUB_304000_NS3MaxENSH_8EqualityElEE10hipError_tPvRmT2_T3_T4_T5_mT6_T7_P12ihipStream_tbENKUlT_T0_E_clISt17integral_constantIbLb1EES10_EEDaSV_SW_EUlSV_E_NS1_11comp_targetILNS1_3genE10ELNS1_11target_archE1200ELNS1_3gpuE4ELNS1_3repE0EEENS1_30default_config_static_selectorELNS0_4arch9wavefront6targetE1EEEvT1_: ; @_ZN7rocprim17ROCPRIM_400000_NS6detail17trampoline_kernelINS0_14default_configENS1_27scan_by_key_config_selectorIllEEZZNS1_16scan_by_key_implILNS1_25lookback_scan_determinismE0ELb0ES3_N6thrust23THRUST_200600_302600_NS16reverse_iteratorIPKlEESD_NSA_IPlEElN6hipcub16HIPCUB_304000_NS3MaxENSH_8EqualityElEE10hipError_tPvRmT2_T3_T4_T5_mT6_T7_P12ihipStream_tbENKUlT_T0_E_clISt17integral_constantIbLb1EES10_EEDaSV_SW_EUlSV_E_NS1_11comp_targetILNS1_3genE10ELNS1_11target_archE1200ELNS1_3gpuE4ELNS1_3repE0EEENS1_30default_config_static_selectorELNS0_4arch9wavefront6targetE1EEEvT1_
; %bb.0:
	.section	.rodata,"a",@progbits
	.p2align	6, 0x0
	.amdhsa_kernel _ZN7rocprim17ROCPRIM_400000_NS6detail17trampoline_kernelINS0_14default_configENS1_27scan_by_key_config_selectorIllEEZZNS1_16scan_by_key_implILNS1_25lookback_scan_determinismE0ELb0ES3_N6thrust23THRUST_200600_302600_NS16reverse_iteratorIPKlEESD_NSA_IPlEElN6hipcub16HIPCUB_304000_NS3MaxENSH_8EqualityElEE10hipError_tPvRmT2_T3_T4_T5_mT6_T7_P12ihipStream_tbENKUlT_T0_E_clISt17integral_constantIbLb1EES10_EEDaSV_SW_EUlSV_E_NS1_11comp_targetILNS1_3genE10ELNS1_11target_archE1200ELNS1_3gpuE4ELNS1_3repE0EEENS1_30default_config_static_selectorELNS0_4arch9wavefront6targetE1EEEvT1_
		.amdhsa_group_segment_fixed_size 0
		.amdhsa_private_segment_fixed_size 0
		.amdhsa_kernarg_size 136
		.amdhsa_user_sgpr_count 2
		.amdhsa_user_sgpr_dispatch_ptr 0
		.amdhsa_user_sgpr_queue_ptr 0
		.amdhsa_user_sgpr_kernarg_segment_ptr 1
		.amdhsa_user_sgpr_dispatch_id 0
		.amdhsa_user_sgpr_kernarg_preload_length 0
		.amdhsa_user_sgpr_kernarg_preload_offset 0
		.amdhsa_user_sgpr_private_segment_size 0
		.amdhsa_uses_dynamic_stack 0
		.amdhsa_enable_private_segment 0
		.amdhsa_system_sgpr_workgroup_id_x 1
		.amdhsa_system_sgpr_workgroup_id_y 0
		.amdhsa_system_sgpr_workgroup_id_z 0
		.amdhsa_system_sgpr_workgroup_info 0
		.amdhsa_system_vgpr_workitem_id 0
		.amdhsa_next_free_vgpr 1
		.amdhsa_next_free_sgpr 0
		.amdhsa_accum_offset 4
		.amdhsa_reserve_vcc 0
		.amdhsa_float_round_mode_32 0
		.amdhsa_float_round_mode_16_64 0
		.amdhsa_float_denorm_mode_32 3
		.amdhsa_float_denorm_mode_16_64 3
		.amdhsa_dx10_clamp 1
		.amdhsa_ieee_mode 1
		.amdhsa_fp16_overflow 0
		.amdhsa_tg_split 0
		.amdhsa_exception_fp_ieee_invalid_op 0
		.amdhsa_exception_fp_denorm_src 0
		.amdhsa_exception_fp_ieee_div_zero 0
		.amdhsa_exception_fp_ieee_overflow 0
		.amdhsa_exception_fp_ieee_underflow 0
		.amdhsa_exception_fp_ieee_inexact 0
		.amdhsa_exception_int_div_zero 0
	.end_amdhsa_kernel
	.section	.text._ZN7rocprim17ROCPRIM_400000_NS6detail17trampoline_kernelINS0_14default_configENS1_27scan_by_key_config_selectorIllEEZZNS1_16scan_by_key_implILNS1_25lookback_scan_determinismE0ELb0ES3_N6thrust23THRUST_200600_302600_NS16reverse_iteratorIPKlEESD_NSA_IPlEElN6hipcub16HIPCUB_304000_NS3MaxENSH_8EqualityElEE10hipError_tPvRmT2_T3_T4_T5_mT6_T7_P12ihipStream_tbENKUlT_T0_E_clISt17integral_constantIbLb1EES10_EEDaSV_SW_EUlSV_E_NS1_11comp_targetILNS1_3genE10ELNS1_11target_archE1200ELNS1_3gpuE4ELNS1_3repE0EEENS1_30default_config_static_selectorELNS0_4arch9wavefront6targetE1EEEvT1_,"axG",@progbits,_ZN7rocprim17ROCPRIM_400000_NS6detail17trampoline_kernelINS0_14default_configENS1_27scan_by_key_config_selectorIllEEZZNS1_16scan_by_key_implILNS1_25lookback_scan_determinismE0ELb0ES3_N6thrust23THRUST_200600_302600_NS16reverse_iteratorIPKlEESD_NSA_IPlEElN6hipcub16HIPCUB_304000_NS3MaxENSH_8EqualityElEE10hipError_tPvRmT2_T3_T4_T5_mT6_T7_P12ihipStream_tbENKUlT_T0_E_clISt17integral_constantIbLb1EES10_EEDaSV_SW_EUlSV_E_NS1_11comp_targetILNS1_3genE10ELNS1_11target_archE1200ELNS1_3gpuE4ELNS1_3repE0EEENS1_30default_config_static_selectorELNS0_4arch9wavefront6targetE1EEEvT1_,comdat
.Lfunc_end153:
	.size	_ZN7rocprim17ROCPRIM_400000_NS6detail17trampoline_kernelINS0_14default_configENS1_27scan_by_key_config_selectorIllEEZZNS1_16scan_by_key_implILNS1_25lookback_scan_determinismE0ELb0ES3_N6thrust23THRUST_200600_302600_NS16reverse_iteratorIPKlEESD_NSA_IPlEElN6hipcub16HIPCUB_304000_NS3MaxENSH_8EqualityElEE10hipError_tPvRmT2_T3_T4_T5_mT6_T7_P12ihipStream_tbENKUlT_T0_E_clISt17integral_constantIbLb1EES10_EEDaSV_SW_EUlSV_E_NS1_11comp_targetILNS1_3genE10ELNS1_11target_archE1200ELNS1_3gpuE4ELNS1_3repE0EEENS1_30default_config_static_selectorELNS0_4arch9wavefront6targetE1EEEvT1_, .Lfunc_end153-_ZN7rocprim17ROCPRIM_400000_NS6detail17trampoline_kernelINS0_14default_configENS1_27scan_by_key_config_selectorIllEEZZNS1_16scan_by_key_implILNS1_25lookback_scan_determinismE0ELb0ES3_N6thrust23THRUST_200600_302600_NS16reverse_iteratorIPKlEESD_NSA_IPlEElN6hipcub16HIPCUB_304000_NS3MaxENSH_8EqualityElEE10hipError_tPvRmT2_T3_T4_T5_mT6_T7_P12ihipStream_tbENKUlT_T0_E_clISt17integral_constantIbLb1EES10_EEDaSV_SW_EUlSV_E_NS1_11comp_targetILNS1_3genE10ELNS1_11target_archE1200ELNS1_3gpuE4ELNS1_3repE0EEENS1_30default_config_static_selectorELNS0_4arch9wavefront6targetE1EEEvT1_
                                        ; -- End function
	.set _ZN7rocprim17ROCPRIM_400000_NS6detail17trampoline_kernelINS0_14default_configENS1_27scan_by_key_config_selectorIllEEZZNS1_16scan_by_key_implILNS1_25lookback_scan_determinismE0ELb0ES3_N6thrust23THRUST_200600_302600_NS16reverse_iteratorIPKlEESD_NSA_IPlEElN6hipcub16HIPCUB_304000_NS3MaxENSH_8EqualityElEE10hipError_tPvRmT2_T3_T4_T5_mT6_T7_P12ihipStream_tbENKUlT_T0_E_clISt17integral_constantIbLb1EES10_EEDaSV_SW_EUlSV_E_NS1_11comp_targetILNS1_3genE10ELNS1_11target_archE1200ELNS1_3gpuE4ELNS1_3repE0EEENS1_30default_config_static_selectorELNS0_4arch9wavefront6targetE1EEEvT1_.num_vgpr, 0
	.set _ZN7rocprim17ROCPRIM_400000_NS6detail17trampoline_kernelINS0_14default_configENS1_27scan_by_key_config_selectorIllEEZZNS1_16scan_by_key_implILNS1_25lookback_scan_determinismE0ELb0ES3_N6thrust23THRUST_200600_302600_NS16reverse_iteratorIPKlEESD_NSA_IPlEElN6hipcub16HIPCUB_304000_NS3MaxENSH_8EqualityElEE10hipError_tPvRmT2_T3_T4_T5_mT6_T7_P12ihipStream_tbENKUlT_T0_E_clISt17integral_constantIbLb1EES10_EEDaSV_SW_EUlSV_E_NS1_11comp_targetILNS1_3genE10ELNS1_11target_archE1200ELNS1_3gpuE4ELNS1_3repE0EEENS1_30default_config_static_selectorELNS0_4arch9wavefront6targetE1EEEvT1_.num_agpr, 0
	.set _ZN7rocprim17ROCPRIM_400000_NS6detail17trampoline_kernelINS0_14default_configENS1_27scan_by_key_config_selectorIllEEZZNS1_16scan_by_key_implILNS1_25lookback_scan_determinismE0ELb0ES3_N6thrust23THRUST_200600_302600_NS16reverse_iteratorIPKlEESD_NSA_IPlEElN6hipcub16HIPCUB_304000_NS3MaxENSH_8EqualityElEE10hipError_tPvRmT2_T3_T4_T5_mT6_T7_P12ihipStream_tbENKUlT_T0_E_clISt17integral_constantIbLb1EES10_EEDaSV_SW_EUlSV_E_NS1_11comp_targetILNS1_3genE10ELNS1_11target_archE1200ELNS1_3gpuE4ELNS1_3repE0EEENS1_30default_config_static_selectorELNS0_4arch9wavefront6targetE1EEEvT1_.numbered_sgpr, 0
	.set _ZN7rocprim17ROCPRIM_400000_NS6detail17trampoline_kernelINS0_14default_configENS1_27scan_by_key_config_selectorIllEEZZNS1_16scan_by_key_implILNS1_25lookback_scan_determinismE0ELb0ES3_N6thrust23THRUST_200600_302600_NS16reverse_iteratorIPKlEESD_NSA_IPlEElN6hipcub16HIPCUB_304000_NS3MaxENSH_8EqualityElEE10hipError_tPvRmT2_T3_T4_T5_mT6_T7_P12ihipStream_tbENKUlT_T0_E_clISt17integral_constantIbLb1EES10_EEDaSV_SW_EUlSV_E_NS1_11comp_targetILNS1_3genE10ELNS1_11target_archE1200ELNS1_3gpuE4ELNS1_3repE0EEENS1_30default_config_static_selectorELNS0_4arch9wavefront6targetE1EEEvT1_.num_named_barrier, 0
	.set _ZN7rocprim17ROCPRIM_400000_NS6detail17trampoline_kernelINS0_14default_configENS1_27scan_by_key_config_selectorIllEEZZNS1_16scan_by_key_implILNS1_25lookback_scan_determinismE0ELb0ES3_N6thrust23THRUST_200600_302600_NS16reverse_iteratorIPKlEESD_NSA_IPlEElN6hipcub16HIPCUB_304000_NS3MaxENSH_8EqualityElEE10hipError_tPvRmT2_T3_T4_T5_mT6_T7_P12ihipStream_tbENKUlT_T0_E_clISt17integral_constantIbLb1EES10_EEDaSV_SW_EUlSV_E_NS1_11comp_targetILNS1_3genE10ELNS1_11target_archE1200ELNS1_3gpuE4ELNS1_3repE0EEENS1_30default_config_static_selectorELNS0_4arch9wavefront6targetE1EEEvT1_.private_seg_size, 0
	.set _ZN7rocprim17ROCPRIM_400000_NS6detail17trampoline_kernelINS0_14default_configENS1_27scan_by_key_config_selectorIllEEZZNS1_16scan_by_key_implILNS1_25lookback_scan_determinismE0ELb0ES3_N6thrust23THRUST_200600_302600_NS16reverse_iteratorIPKlEESD_NSA_IPlEElN6hipcub16HIPCUB_304000_NS3MaxENSH_8EqualityElEE10hipError_tPvRmT2_T3_T4_T5_mT6_T7_P12ihipStream_tbENKUlT_T0_E_clISt17integral_constantIbLb1EES10_EEDaSV_SW_EUlSV_E_NS1_11comp_targetILNS1_3genE10ELNS1_11target_archE1200ELNS1_3gpuE4ELNS1_3repE0EEENS1_30default_config_static_selectorELNS0_4arch9wavefront6targetE1EEEvT1_.uses_vcc, 0
	.set _ZN7rocprim17ROCPRIM_400000_NS6detail17trampoline_kernelINS0_14default_configENS1_27scan_by_key_config_selectorIllEEZZNS1_16scan_by_key_implILNS1_25lookback_scan_determinismE0ELb0ES3_N6thrust23THRUST_200600_302600_NS16reverse_iteratorIPKlEESD_NSA_IPlEElN6hipcub16HIPCUB_304000_NS3MaxENSH_8EqualityElEE10hipError_tPvRmT2_T3_T4_T5_mT6_T7_P12ihipStream_tbENKUlT_T0_E_clISt17integral_constantIbLb1EES10_EEDaSV_SW_EUlSV_E_NS1_11comp_targetILNS1_3genE10ELNS1_11target_archE1200ELNS1_3gpuE4ELNS1_3repE0EEENS1_30default_config_static_selectorELNS0_4arch9wavefront6targetE1EEEvT1_.uses_flat_scratch, 0
	.set _ZN7rocprim17ROCPRIM_400000_NS6detail17trampoline_kernelINS0_14default_configENS1_27scan_by_key_config_selectorIllEEZZNS1_16scan_by_key_implILNS1_25lookback_scan_determinismE0ELb0ES3_N6thrust23THRUST_200600_302600_NS16reverse_iteratorIPKlEESD_NSA_IPlEElN6hipcub16HIPCUB_304000_NS3MaxENSH_8EqualityElEE10hipError_tPvRmT2_T3_T4_T5_mT6_T7_P12ihipStream_tbENKUlT_T0_E_clISt17integral_constantIbLb1EES10_EEDaSV_SW_EUlSV_E_NS1_11comp_targetILNS1_3genE10ELNS1_11target_archE1200ELNS1_3gpuE4ELNS1_3repE0EEENS1_30default_config_static_selectorELNS0_4arch9wavefront6targetE1EEEvT1_.has_dyn_sized_stack, 0
	.set _ZN7rocprim17ROCPRIM_400000_NS6detail17trampoline_kernelINS0_14default_configENS1_27scan_by_key_config_selectorIllEEZZNS1_16scan_by_key_implILNS1_25lookback_scan_determinismE0ELb0ES3_N6thrust23THRUST_200600_302600_NS16reverse_iteratorIPKlEESD_NSA_IPlEElN6hipcub16HIPCUB_304000_NS3MaxENSH_8EqualityElEE10hipError_tPvRmT2_T3_T4_T5_mT6_T7_P12ihipStream_tbENKUlT_T0_E_clISt17integral_constantIbLb1EES10_EEDaSV_SW_EUlSV_E_NS1_11comp_targetILNS1_3genE10ELNS1_11target_archE1200ELNS1_3gpuE4ELNS1_3repE0EEENS1_30default_config_static_selectorELNS0_4arch9wavefront6targetE1EEEvT1_.has_recursion, 0
	.set _ZN7rocprim17ROCPRIM_400000_NS6detail17trampoline_kernelINS0_14default_configENS1_27scan_by_key_config_selectorIllEEZZNS1_16scan_by_key_implILNS1_25lookback_scan_determinismE0ELb0ES3_N6thrust23THRUST_200600_302600_NS16reverse_iteratorIPKlEESD_NSA_IPlEElN6hipcub16HIPCUB_304000_NS3MaxENSH_8EqualityElEE10hipError_tPvRmT2_T3_T4_T5_mT6_T7_P12ihipStream_tbENKUlT_T0_E_clISt17integral_constantIbLb1EES10_EEDaSV_SW_EUlSV_E_NS1_11comp_targetILNS1_3genE10ELNS1_11target_archE1200ELNS1_3gpuE4ELNS1_3repE0EEENS1_30default_config_static_selectorELNS0_4arch9wavefront6targetE1EEEvT1_.has_indirect_call, 0
	.section	.AMDGPU.csdata,"",@progbits
; Kernel info:
; codeLenInByte = 0
; TotalNumSgprs: 6
; NumVgprs: 0
; NumAgprs: 0
; TotalNumVgprs: 0
; ScratchSize: 0
; MemoryBound: 0
; FloatMode: 240
; IeeeMode: 1
; LDSByteSize: 0 bytes/workgroup (compile time only)
; SGPRBlocks: 0
; VGPRBlocks: 0
; NumSGPRsForWavesPerEU: 6
; NumVGPRsForWavesPerEU: 1
; AccumOffset: 4
; Occupancy: 8
; WaveLimiterHint : 0
; COMPUTE_PGM_RSRC2:SCRATCH_EN: 0
; COMPUTE_PGM_RSRC2:USER_SGPR: 2
; COMPUTE_PGM_RSRC2:TRAP_HANDLER: 0
; COMPUTE_PGM_RSRC2:TGID_X_EN: 1
; COMPUTE_PGM_RSRC2:TGID_Y_EN: 0
; COMPUTE_PGM_RSRC2:TGID_Z_EN: 0
; COMPUTE_PGM_RSRC2:TIDIG_COMP_CNT: 0
; COMPUTE_PGM_RSRC3_GFX90A:ACCUM_OFFSET: 0
; COMPUTE_PGM_RSRC3_GFX90A:TG_SPLIT: 0
	.section	.text._ZN7rocprim17ROCPRIM_400000_NS6detail17trampoline_kernelINS0_14default_configENS1_27scan_by_key_config_selectorIllEEZZNS1_16scan_by_key_implILNS1_25lookback_scan_determinismE0ELb0ES3_N6thrust23THRUST_200600_302600_NS16reverse_iteratorIPKlEESD_NSA_IPlEElN6hipcub16HIPCUB_304000_NS3MaxENSH_8EqualityElEE10hipError_tPvRmT2_T3_T4_T5_mT6_T7_P12ihipStream_tbENKUlT_T0_E_clISt17integral_constantIbLb1EES10_EEDaSV_SW_EUlSV_E_NS1_11comp_targetILNS1_3genE9ELNS1_11target_archE1100ELNS1_3gpuE3ELNS1_3repE0EEENS1_30default_config_static_selectorELNS0_4arch9wavefront6targetE1EEEvT1_,"axG",@progbits,_ZN7rocprim17ROCPRIM_400000_NS6detail17trampoline_kernelINS0_14default_configENS1_27scan_by_key_config_selectorIllEEZZNS1_16scan_by_key_implILNS1_25lookback_scan_determinismE0ELb0ES3_N6thrust23THRUST_200600_302600_NS16reverse_iteratorIPKlEESD_NSA_IPlEElN6hipcub16HIPCUB_304000_NS3MaxENSH_8EqualityElEE10hipError_tPvRmT2_T3_T4_T5_mT6_T7_P12ihipStream_tbENKUlT_T0_E_clISt17integral_constantIbLb1EES10_EEDaSV_SW_EUlSV_E_NS1_11comp_targetILNS1_3genE9ELNS1_11target_archE1100ELNS1_3gpuE3ELNS1_3repE0EEENS1_30default_config_static_selectorELNS0_4arch9wavefront6targetE1EEEvT1_,comdat
	.protected	_ZN7rocprim17ROCPRIM_400000_NS6detail17trampoline_kernelINS0_14default_configENS1_27scan_by_key_config_selectorIllEEZZNS1_16scan_by_key_implILNS1_25lookback_scan_determinismE0ELb0ES3_N6thrust23THRUST_200600_302600_NS16reverse_iteratorIPKlEESD_NSA_IPlEElN6hipcub16HIPCUB_304000_NS3MaxENSH_8EqualityElEE10hipError_tPvRmT2_T3_T4_T5_mT6_T7_P12ihipStream_tbENKUlT_T0_E_clISt17integral_constantIbLb1EES10_EEDaSV_SW_EUlSV_E_NS1_11comp_targetILNS1_3genE9ELNS1_11target_archE1100ELNS1_3gpuE3ELNS1_3repE0EEENS1_30default_config_static_selectorELNS0_4arch9wavefront6targetE1EEEvT1_ ; -- Begin function _ZN7rocprim17ROCPRIM_400000_NS6detail17trampoline_kernelINS0_14default_configENS1_27scan_by_key_config_selectorIllEEZZNS1_16scan_by_key_implILNS1_25lookback_scan_determinismE0ELb0ES3_N6thrust23THRUST_200600_302600_NS16reverse_iteratorIPKlEESD_NSA_IPlEElN6hipcub16HIPCUB_304000_NS3MaxENSH_8EqualityElEE10hipError_tPvRmT2_T3_T4_T5_mT6_T7_P12ihipStream_tbENKUlT_T0_E_clISt17integral_constantIbLb1EES10_EEDaSV_SW_EUlSV_E_NS1_11comp_targetILNS1_3genE9ELNS1_11target_archE1100ELNS1_3gpuE3ELNS1_3repE0EEENS1_30default_config_static_selectorELNS0_4arch9wavefront6targetE1EEEvT1_
	.globl	_ZN7rocprim17ROCPRIM_400000_NS6detail17trampoline_kernelINS0_14default_configENS1_27scan_by_key_config_selectorIllEEZZNS1_16scan_by_key_implILNS1_25lookback_scan_determinismE0ELb0ES3_N6thrust23THRUST_200600_302600_NS16reverse_iteratorIPKlEESD_NSA_IPlEElN6hipcub16HIPCUB_304000_NS3MaxENSH_8EqualityElEE10hipError_tPvRmT2_T3_T4_T5_mT6_T7_P12ihipStream_tbENKUlT_T0_E_clISt17integral_constantIbLb1EES10_EEDaSV_SW_EUlSV_E_NS1_11comp_targetILNS1_3genE9ELNS1_11target_archE1100ELNS1_3gpuE3ELNS1_3repE0EEENS1_30default_config_static_selectorELNS0_4arch9wavefront6targetE1EEEvT1_
	.p2align	8
	.type	_ZN7rocprim17ROCPRIM_400000_NS6detail17trampoline_kernelINS0_14default_configENS1_27scan_by_key_config_selectorIllEEZZNS1_16scan_by_key_implILNS1_25lookback_scan_determinismE0ELb0ES3_N6thrust23THRUST_200600_302600_NS16reverse_iteratorIPKlEESD_NSA_IPlEElN6hipcub16HIPCUB_304000_NS3MaxENSH_8EqualityElEE10hipError_tPvRmT2_T3_T4_T5_mT6_T7_P12ihipStream_tbENKUlT_T0_E_clISt17integral_constantIbLb1EES10_EEDaSV_SW_EUlSV_E_NS1_11comp_targetILNS1_3genE9ELNS1_11target_archE1100ELNS1_3gpuE3ELNS1_3repE0EEENS1_30default_config_static_selectorELNS0_4arch9wavefront6targetE1EEEvT1_,@function
_ZN7rocprim17ROCPRIM_400000_NS6detail17trampoline_kernelINS0_14default_configENS1_27scan_by_key_config_selectorIllEEZZNS1_16scan_by_key_implILNS1_25lookback_scan_determinismE0ELb0ES3_N6thrust23THRUST_200600_302600_NS16reverse_iteratorIPKlEESD_NSA_IPlEElN6hipcub16HIPCUB_304000_NS3MaxENSH_8EqualityElEE10hipError_tPvRmT2_T3_T4_T5_mT6_T7_P12ihipStream_tbENKUlT_T0_E_clISt17integral_constantIbLb1EES10_EEDaSV_SW_EUlSV_E_NS1_11comp_targetILNS1_3genE9ELNS1_11target_archE1100ELNS1_3gpuE3ELNS1_3repE0EEENS1_30default_config_static_selectorELNS0_4arch9wavefront6targetE1EEEvT1_: ; @_ZN7rocprim17ROCPRIM_400000_NS6detail17trampoline_kernelINS0_14default_configENS1_27scan_by_key_config_selectorIllEEZZNS1_16scan_by_key_implILNS1_25lookback_scan_determinismE0ELb0ES3_N6thrust23THRUST_200600_302600_NS16reverse_iteratorIPKlEESD_NSA_IPlEElN6hipcub16HIPCUB_304000_NS3MaxENSH_8EqualityElEE10hipError_tPvRmT2_T3_T4_T5_mT6_T7_P12ihipStream_tbENKUlT_T0_E_clISt17integral_constantIbLb1EES10_EEDaSV_SW_EUlSV_E_NS1_11comp_targetILNS1_3genE9ELNS1_11target_archE1100ELNS1_3gpuE3ELNS1_3repE0EEENS1_30default_config_static_selectorELNS0_4arch9wavefront6targetE1EEEvT1_
; %bb.0:
	.section	.rodata,"a",@progbits
	.p2align	6, 0x0
	.amdhsa_kernel _ZN7rocprim17ROCPRIM_400000_NS6detail17trampoline_kernelINS0_14default_configENS1_27scan_by_key_config_selectorIllEEZZNS1_16scan_by_key_implILNS1_25lookback_scan_determinismE0ELb0ES3_N6thrust23THRUST_200600_302600_NS16reverse_iteratorIPKlEESD_NSA_IPlEElN6hipcub16HIPCUB_304000_NS3MaxENSH_8EqualityElEE10hipError_tPvRmT2_T3_T4_T5_mT6_T7_P12ihipStream_tbENKUlT_T0_E_clISt17integral_constantIbLb1EES10_EEDaSV_SW_EUlSV_E_NS1_11comp_targetILNS1_3genE9ELNS1_11target_archE1100ELNS1_3gpuE3ELNS1_3repE0EEENS1_30default_config_static_selectorELNS0_4arch9wavefront6targetE1EEEvT1_
		.amdhsa_group_segment_fixed_size 0
		.amdhsa_private_segment_fixed_size 0
		.amdhsa_kernarg_size 136
		.amdhsa_user_sgpr_count 2
		.amdhsa_user_sgpr_dispatch_ptr 0
		.amdhsa_user_sgpr_queue_ptr 0
		.amdhsa_user_sgpr_kernarg_segment_ptr 1
		.amdhsa_user_sgpr_dispatch_id 0
		.amdhsa_user_sgpr_kernarg_preload_length 0
		.amdhsa_user_sgpr_kernarg_preload_offset 0
		.amdhsa_user_sgpr_private_segment_size 0
		.amdhsa_uses_dynamic_stack 0
		.amdhsa_enable_private_segment 0
		.amdhsa_system_sgpr_workgroup_id_x 1
		.amdhsa_system_sgpr_workgroup_id_y 0
		.amdhsa_system_sgpr_workgroup_id_z 0
		.amdhsa_system_sgpr_workgroup_info 0
		.amdhsa_system_vgpr_workitem_id 0
		.amdhsa_next_free_vgpr 1
		.amdhsa_next_free_sgpr 0
		.amdhsa_accum_offset 4
		.amdhsa_reserve_vcc 0
		.amdhsa_float_round_mode_32 0
		.amdhsa_float_round_mode_16_64 0
		.amdhsa_float_denorm_mode_32 3
		.amdhsa_float_denorm_mode_16_64 3
		.amdhsa_dx10_clamp 1
		.amdhsa_ieee_mode 1
		.amdhsa_fp16_overflow 0
		.amdhsa_tg_split 0
		.amdhsa_exception_fp_ieee_invalid_op 0
		.amdhsa_exception_fp_denorm_src 0
		.amdhsa_exception_fp_ieee_div_zero 0
		.amdhsa_exception_fp_ieee_overflow 0
		.amdhsa_exception_fp_ieee_underflow 0
		.amdhsa_exception_fp_ieee_inexact 0
		.amdhsa_exception_int_div_zero 0
	.end_amdhsa_kernel
	.section	.text._ZN7rocprim17ROCPRIM_400000_NS6detail17trampoline_kernelINS0_14default_configENS1_27scan_by_key_config_selectorIllEEZZNS1_16scan_by_key_implILNS1_25lookback_scan_determinismE0ELb0ES3_N6thrust23THRUST_200600_302600_NS16reverse_iteratorIPKlEESD_NSA_IPlEElN6hipcub16HIPCUB_304000_NS3MaxENSH_8EqualityElEE10hipError_tPvRmT2_T3_T4_T5_mT6_T7_P12ihipStream_tbENKUlT_T0_E_clISt17integral_constantIbLb1EES10_EEDaSV_SW_EUlSV_E_NS1_11comp_targetILNS1_3genE9ELNS1_11target_archE1100ELNS1_3gpuE3ELNS1_3repE0EEENS1_30default_config_static_selectorELNS0_4arch9wavefront6targetE1EEEvT1_,"axG",@progbits,_ZN7rocprim17ROCPRIM_400000_NS6detail17trampoline_kernelINS0_14default_configENS1_27scan_by_key_config_selectorIllEEZZNS1_16scan_by_key_implILNS1_25lookback_scan_determinismE0ELb0ES3_N6thrust23THRUST_200600_302600_NS16reverse_iteratorIPKlEESD_NSA_IPlEElN6hipcub16HIPCUB_304000_NS3MaxENSH_8EqualityElEE10hipError_tPvRmT2_T3_T4_T5_mT6_T7_P12ihipStream_tbENKUlT_T0_E_clISt17integral_constantIbLb1EES10_EEDaSV_SW_EUlSV_E_NS1_11comp_targetILNS1_3genE9ELNS1_11target_archE1100ELNS1_3gpuE3ELNS1_3repE0EEENS1_30default_config_static_selectorELNS0_4arch9wavefront6targetE1EEEvT1_,comdat
.Lfunc_end154:
	.size	_ZN7rocprim17ROCPRIM_400000_NS6detail17trampoline_kernelINS0_14default_configENS1_27scan_by_key_config_selectorIllEEZZNS1_16scan_by_key_implILNS1_25lookback_scan_determinismE0ELb0ES3_N6thrust23THRUST_200600_302600_NS16reverse_iteratorIPKlEESD_NSA_IPlEElN6hipcub16HIPCUB_304000_NS3MaxENSH_8EqualityElEE10hipError_tPvRmT2_T3_T4_T5_mT6_T7_P12ihipStream_tbENKUlT_T0_E_clISt17integral_constantIbLb1EES10_EEDaSV_SW_EUlSV_E_NS1_11comp_targetILNS1_3genE9ELNS1_11target_archE1100ELNS1_3gpuE3ELNS1_3repE0EEENS1_30default_config_static_selectorELNS0_4arch9wavefront6targetE1EEEvT1_, .Lfunc_end154-_ZN7rocprim17ROCPRIM_400000_NS6detail17trampoline_kernelINS0_14default_configENS1_27scan_by_key_config_selectorIllEEZZNS1_16scan_by_key_implILNS1_25lookback_scan_determinismE0ELb0ES3_N6thrust23THRUST_200600_302600_NS16reverse_iteratorIPKlEESD_NSA_IPlEElN6hipcub16HIPCUB_304000_NS3MaxENSH_8EqualityElEE10hipError_tPvRmT2_T3_T4_T5_mT6_T7_P12ihipStream_tbENKUlT_T0_E_clISt17integral_constantIbLb1EES10_EEDaSV_SW_EUlSV_E_NS1_11comp_targetILNS1_3genE9ELNS1_11target_archE1100ELNS1_3gpuE3ELNS1_3repE0EEENS1_30default_config_static_selectorELNS0_4arch9wavefront6targetE1EEEvT1_
                                        ; -- End function
	.set _ZN7rocprim17ROCPRIM_400000_NS6detail17trampoline_kernelINS0_14default_configENS1_27scan_by_key_config_selectorIllEEZZNS1_16scan_by_key_implILNS1_25lookback_scan_determinismE0ELb0ES3_N6thrust23THRUST_200600_302600_NS16reverse_iteratorIPKlEESD_NSA_IPlEElN6hipcub16HIPCUB_304000_NS3MaxENSH_8EqualityElEE10hipError_tPvRmT2_T3_T4_T5_mT6_T7_P12ihipStream_tbENKUlT_T0_E_clISt17integral_constantIbLb1EES10_EEDaSV_SW_EUlSV_E_NS1_11comp_targetILNS1_3genE9ELNS1_11target_archE1100ELNS1_3gpuE3ELNS1_3repE0EEENS1_30default_config_static_selectorELNS0_4arch9wavefront6targetE1EEEvT1_.num_vgpr, 0
	.set _ZN7rocprim17ROCPRIM_400000_NS6detail17trampoline_kernelINS0_14default_configENS1_27scan_by_key_config_selectorIllEEZZNS1_16scan_by_key_implILNS1_25lookback_scan_determinismE0ELb0ES3_N6thrust23THRUST_200600_302600_NS16reverse_iteratorIPKlEESD_NSA_IPlEElN6hipcub16HIPCUB_304000_NS3MaxENSH_8EqualityElEE10hipError_tPvRmT2_T3_T4_T5_mT6_T7_P12ihipStream_tbENKUlT_T0_E_clISt17integral_constantIbLb1EES10_EEDaSV_SW_EUlSV_E_NS1_11comp_targetILNS1_3genE9ELNS1_11target_archE1100ELNS1_3gpuE3ELNS1_3repE0EEENS1_30default_config_static_selectorELNS0_4arch9wavefront6targetE1EEEvT1_.num_agpr, 0
	.set _ZN7rocprim17ROCPRIM_400000_NS6detail17trampoline_kernelINS0_14default_configENS1_27scan_by_key_config_selectorIllEEZZNS1_16scan_by_key_implILNS1_25lookback_scan_determinismE0ELb0ES3_N6thrust23THRUST_200600_302600_NS16reverse_iteratorIPKlEESD_NSA_IPlEElN6hipcub16HIPCUB_304000_NS3MaxENSH_8EqualityElEE10hipError_tPvRmT2_T3_T4_T5_mT6_T7_P12ihipStream_tbENKUlT_T0_E_clISt17integral_constantIbLb1EES10_EEDaSV_SW_EUlSV_E_NS1_11comp_targetILNS1_3genE9ELNS1_11target_archE1100ELNS1_3gpuE3ELNS1_3repE0EEENS1_30default_config_static_selectorELNS0_4arch9wavefront6targetE1EEEvT1_.numbered_sgpr, 0
	.set _ZN7rocprim17ROCPRIM_400000_NS6detail17trampoline_kernelINS0_14default_configENS1_27scan_by_key_config_selectorIllEEZZNS1_16scan_by_key_implILNS1_25lookback_scan_determinismE0ELb0ES3_N6thrust23THRUST_200600_302600_NS16reverse_iteratorIPKlEESD_NSA_IPlEElN6hipcub16HIPCUB_304000_NS3MaxENSH_8EqualityElEE10hipError_tPvRmT2_T3_T4_T5_mT6_T7_P12ihipStream_tbENKUlT_T0_E_clISt17integral_constantIbLb1EES10_EEDaSV_SW_EUlSV_E_NS1_11comp_targetILNS1_3genE9ELNS1_11target_archE1100ELNS1_3gpuE3ELNS1_3repE0EEENS1_30default_config_static_selectorELNS0_4arch9wavefront6targetE1EEEvT1_.num_named_barrier, 0
	.set _ZN7rocprim17ROCPRIM_400000_NS6detail17trampoline_kernelINS0_14default_configENS1_27scan_by_key_config_selectorIllEEZZNS1_16scan_by_key_implILNS1_25lookback_scan_determinismE0ELb0ES3_N6thrust23THRUST_200600_302600_NS16reverse_iteratorIPKlEESD_NSA_IPlEElN6hipcub16HIPCUB_304000_NS3MaxENSH_8EqualityElEE10hipError_tPvRmT2_T3_T4_T5_mT6_T7_P12ihipStream_tbENKUlT_T0_E_clISt17integral_constantIbLb1EES10_EEDaSV_SW_EUlSV_E_NS1_11comp_targetILNS1_3genE9ELNS1_11target_archE1100ELNS1_3gpuE3ELNS1_3repE0EEENS1_30default_config_static_selectorELNS0_4arch9wavefront6targetE1EEEvT1_.private_seg_size, 0
	.set _ZN7rocprim17ROCPRIM_400000_NS6detail17trampoline_kernelINS0_14default_configENS1_27scan_by_key_config_selectorIllEEZZNS1_16scan_by_key_implILNS1_25lookback_scan_determinismE0ELb0ES3_N6thrust23THRUST_200600_302600_NS16reverse_iteratorIPKlEESD_NSA_IPlEElN6hipcub16HIPCUB_304000_NS3MaxENSH_8EqualityElEE10hipError_tPvRmT2_T3_T4_T5_mT6_T7_P12ihipStream_tbENKUlT_T0_E_clISt17integral_constantIbLb1EES10_EEDaSV_SW_EUlSV_E_NS1_11comp_targetILNS1_3genE9ELNS1_11target_archE1100ELNS1_3gpuE3ELNS1_3repE0EEENS1_30default_config_static_selectorELNS0_4arch9wavefront6targetE1EEEvT1_.uses_vcc, 0
	.set _ZN7rocprim17ROCPRIM_400000_NS6detail17trampoline_kernelINS0_14default_configENS1_27scan_by_key_config_selectorIllEEZZNS1_16scan_by_key_implILNS1_25lookback_scan_determinismE0ELb0ES3_N6thrust23THRUST_200600_302600_NS16reverse_iteratorIPKlEESD_NSA_IPlEElN6hipcub16HIPCUB_304000_NS3MaxENSH_8EqualityElEE10hipError_tPvRmT2_T3_T4_T5_mT6_T7_P12ihipStream_tbENKUlT_T0_E_clISt17integral_constantIbLb1EES10_EEDaSV_SW_EUlSV_E_NS1_11comp_targetILNS1_3genE9ELNS1_11target_archE1100ELNS1_3gpuE3ELNS1_3repE0EEENS1_30default_config_static_selectorELNS0_4arch9wavefront6targetE1EEEvT1_.uses_flat_scratch, 0
	.set _ZN7rocprim17ROCPRIM_400000_NS6detail17trampoline_kernelINS0_14default_configENS1_27scan_by_key_config_selectorIllEEZZNS1_16scan_by_key_implILNS1_25lookback_scan_determinismE0ELb0ES3_N6thrust23THRUST_200600_302600_NS16reverse_iteratorIPKlEESD_NSA_IPlEElN6hipcub16HIPCUB_304000_NS3MaxENSH_8EqualityElEE10hipError_tPvRmT2_T3_T4_T5_mT6_T7_P12ihipStream_tbENKUlT_T0_E_clISt17integral_constantIbLb1EES10_EEDaSV_SW_EUlSV_E_NS1_11comp_targetILNS1_3genE9ELNS1_11target_archE1100ELNS1_3gpuE3ELNS1_3repE0EEENS1_30default_config_static_selectorELNS0_4arch9wavefront6targetE1EEEvT1_.has_dyn_sized_stack, 0
	.set _ZN7rocprim17ROCPRIM_400000_NS6detail17trampoline_kernelINS0_14default_configENS1_27scan_by_key_config_selectorIllEEZZNS1_16scan_by_key_implILNS1_25lookback_scan_determinismE0ELb0ES3_N6thrust23THRUST_200600_302600_NS16reverse_iteratorIPKlEESD_NSA_IPlEElN6hipcub16HIPCUB_304000_NS3MaxENSH_8EqualityElEE10hipError_tPvRmT2_T3_T4_T5_mT6_T7_P12ihipStream_tbENKUlT_T0_E_clISt17integral_constantIbLb1EES10_EEDaSV_SW_EUlSV_E_NS1_11comp_targetILNS1_3genE9ELNS1_11target_archE1100ELNS1_3gpuE3ELNS1_3repE0EEENS1_30default_config_static_selectorELNS0_4arch9wavefront6targetE1EEEvT1_.has_recursion, 0
	.set _ZN7rocprim17ROCPRIM_400000_NS6detail17trampoline_kernelINS0_14default_configENS1_27scan_by_key_config_selectorIllEEZZNS1_16scan_by_key_implILNS1_25lookback_scan_determinismE0ELb0ES3_N6thrust23THRUST_200600_302600_NS16reverse_iteratorIPKlEESD_NSA_IPlEElN6hipcub16HIPCUB_304000_NS3MaxENSH_8EqualityElEE10hipError_tPvRmT2_T3_T4_T5_mT6_T7_P12ihipStream_tbENKUlT_T0_E_clISt17integral_constantIbLb1EES10_EEDaSV_SW_EUlSV_E_NS1_11comp_targetILNS1_3genE9ELNS1_11target_archE1100ELNS1_3gpuE3ELNS1_3repE0EEENS1_30default_config_static_selectorELNS0_4arch9wavefront6targetE1EEEvT1_.has_indirect_call, 0
	.section	.AMDGPU.csdata,"",@progbits
; Kernel info:
; codeLenInByte = 0
; TotalNumSgprs: 6
; NumVgprs: 0
; NumAgprs: 0
; TotalNumVgprs: 0
; ScratchSize: 0
; MemoryBound: 0
; FloatMode: 240
; IeeeMode: 1
; LDSByteSize: 0 bytes/workgroup (compile time only)
; SGPRBlocks: 0
; VGPRBlocks: 0
; NumSGPRsForWavesPerEU: 6
; NumVGPRsForWavesPerEU: 1
; AccumOffset: 4
; Occupancy: 8
; WaveLimiterHint : 0
; COMPUTE_PGM_RSRC2:SCRATCH_EN: 0
; COMPUTE_PGM_RSRC2:USER_SGPR: 2
; COMPUTE_PGM_RSRC2:TRAP_HANDLER: 0
; COMPUTE_PGM_RSRC2:TGID_X_EN: 1
; COMPUTE_PGM_RSRC2:TGID_Y_EN: 0
; COMPUTE_PGM_RSRC2:TGID_Z_EN: 0
; COMPUTE_PGM_RSRC2:TIDIG_COMP_CNT: 0
; COMPUTE_PGM_RSRC3_GFX90A:ACCUM_OFFSET: 0
; COMPUTE_PGM_RSRC3_GFX90A:TG_SPLIT: 0
	.section	.text._ZN7rocprim17ROCPRIM_400000_NS6detail17trampoline_kernelINS0_14default_configENS1_27scan_by_key_config_selectorIllEEZZNS1_16scan_by_key_implILNS1_25lookback_scan_determinismE0ELb0ES3_N6thrust23THRUST_200600_302600_NS16reverse_iteratorIPKlEESD_NSA_IPlEElN6hipcub16HIPCUB_304000_NS3MaxENSH_8EqualityElEE10hipError_tPvRmT2_T3_T4_T5_mT6_T7_P12ihipStream_tbENKUlT_T0_E_clISt17integral_constantIbLb1EES10_EEDaSV_SW_EUlSV_E_NS1_11comp_targetILNS1_3genE8ELNS1_11target_archE1030ELNS1_3gpuE2ELNS1_3repE0EEENS1_30default_config_static_selectorELNS0_4arch9wavefront6targetE1EEEvT1_,"axG",@progbits,_ZN7rocprim17ROCPRIM_400000_NS6detail17trampoline_kernelINS0_14default_configENS1_27scan_by_key_config_selectorIllEEZZNS1_16scan_by_key_implILNS1_25lookback_scan_determinismE0ELb0ES3_N6thrust23THRUST_200600_302600_NS16reverse_iteratorIPKlEESD_NSA_IPlEElN6hipcub16HIPCUB_304000_NS3MaxENSH_8EqualityElEE10hipError_tPvRmT2_T3_T4_T5_mT6_T7_P12ihipStream_tbENKUlT_T0_E_clISt17integral_constantIbLb1EES10_EEDaSV_SW_EUlSV_E_NS1_11comp_targetILNS1_3genE8ELNS1_11target_archE1030ELNS1_3gpuE2ELNS1_3repE0EEENS1_30default_config_static_selectorELNS0_4arch9wavefront6targetE1EEEvT1_,comdat
	.protected	_ZN7rocprim17ROCPRIM_400000_NS6detail17trampoline_kernelINS0_14default_configENS1_27scan_by_key_config_selectorIllEEZZNS1_16scan_by_key_implILNS1_25lookback_scan_determinismE0ELb0ES3_N6thrust23THRUST_200600_302600_NS16reverse_iteratorIPKlEESD_NSA_IPlEElN6hipcub16HIPCUB_304000_NS3MaxENSH_8EqualityElEE10hipError_tPvRmT2_T3_T4_T5_mT6_T7_P12ihipStream_tbENKUlT_T0_E_clISt17integral_constantIbLb1EES10_EEDaSV_SW_EUlSV_E_NS1_11comp_targetILNS1_3genE8ELNS1_11target_archE1030ELNS1_3gpuE2ELNS1_3repE0EEENS1_30default_config_static_selectorELNS0_4arch9wavefront6targetE1EEEvT1_ ; -- Begin function _ZN7rocprim17ROCPRIM_400000_NS6detail17trampoline_kernelINS0_14default_configENS1_27scan_by_key_config_selectorIllEEZZNS1_16scan_by_key_implILNS1_25lookback_scan_determinismE0ELb0ES3_N6thrust23THRUST_200600_302600_NS16reverse_iteratorIPKlEESD_NSA_IPlEElN6hipcub16HIPCUB_304000_NS3MaxENSH_8EqualityElEE10hipError_tPvRmT2_T3_T4_T5_mT6_T7_P12ihipStream_tbENKUlT_T0_E_clISt17integral_constantIbLb1EES10_EEDaSV_SW_EUlSV_E_NS1_11comp_targetILNS1_3genE8ELNS1_11target_archE1030ELNS1_3gpuE2ELNS1_3repE0EEENS1_30default_config_static_selectorELNS0_4arch9wavefront6targetE1EEEvT1_
	.globl	_ZN7rocprim17ROCPRIM_400000_NS6detail17trampoline_kernelINS0_14default_configENS1_27scan_by_key_config_selectorIllEEZZNS1_16scan_by_key_implILNS1_25lookback_scan_determinismE0ELb0ES3_N6thrust23THRUST_200600_302600_NS16reverse_iteratorIPKlEESD_NSA_IPlEElN6hipcub16HIPCUB_304000_NS3MaxENSH_8EqualityElEE10hipError_tPvRmT2_T3_T4_T5_mT6_T7_P12ihipStream_tbENKUlT_T0_E_clISt17integral_constantIbLb1EES10_EEDaSV_SW_EUlSV_E_NS1_11comp_targetILNS1_3genE8ELNS1_11target_archE1030ELNS1_3gpuE2ELNS1_3repE0EEENS1_30default_config_static_selectorELNS0_4arch9wavefront6targetE1EEEvT1_
	.p2align	8
	.type	_ZN7rocprim17ROCPRIM_400000_NS6detail17trampoline_kernelINS0_14default_configENS1_27scan_by_key_config_selectorIllEEZZNS1_16scan_by_key_implILNS1_25lookback_scan_determinismE0ELb0ES3_N6thrust23THRUST_200600_302600_NS16reverse_iteratorIPKlEESD_NSA_IPlEElN6hipcub16HIPCUB_304000_NS3MaxENSH_8EqualityElEE10hipError_tPvRmT2_T3_T4_T5_mT6_T7_P12ihipStream_tbENKUlT_T0_E_clISt17integral_constantIbLb1EES10_EEDaSV_SW_EUlSV_E_NS1_11comp_targetILNS1_3genE8ELNS1_11target_archE1030ELNS1_3gpuE2ELNS1_3repE0EEENS1_30default_config_static_selectorELNS0_4arch9wavefront6targetE1EEEvT1_,@function
_ZN7rocprim17ROCPRIM_400000_NS6detail17trampoline_kernelINS0_14default_configENS1_27scan_by_key_config_selectorIllEEZZNS1_16scan_by_key_implILNS1_25lookback_scan_determinismE0ELb0ES3_N6thrust23THRUST_200600_302600_NS16reverse_iteratorIPKlEESD_NSA_IPlEElN6hipcub16HIPCUB_304000_NS3MaxENSH_8EqualityElEE10hipError_tPvRmT2_T3_T4_T5_mT6_T7_P12ihipStream_tbENKUlT_T0_E_clISt17integral_constantIbLb1EES10_EEDaSV_SW_EUlSV_E_NS1_11comp_targetILNS1_3genE8ELNS1_11target_archE1030ELNS1_3gpuE2ELNS1_3repE0EEENS1_30default_config_static_selectorELNS0_4arch9wavefront6targetE1EEEvT1_: ; @_ZN7rocprim17ROCPRIM_400000_NS6detail17trampoline_kernelINS0_14default_configENS1_27scan_by_key_config_selectorIllEEZZNS1_16scan_by_key_implILNS1_25lookback_scan_determinismE0ELb0ES3_N6thrust23THRUST_200600_302600_NS16reverse_iteratorIPKlEESD_NSA_IPlEElN6hipcub16HIPCUB_304000_NS3MaxENSH_8EqualityElEE10hipError_tPvRmT2_T3_T4_T5_mT6_T7_P12ihipStream_tbENKUlT_T0_E_clISt17integral_constantIbLb1EES10_EEDaSV_SW_EUlSV_E_NS1_11comp_targetILNS1_3genE8ELNS1_11target_archE1030ELNS1_3gpuE2ELNS1_3repE0EEENS1_30default_config_static_selectorELNS0_4arch9wavefront6targetE1EEEvT1_
; %bb.0:
	.section	.rodata,"a",@progbits
	.p2align	6, 0x0
	.amdhsa_kernel _ZN7rocprim17ROCPRIM_400000_NS6detail17trampoline_kernelINS0_14default_configENS1_27scan_by_key_config_selectorIllEEZZNS1_16scan_by_key_implILNS1_25lookback_scan_determinismE0ELb0ES3_N6thrust23THRUST_200600_302600_NS16reverse_iteratorIPKlEESD_NSA_IPlEElN6hipcub16HIPCUB_304000_NS3MaxENSH_8EqualityElEE10hipError_tPvRmT2_T3_T4_T5_mT6_T7_P12ihipStream_tbENKUlT_T0_E_clISt17integral_constantIbLb1EES10_EEDaSV_SW_EUlSV_E_NS1_11comp_targetILNS1_3genE8ELNS1_11target_archE1030ELNS1_3gpuE2ELNS1_3repE0EEENS1_30default_config_static_selectorELNS0_4arch9wavefront6targetE1EEEvT1_
		.amdhsa_group_segment_fixed_size 0
		.amdhsa_private_segment_fixed_size 0
		.amdhsa_kernarg_size 136
		.amdhsa_user_sgpr_count 2
		.amdhsa_user_sgpr_dispatch_ptr 0
		.amdhsa_user_sgpr_queue_ptr 0
		.amdhsa_user_sgpr_kernarg_segment_ptr 1
		.amdhsa_user_sgpr_dispatch_id 0
		.amdhsa_user_sgpr_kernarg_preload_length 0
		.amdhsa_user_sgpr_kernarg_preload_offset 0
		.amdhsa_user_sgpr_private_segment_size 0
		.amdhsa_uses_dynamic_stack 0
		.amdhsa_enable_private_segment 0
		.amdhsa_system_sgpr_workgroup_id_x 1
		.amdhsa_system_sgpr_workgroup_id_y 0
		.amdhsa_system_sgpr_workgroup_id_z 0
		.amdhsa_system_sgpr_workgroup_info 0
		.amdhsa_system_vgpr_workitem_id 0
		.amdhsa_next_free_vgpr 1
		.amdhsa_next_free_sgpr 0
		.amdhsa_accum_offset 4
		.amdhsa_reserve_vcc 0
		.amdhsa_float_round_mode_32 0
		.amdhsa_float_round_mode_16_64 0
		.amdhsa_float_denorm_mode_32 3
		.amdhsa_float_denorm_mode_16_64 3
		.amdhsa_dx10_clamp 1
		.amdhsa_ieee_mode 1
		.amdhsa_fp16_overflow 0
		.amdhsa_tg_split 0
		.amdhsa_exception_fp_ieee_invalid_op 0
		.amdhsa_exception_fp_denorm_src 0
		.amdhsa_exception_fp_ieee_div_zero 0
		.amdhsa_exception_fp_ieee_overflow 0
		.amdhsa_exception_fp_ieee_underflow 0
		.amdhsa_exception_fp_ieee_inexact 0
		.amdhsa_exception_int_div_zero 0
	.end_amdhsa_kernel
	.section	.text._ZN7rocprim17ROCPRIM_400000_NS6detail17trampoline_kernelINS0_14default_configENS1_27scan_by_key_config_selectorIllEEZZNS1_16scan_by_key_implILNS1_25lookback_scan_determinismE0ELb0ES3_N6thrust23THRUST_200600_302600_NS16reverse_iteratorIPKlEESD_NSA_IPlEElN6hipcub16HIPCUB_304000_NS3MaxENSH_8EqualityElEE10hipError_tPvRmT2_T3_T4_T5_mT6_T7_P12ihipStream_tbENKUlT_T0_E_clISt17integral_constantIbLb1EES10_EEDaSV_SW_EUlSV_E_NS1_11comp_targetILNS1_3genE8ELNS1_11target_archE1030ELNS1_3gpuE2ELNS1_3repE0EEENS1_30default_config_static_selectorELNS0_4arch9wavefront6targetE1EEEvT1_,"axG",@progbits,_ZN7rocprim17ROCPRIM_400000_NS6detail17trampoline_kernelINS0_14default_configENS1_27scan_by_key_config_selectorIllEEZZNS1_16scan_by_key_implILNS1_25lookback_scan_determinismE0ELb0ES3_N6thrust23THRUST_200600_302600_NS16reverse_iteratorIPKlEESD_NSA_IPlEElN6hipcub16HIPCUB_304000_NS3MaxENSH_8EqualityElEE10hipError_tPvRmT2_T3_T4_T5_mT6_T7_P12ihipStream_tbENKUlT_T0_E_clISt17integral_constantIbLb1EES10_EEDaSV_SW_EUlSV_E_NS1_11comp_targetILNS1_3genE8ELNS1_11target_archE1030ELNS1_3gpuE2ELNS1_3repE0EEENS1_30default_config_static_selectorELNS0_4arch9wavefront6targetE1EEEvT1_,comdat
.Lfunc_end155:
	.size	_ZN7rocprim17ROCPRIM_400000_NS6detail17trampoline_kernelINS0_14default_configENS1_27scan_by_key_config_selectorIllEEZZNS1_16scan_by_key_implILNS1_25lookback_scan_determinismE0ELb0ES3_N6thrust23THRUST_200600_302600_NS16reverse_iteratorIPKlEESD_NSA_IPlEElN6hipcub16HIPCUB_304000_NS3MaxENSH_8EqualityElEE10hipError_tPvRmT2_T3_T4_T5_mT6_T7_P12ihipStream_tbENKUlT_T0_E_clISt17integral_constantIbLb1EES10_EEDaSV_SW_EUlSV_E_NS1_11comp_targetILNS1_3genE8ELNS1_11target_archE1030ELNS1_3gpuE2ELNS1_3repE0EEENS1_30default_config_static_selectorELNS0_4arch9wavefront6targetE1EEEvT1_, .Lfunc_end155-_ZN7rocprim17ROCPRIM_400000_NS6detail17trampoline_kernelINS0_14default_configENS1_27scan_by_key_config_selectorIllEEZZNS1_16scan_by_key_implILNS1_25lookback_scan_determinismE0ELb0ES3_N6thrust23THRUST_200600_302600_NS16reverse_iteratorIPKlEESD_NSA_IPlEElN6hipcub16HIPCUB_304000_NS3MaxENSH_8EqualityElEE10hipError_tPvRmT2_T3_T4_T5_mT6_T7_P12ihipStream_tbENKUlT_T0_E_clISt17integral_constantIbLb1EES10_EEDaSV_SW_EUlSV_E_NS1_11comp_targetILNS1_3genE8ELNS1_11target_archE1030ELNS1_3gpuE2ELNS1_3repE0EEENS1_30default_config_static_selectorELNS0_4arch9wavefront6targetE1EEEvT1_
                                        ; -- End function
	.set _ZN7rocprim17ROCPRIM_400000_NS6detail17trampoline_kernelINS0_14default_configENS1_27scan_by_key_config_selectorIllEEZZNS1_16scan_by_key_implILNS1_25lookback_scan_determinismE0ELb0ES3_N6thrust23THRUST_200600_302600_NS16reverse_iteratorIPKlEESD_NSA_IPlEElN6hipcub16HIPCUB_304000_NS3MaxENSH_8EqualityElEE10hipError_tPvRmT2_T3_T4_T5_mT6_T7_P12ihipStream_tbENKUlT_T0_E_clISt17integral_constantIbLb1EES10_EEDaSV_SW_EUlSV_E_NS1_11comp_targetILNS1_3genE8ELNS1_11target_archE1030ELNS1_3gpuE2ELNS1_3repE0EEENS1_30default_config_static_selectorELNS0_4arch9wavefront6targetE1EEEvT1_.num_vgpr, 0
	.set _ZN7rocprim17ROCPRIM_400000_NS6detail17trampoline_kernelINS0_14default_configENS1_27scan_by_key_config_selectorIllEEZZNS1_16scan_by_key_implILNS1_25lookback_scan_determinismE0ELb0ES3_N6thrust23THRUST_200600_302600_NS16reverse_iteratorIPKlEESD_NSA_IPlEElN6hipcub16HIPCUB_304000_NS3MaxENSH_8EqualityElEE10hipError_tPvRmT2_T3_T4_T5_mT6_T7_P12ihipStream_tbENKUlT_T0_E_clISt17integral_constantIbLb1EES10_EEDaSV_SW_EUlSV_E_NS1_11comp_targetILNS1_3genE8ELNS1_11target_archE1030ELNS1_3gpuE2ELNS1_3repE0EEENS1_30default_config_static_selectorELNS0_4arch9wavefront6targetE1EEEvT1_.num_agpr, 0
	.set _ZN7rocprim17ROCPRIM_400000_NS6detail17trampoline_kernelINS0_14default_configENS1_27scan_by_key_config_selectorIllEEZZNS1_16scan_by_key_implILNS1_25lookback_scan_determinismE0ELb0ES3_N6thrust23THRUST_200600_302600_NS16reverse_iteratorIPKlEESD_NSA_IPlEElN6hipcub16HIPCUB_304000_NS3MaxENSH_8EqualityElEE10hipError_tPvRmT2_T3_T4_T5_mT6_T7_P12ihipStream_tbENKUlT_T0_E_clISt17integral_constantIbLb1EES10_EEDaSV_SW_EUlSV_E_NS1_11comp_targetILNS1_3genE8ELNS1_11target_archE1030ELNS1_3gpuE2ELNS1_3repE0EEENS1_30default_config_static_selectorELNS0_4arch9wavefront6targetE1EEEvT1_.numbered_sgpr, 0
	.set _ZN7rocprim17ROCPRIM_400000_NS6detail17trampoline_kernelINS0_14default_configENS1_27scan_by_key_config_selectorIllEEZZNS1_16scan_by_key_implILNS1_25lookback_scan_determinismE0ELb0ES3_N6thrust23THRUST_200600_302600_NS16reverse_iteratorIPKlEESD_NSA_IPlEElN6hipcub16HIPCUB_304000_NS3MaxENSH_8EqualityElEE10hipError_tPvRmT2_T3_T4_T5_mT6_T7_P12ihipStream_tbENKUlT_T0_E_clISt17integral_constantIbLb1EES10_EEDaSV_SW_EUlSV_E_NS1_11comp_targetILNS1_3genE8ELNS1_11target_archE1030ELNS1_3gpuE2ELNS1_3repE0EEENS1_30default_config_static_selectorELNS0_4arch9wavefront6targetE1EEEvT1_.num_named_barrier, 0
	.set _ZN7rocprim17ROCPRIM_400000_NS6detail17trampoline_kernelINS0_14default_configENS1_27scan_by_key_config_selectorIllEEZZNS1_16scan_by_key_implILNS1_25lookback_scan_determinismE0ELb0ES3_N6thrust23THRUST_200600_302600_NS16reverse_iteratorIPKlEESD_NSA_IPlEElN6hipcub16HIPCUB_304000_NS3MaxENSH_8EqualityElEE10hipError_tPvRmT2_T3_T4_T5_mT6_T7_P12ihipStream_tbENKUlT_T0_E_clISt17integral_constantIbLb1EES10_EEDaSV_SW_EUlSV_E_NS1_11comp_targetILNS1_3genE8ELNS1_11target_archE1030ELNS1_3gpuE2ELNS1_3repE0EEENS1_30default_config_static_selectorELNS0_4arch9wavefront6targetE1EEEvT1_.private_seg_size, 0
	.set _ZN7rocprim17ROCPRIM_400000_NS6detail17trampoline_kernelINS0_14default_configENS1_27scan_by_key_config_selectorIllEEZZNS1_16scan_by_key_implILNS1_25lookback_scan_determinismE0ELb0ES3_N6thrust23THRUST_200600_302600_NS16reverse_iteratorIPKlEESD_NSA_IPlEElN6hipcub16HIPCUB_304000_NS3MaxENSH_8EqualityElEE10hipError_tPvRmT2_T3_T4_T5_mT6_T7_P12ihipStream_tbENKUlT_T0_E_clISt17integral_constantIbLb1EES10_EEDaSV_SW_EUlSV_E_NS1_11comp_targetILNS1_3genE8ELNS1_11target_archE1030ELNS1_3gpuE2ELNS1_3repE0EEENS1_30default_config_static_selectorELNS0_4arch9wavefront6targetE1EEEvT1_.uses_vcc, 0
	.set _ZN7rocprim17ROCPRIM_400000_NS6detail17trampoline_kernelINS0_14default_configENS1_27scan_by_key_config_selectorIllEEZZNS1_16scan_by_key_implILNS1_25lookback_scan_determinismE0ELb0ES3_N6thrust23THRUST_200600_302600_NS16reverse_iteratorIPKlEESD_NSA_IPlEElN6hipcub16HIPCUB_304000_NS3MaxENSH_8EqualityElEE10hipError_tPvRmT2_T3_T4_T5_mT6_T7_P12ihipStream_tbENKUlT_T0_E_clISt17integral_constantIbLb1EES10_EEDaSV_SW_EUlSV_E_NS1_11comp_targetILNS1_3genE8ELNS1_11target_archE1030ELNS1_3gpuE2ELNS1_3repE0EEENS1_30default_config_static_selectorELNS0_4arch9wavefront6targetE1EEEvT1_.uses_flat_scratch, 0
	.set _ZN7rocprim17ROCPRIM_400000_NS6detail17trampoline_kernelINS0_14default_configENS1_27scan_by_key_config_selectorIllEEZZNS1_16scan_by_key_implILNS1_25lookback_scan_determinismE0ELb0ES3_N6thrust23THRUST_200600_302600_NS16reverse_iteratorIPKlEESD_NSA_IPlEElN6hipcub16HIPCUB_304000_NS3MaxENSH_8EqualityElEE10hipError_tPvRmT2_T3_T4_T5_mT6_T7_P12ihipStream_tbENKUlT_T0_E_clISt17integral_constantIbLb1EES10_EEDaSV_SW_EUlSV_E_NS1_11comp_targetILNS1_3genE8ELNS1_11target_archE1030ELNS1_3gpuE2ELNS1_3repE0EEENS1_30default_config_static_selectorELNS0_4arch9wavefront6targetE1EEEvT1_.has_dyn_sized_stack, 0
	.set _ZN7rocprim17ROCPRIM_400000_NS6detail17trampoline_kernelINS0_14default_configENS1_27scan_by_key_config_selectorIllEEZZNS1_16scan_by_key_implILNS1_25lookback_scan_determinismE0ELb0ES3_N6thrust23THRUST_200600_302600_NS16reverse_iteratorIPKlEESD_NSA_IPlEElN6hipcub16HIPCUB_304000_NS3MaxENSH_8EqualityElEE10hipError_tPvRmT2_T3_T4_T5_mT6_T7_P12ihipStream_tbENKUlT_T0_E_clISt17integral_constantIbLb1EES10_EEDaSV_SW_EUlSV_E_NS1_11comp_targetILNS1_3genE8ELNS1_11target_archE1030ELNS1_3gpuE2ELNS1_3repE0EEENS1_30default_config_static_selectorELNS0_4arch9wavefront6targetE1EEEvT1_.has_recursion, 0
	.set _ZN7rocprim17ROCPRIM_400000_NS6detail17trampoline_kernelINS0_14default_configENS1_27scan_by_key_config_selectorIllEEZZNS1_16scan_by_key_implILNS1_25lookback_scan_determinismE0ELb0ES3_N6thrust23THRUST_200600_302600_NS16reverse_iteratorIPKlEESD_NSA_IPlEElN6hipcub16HIPCUB_304000_NS3MaxENSH_8EqualityElEE10hipError_tPvRmT2_T3_T4_T5_mT6_T7_P12ihipStream_tbENKUlT_T0_E_clISt17integral_constantIbLb1EES10_EEDaSV_SW_EUlSV_E_NS1_11comp_targetILNS1_3genE8ELNS1_11target_archE1030ELNS1_3gpuE2ELNS1_3repE0EEENS1_30default_config_static_selectorELNS0_4arch9wavefront6targetE1EEEvT1_.has_indirect_call, 0
	.section	.AMDGPU.csdata,"",@progbits
; Kernel info:
; codeLenInByte = 0
; TotalNumSgprs: 6
; NumVgprs: 0
; NumAgprs: 0
; TotalNumVgprs: 0
; ScratchSize: 0
; MemoryBound: 0
; FloatMode: 240
; IeeeMode: 1
; LDSByteSize: 0 bytes/workgroup (compile time only)
; SGPRBlocks: 0
; VGPRBlocks: 0
; NumSGPRsForWavesPerEU: 6
; NumVGPRsForWavesPerEU: 1
; AccumOffset: 4
; Occupancy: 8
; WaveLimiterHint : 0
; COMPUTE_PGM_RSRC2:SCRATCH_EN: 0
; COMPUTE_PGM_RSRC2:USER_SGPR: 2
; COMPUTE_PGM_RSRC2:TRAP_HANDLER: 0
; COMPUTE_PGM_RSRC2:TGID_X_EN: 1
; COMPUTE_PGM_RSRC2:TGID_Y_EN: 0
; COMPUTE_PGM_RSRC2:TGID_Z_EN: 0
; COMPUTE_PGM_RSRC2:TIDIG_COMP_CNT: 0
; COMPUTE_PGM_RSRC3_GFX90A:ACCUM_OFFSET: 0
; COMPUTE_PGM_RSRC3_GFX90A:TG_SPLIT: 0
	.section	.text._ZN7rocprim17ROCPRIM_400000_NS6detail30init_device_scan_by_key_kernelINS1_19lookback_scan_stateINS0_5tupleIJlbEEELb1ELb0EEEN6thrust23THRUST_200600_302600_NS16reverse_iteratorIPKlEEjNS1_16block_id_wrapperIjLb0EEEEEvT_jjPNSF_10value_typeET0_PNSt15iterator_traitsISI_E10value_typeEmT1_T2_,"axG",@progbits,_ZN7rocprim17ROCPRIM_400000_NS6detail30init_device_scan_by_key_kernelINS1_19lookback_scan_stateINS0_5tupleIJlbEEELb1ELb0EEEN6thrust23THRUST_200600_302600_NS16reverse_iteratorIPKlEEjNS1_16block_id_wrapperIjLb0EEEEEvT_jjPNSF_10value_typeET0_PNSt15iterator_traitsISI_E10value_typeEmT1_T2_,comdat
	.protected	_ZN7rocprim17ROCPRIM_400000_NS6detail30init_device_scan_by_key_kernelINS1_19lookback_scan_stateINS0_5tupleIJlbEEELb1ELb0EEEN6thrust23THRUST_200600_302600_NS16reverse_iteratorIPKlEEjNS1_16block_id_wrapperIjLb0EEEEEvT_jjPNSF_10value_typeET0_PNSt15iterator_traitsISI_E10value_typeEmT1_T2_ ; -- Begin function _ZN7rocprim17ROCPRIM_400000_NS6detail30init_device_scan_by_key_kernelINS1_19lookback_scan_stateINS0_5tupleIJlbEEELb1ELb0EEEN6thrust23THRUST_200600_302600_NS16reverse_iteratorIPKlEEjNS1_16block_id_wrapperIjLb0EEEEEvT_jjPNSF_10value_typeET0_PNSt15iterator_traitsISI_E10value_typeEmT1_T2_
	.globl	_ZN7rocprim17ROCPRIM_400000_NS6detail30init_device_scan_by_key_kernelINS1_19lookback_scan_stateINS0_5tupleIJlbEEELb1ELb0EEEN6thrust23THRUST_200600_302600_NS16reverse_iteratorIPKlEEjNS1_16block_id_wrapperIjLb0EEEEEvT_jjPNSF_10value_typeET0_PNSt15iterator_traitsISI_E10value_typeEmT1_T2_
	.p2align	8
	.type	_ZN7rocprim17ROCPRIM_400000_NS6detail30init_device_scan_by_key_kernelINS1_19lookback_scan_stateINS0_5tupleIJlbEEELb1ELb0EEEN6thrust23THRUST_200600_302600_NS16reverse_iteratorIPKlEEjNS1_16block_id_wrapperIjLb0EEEEEvT_jjPNSF_10value_typeET0_PNSt15iterator_traitsISI_E10value_typeEmT1_T2_,@function
_ZN7rocprim17ROCPRIM_400000_NS6detail30init_device_scan_by_key_kernelINS1_19lookback_scan_stateINS0_5tupleIJlbEEELb1ELb0EEEN6thrust23THRUST_200600_302600_NS16reverse_iteratorIPKlEEjNS1_16block_id_wrapperIjLb0EEEEEvT_jjPNSF_10value_typeET0_PNSt15iterator_traitsISI_E10value_typeEmT1_T2_: ; @_ZN7rocprim17ROCPRIM_400000_NS6detail30init_device_scan_by_key_kernelINS1_19lookback_scan_stateINS0_5tupleIJlbEEELb1ELb0EEEN6thrust23THRUST_200600_302600_NS16reverse_iteratorIPKlEEjNS1_16block_id_wrapperIjLb0EEEEEvT_jjPNSF_10value_typeET0_PNSt15iterator_traitsISI_E10value_typeEmT1_T2_
; %bb.0:
	s_load_dword s3, s[0:1], 0x54
	s_load_dwordx8 s[4:11], s[0:1], 0x10
	s_load_dword s20, s[0:1], 0x48
	s_waitcnt lgkmcnt(0)
	s_and_b32 s21, s3, 0xffff
	s_mul_i32 s2, s2, s21
	s_cmp_eq_u64 s[8:9], 0
	v_add_u32_e32 v0, s2, v0
	s_cbranch_scc1 .LBB156_9
; %bb.1:
	s_cmp_lt_u32 s7, s6
	s_cselect_b32 s2, s7, 0
	s_mov_b32 s17, 0
	v_cmp_eq_u32_e32 vcc, s2, v0
	s_and_saveexec_b64 s[2:3], vcc
	s_cbranch_execz .LBB156_8
; %bb.2:
	s_add_i32 s16, s7, 64
	v_mov_b32_e32 v1, s16
	global_load_ubyte v2, v1, s[4:5] sc1
	s_load_dwordx4 s[12:15], s[0:1], 0x0
	v_mov_b32_e32 v1, 0
	s_add_u32 s18, s4, s16
	s_addc_u32 s19, s5, 0
	s_waitcnt vmcnt(0)
	v_cmp_ne_u32_sdwa s[22:23], v2, v1 src0_sel:WORD_0 src1_sel:DWORD
	s_and_b64 vcc, exec, s[22:23]
	v_readfirstlane_b32 s22, v2
	s_cbranch_vccnz .LBB156_7
; %bb.3:
	s_mov_b32 s7, 1
.LBB156_4:                              ; =>This Loop Header: Depth=1
                                        ;     Child Loop BB156_5 Depth 2
	s_mov_b32 s22, s7
.LBB156_5:                              ;   Parent Loop BB156_4 Depth=1
                                        ; =>  This Inner Loop Header: Depth=2
	s_add_i32 s22, s22, -1
	s_cmp_eq_u32 s22, 0
	s_sleep 1
	s_cbranch_scc0 .LBB156_5
; %bb.6:                                ;   in Loop: Header=BB156_4 Depth=1
	global_load_ubyte v2, v1, s[18:19] sc1
	s_cmp_lt_u32 s7, 32
	s_cselect_b64 s[22:23], -1, 0
	s_cmp_lg_u64 s[22:23], 0
	s_addc_u32 s7, s7, 0
	s_waitcnt vmcnt(0)
	v_cmp_ne_u32_sdwa s[22:23], v2, v1 src0_sel:WORD_0 src1_sel:DWORD
	s_and_b64 vcc, exec, s[22:23]
	v_readfirstlane_b32 s22, v2
	s_cbranch_vccz .LBB156_4
.LBB156_7:
	s_and_b32 s7, 0xffff, s22
	s_cmp_eq_u32 s7, 1
	s_waitcnt lgkmcnt(0)
	s_cselect_b32 s7, s13, s15
	s_cselect_b32 s14, s12, s14
	s_lshl_b64 s[12:13], s[16:17], 4
	s_add_u32 s12, s14, s12
	s_addc_u32 s13, s7, s13
	v_mov_b32_e32 v1, 0
	s_waitcnt vmcnt(0)
	global_load_dword v4, v1, s[12:13] sc1
	global_load_dword v5, v1, s[12:13] offset:4 sc1
	global_load_dword v2, v1, s[12:13] offset:8 sc1
	;; [unrolled: 1-line block ×3, first 2 shown]
	s_waitcnt vmcnt(2)
	global_store_dwordx2 v1, v[4:5], s[8:9]
	s_waitcnt vmcnt(2)
	global_store_byte v1, v2, s[8:9] offset:8
.LBB156_8:
	s_or_b64 exec, exec, s[2:3]
.LBB156_9:
	v_cmp_gt_u32_e32 vcc, s6, v0
	s_and_saveexec_b64 s[2:3], vcc
	s_cbranch_execz .LBB156_11
; %bb.10:
	v_add_u32_e32 v1, 64, v0
	v_mov_b32_e32 v2, 0
	global_store_byte v1, v2, s[4:5]
.LBB156_11:
	s_or_b64 exec, exec, s[2:3]
	v_cmp_gt_u32_e32 vcc, 64, v0
	v_mov_b32_e32 v1, 0
	s_and_saveexec_b64 s[2:3], vcc
	s_cbranch_execz .LBB156_13
; %bb.12:
	s_waitcnt vmcnt(2)
	v_lshl_add_u64 v[2:3], s[4:5], 0, v[0:1]
	v_mov_b32_e32 v4, 0xff
	global_store_byte v[2:3], v4, off
.LBB156_13:
	s_or_b64 exec, exec, s[2:3]
	s_load_dwordx2 s[2:3], s[0:1], 0x38
	s_waitcnt lgkmcnt(0)
	v_cmp_gt_u64_e32 vcc, s[2:3], v[0:1]
	s_and_saveexec_b64 s[4:5], vcc
	s_cbranch_execz .LBB156_16
; %bb.14:
	s_load_dword s6, s[0:1], 0x40
	s_load_dwordx2 s[8:9], s[0:1], 0x30
	v_mov_b32_e32 v5, 0
	s_mul_i32 s0, s20, s21
	v_mov_b32_e32 v2, s10
	s_waitcnt lgkmcnt(0)
	s_add_i32 s4, s6, -1
	v_mov_b32_e32 v4, s4
	v_mad_u64_u32 v[4:5], s[4:5], s6, v0, v[4:5]
	s_mul_hi_u32 s5, s6, s0
	s_mul_i32 s4, s6, s0
	s_lshl_b64 s[6:7], s[4:5], 3
	s_waitcnt vmcnt(2)
	v_mov_b32_e32 v3, s11
	s_mov_b32 s1, 0
	v_not_b32_e32 v5, v5
	v_not_b32_e32 v4, v4
	s_sub_u32 s6, 0, s6
	v_lshl_add_u64 v[2:3], v[4:5], 3, v[2:3]
	s_mov_b64 s[4:5], 0
	s_subb_u32 s7, 0, s7
	v_lshl_add_u64 v[4:5], v[0:1], 3, s[8:9]
	s_lshl_b64 s[8:9], s[0:1], 3
.LBB156_15:                             ; =>This Inner Loop Header: Depth=1
	global_load_dwordx2 v[6:7], v[2:3], off
	v_lshl_add_u64 v[0:1], v[0:1], 0, s[0:1]
	v_cmp_le_u64_e32 vcc, s[2:3], v[0:1]
	v_lshl_add_u64 v[2:3], v[2:3], 0, s[6:7]
	s_or_b64 s[4:5], vcc, s[4:5]
	s_waitcnt vmcnt(0)
	global_store_dwordx2 v[4:5], v[6:7], off
	v_lshl_add_u64 v[4:5], v[4:5], 0, s[8:9]
	s_andn2_b64 exec, exec, s[4:5]
	s_cbranch_execnz .LBB156_15
.LBB156_16:
	s_endpgm
	.section	.rodata,"a",@progbits
	.p2align	6, 0x0
	.amdhsa_kernel _ZN7rocprim17ROCPRIM_400000_NS6detail30init_device_scan_by_key_kernelINS1_19lookback_scan_stateINS0_5tupleIJlbEEELb1ELb0EEEN6thrust23THRUST_200600_302600_NS16reverse_iteratorIPKlEEjNS1_16block_id_wrapperIjLb0EEEEEvT_jjPNSF_10value_typeET0_PNSt15iterator_traitsISI_E10value_typeEmT1_T2_
		.amdhsa_group_segment_fixed_size 0
		.amdhsa_private_segment_fixed_size 0
		.amdhsa_kernarg_size 328
		.amdhsa_user_sgpr_count 2
		.amdhsa_user_sgpr_dispatch_ptr 0
		.amdhsa_user_sgpr_queue_ptr 0
		.amdhsa_user_sgpr_kernarg_segment_ptr 1
		.amdhsa_user_sgpr_dispatch_id 0
		.amdhsa_user_sgpr_kernarg_preload_length 0
		.amdhsa_user_sgpr_kernarg_preload_offset 0
		.amdhsa_user_sgpr_private_segment_size 0
		.amdhsa_uses_dynamic_stack 0
		.amdhsa_enable_private_segment 0
		.amdhsa_system_sgpr_workgroup_id_x 1
		.amdhsa_system_sgpr_workgroup_id_y 0
		.amdhsa_system_sgpr_workgroup_id_z 0
		.amdhsa_system_sgpr_workgroup_info 0
		.amdhsa_system_vgpr_workitem_id 0
		.amdhsa_next_free_vgpr 8
		.amdhsa_next_free_sgpr 24
		.amdhsa_accum_offset 8
		.amdhsa_reserve_vcc 1
		.amdhsa_float_round_mode_32 0
		.amdhsa_float_round_mode_16_64 0
		.amdhsa_float_denorm_mode_32 3
		.amdhsa_float_denorm_mode_16_64 3
		.amdhsa_dx10_clamp 1
		.amdhsa_ieee_mode 1
		.amdhsa_fp16_overflow 0
		.amdhsa_tg_split 0
		.amdhsa_exception_fp_ieee_invalid_op 0
		.amdhsa_exception_fp_denorm_src 0
		.amdhsa_exception_fp_ieee_div_zero 0
		.amdhsa_exception_fp_ieee_overflow 0
		.amdhsa_exception_fp_ieee_underflow 0
		.amdhsa_exception_fp_ieee_inexact 0
		.amdhsa_exception_int_div_zero 0
	.end_amdhsa_kernel
	.section	.text._ZN7rocprim17ROCPRIM_400000_NS6detail30init_device_scan_by_key_kernelINS1_19lookback_scan_stateINS0_5tupleIJlbEEELb1ELb0EEEN6thrust23THRUST_200600_302600_NS16reverse_iteratorIPKlEEjNS1_16block_id_wrapperIjLb0EEEEEvT_jjPNSF_10value_typeET0_PNSt15iterator_traitsISI_E10value_typeEmT1_T2_,"axG",@progbits,_ZN7rocprim17ROCPRIM_400000_NS6detail30init_device_scan_by_key_kernelINS1_19lookback_scan_stateINS0_5tupleIJlbEEELb1ELb0EEEN6thrust23THRUST_200600_302600_NS16reverse_iteratorIPKlEEjNS1_16block_id_wrapperIjLb0EEEEEvT_jjPNSF_10value_typeET0_PNSt15iterator_traitsISI_E10value_typeEmT1_T2_,comdat
.Lfunc_end156:
	.size	_ZN7rocprim17ROCPRIM_400000_NS6detail30init_device_scan_by_key_kernelINS1_19lookback_scan_stateINS0_5tupleIJlbEEELb1ELb0EEEN6thrust23THRUST_200600_302600_NS16reverse_iteratorIPKlEEjNS1_16block_id_wrapperIjLb0EEEEEvT_jjPNSF_10value_typeET0_PNSt15iterator_traitsISI_E10value_typeEmT1_T2_, .Lfunc_end156-_ZN7rocprim17ROCPRIM_400000_NS6detail30init_device_scan_by_key_kernelINS1_19lookback_scan_stateINS0_5tupleIJlbEEELb1ELb0EEEN6thrust23THRUST_200600_302600_NS16reverse_iteratorIPKlEEjNS1_16block_id_wrapperIjLb0EEEEEvT_jjPNSF_10value_typeET0_PNSt15iterator_traitsISI_E10value_typeEmT1_T2_
                                        ; -- End function
	.set _ZN7rocprim17ROCPRIM_400000_NS6detail30init_device_scan_by_key_kernelINS1_19lookback_scan_stateINS0_5tupleIJlbEEELb1ELb0EEEN6thrust23THRUST_200600_302600_NS16reverse_iteratorIPKlEEjNS1_16block_id_wrapperIjLb0EEEEEvT_jjPNSF_10value_typeET0_PNSt15iterator_traitsISI_E10value_typeEmT1_T2_.num_vgpr, 8
	.set _ZN7rocprim17ROCPRIM_400000_NS6detail30init_device_scan_by_key_kernelINS1_19lookback_scan_stateINS0_5tupleIJlbEEELb1ELb0EEEN6thrust23THRUST_200600_302600_NS16reverse_iteratorIPKlEEjNS1_16block_id_wrapperIjLb0EEEEEvT_jjPNSF_10value_typeET0_PNSt15iterator_traitsISI_E10value_typeEmT1_T2_.num_agpr, 0
	.set _ZN7rocprim17ROCPRIM_400000_NS6detail30init_device_scan_by_key_kernelINS1_19lookback_scan_stateINS0_5tupleIJlbEEELb1ELb0EEEN6thrust23THRUST_200600_302600_NS16reverse_iteratorIPKlEEjNS1_16block_id_wrapperIjLb0EEEEEvT_jjPNSF_10value_typeET0_PNSt15iterator_traitsISI_E10value_typeEmT1_T2_.numbered_sgpr, 24
	.set _ZN7rocprim17ROCPRIM_400000_NS6detail30init_device_scan_by_key_kernelINS1_19lookback_scan_stateINS0_5tupleIJlbEEELb1ELb0EEEN6thrust23THRUST_200600_302600_NS16reverse_iteratorIPKlEEjNS1_16block_id_wrapperIjLb0EEEEEvT_jjPNSF_10value_typeET0_PNSt15iterator_traitsISI_E10value_typeEmT1_T2_.num_named_barrier, 0
	.set _ZN7rocprim17ROCPRIM_400000_NS6detail30init_device_scan_by_key_kernelINS1_19lookback_scan_stateINS0_5tupleIJlbEEELb1ELb0EEEN6thrust23THRUST_200600_302600_NS16reverse_iteratorIPKlEEjNS1_16block_id_wrapperIjLb0EEEEEvT_jjPNSF_10value_typeET0_PNSt15iterator_traitsISI_E10value_typeEmT1_T2_.private_seg_size, 0
	.set _ZN7rocprim17ROCPRIM_400000_NS6detail30init_device_scan_by_key_kernelINS1_19lookback_scan_stateINS0_5tupleIJlbEEELb1ELb0EEEN6thrust23THRUST_200600_302600_NS16reverse_iteratorIPKlEEjNS1_16block_id_wrapperIjLb0EEEEEvT_jjPNSF_10value_typeET0_PNSt15iterator_traitsISI_E10value_typeEmT1_T2_.uses_vcc, 1
	.set _ZN7rocprim17ROCPRIM_400000_NS6detail30init_device_scan_by_key_kernelINS1_19lookback_scan_stateINS0_5tupleIJlbEEELb1ELb0EEEN6thrust23THRUST_200600_302600_NS16reverse_iteratorIPKlEEjNS1_16block_id_wrapperIjLb0EEEEEvT_jjPNSF_10value_typeET0_PNSt15iterator_traitsISI_E10value_typeEmT1_T2_.uses_flat_scratch, 0
	.set _ZN7rocprim17ROCPRIM_400000_NS6detail30init_device_scan_by_key_kernelINS1_19lookback_scan_stateINS0_5tupleIJlbEEELb1ELb0EEEN6thrust23THRUST_200600_302600_NS16reverse_iteratorIPKlEEjNS1_16block_id_wrapperIjLb0EEEEEvT_jjPNSF_10value_typeET0_PNSt15iterator_traitsISI_E10value_typeEmT1_T2_.has_dyn_sized_stack, 0
	.set _ZN7rocprim17ROCPRIM_400000_NS6detail30init_device_scan_by_key_kernelINS1_19lookback_scan_stateINS0_5tupleIJlbEEELb1ELb0EEEN6thrust23THRUST_200600_302600_NS16reverse_iteratorIPKlEEjNS1_16block_id_wrapperIjLb0EEEEEvT_jjPNSF_10value_typeET0_PNSt15iterator_traitsISI_E10value_typeEmT1_T2_.has_recursion, 0
	.set _ZN7rocprim17ROCPRIM_400000_NS6detail30init_device_scan_by_key_kernelINS1_19lookback_scan_stateINS0_5tupleIJlbEEELb1ELb0EEEN6thrust23THRUST_200600_302600_NS16reverse_iteratorIPKlEEjNS1_16block_id_wrapperIjLb0EEEEEvT_jjPNSF_10value_typeET0_PNSt15iterator_traitsISI_E10value_typeEmT1_T2_.has_indirect_call, 0
	.section	.AMDGPU.csdata,"",@progbits
; Kernel info:
; codeLenInByte = 592
; TotalNumSgprs: 30
; NumVgprs: 8
; NumAgprs: 0
; TotalNumVgprs: 8
; ScratchSize: 0
; MemoryBound: 0
; FloatMode: 240
; IeeeMode: 1
; LDSByteSize: 0 bytes/workgroup (compile time only)
; SGPRBlocks: 3
; VGPRBlocks: 0
; NumSGPRsForWavesPerEU: 30
; NumVGPRsForWavesPerEU: 8
; AccumOffset: 8
; Occupancy: 8
; WaveLimiterHint : 0
; COMPUTE_PGM_RSRC2:SCRATCH_EN: 0
; COMPUTE_PGM_RSRC2:USER_SGPR: 2
; COMPUTE_PGM_RSRC2:TRAP_HANDLER: 0
; COMPUTE_PGM_RSRC2:TGID_X_EN: 1
; COMPUTE_PGM_RSRC2:TGID_Y_EN: 0
; COMPUTE_PGM_RSRC2:TGID_Z_EN: 0
; COMPUTE_PGM_RSRC2:TIDIG_COMP_CNT: 0
; COMPUTE_PGM_RSRC3_GFX90A:ACCUM_OFFSET: 1
; COMPUTE_PGM_RSRC3_GFX90A:TG_SPLIT: 0
	.section	.text._ZN7rocprim17ROCPRIM_400000_NS6detail17trampoline_kernelINS0_14default_configENS1_27scan_by_key_config_selectorIllEEZZNS1_16scan_by_key_implILNS1_25lookback_scan_determinismE0ELb0ES3_N6thrust23THRUST_200600_302600_NS16reverse_iteratorIPKlEESD_NSA_IPlEElN6hipcub16HIPCUB_304000_NS3MaxENSH_8EqualityElEE10hipError_tPvRmT2_T3_T4_T5_mT6_T7_P12ihipStream_tbENKUlT_T0_E_clISt17integral_constantIbLb1EESZ_IbLb0EEEEDaSV_SW_EUlSV_E_NS1_11comp_targetILNS1_3genE0ELNS1_11target_archE4294967295ELNS1_3gpuE0ELNS1_3repE0EEENS1_30default_config_static_selectorELNS0_4arch9wavefront6targetE1EEEvT1_,"axG",@progbits,_ZN7rocprim17ROCPRIM_400000_NS6detail17trampoline_kernelINS0_14default_configENS1_27scan_by_key_config_selectorIllEEZZNS1_16scan_by_key_implILNS1_25lookback_scan_determinismE0ELb0ES3_N6thrust23THRUST_200600_302600_NS16reverse_iteratorIPKlEESD_NSA_IPlEElN6hipcub16HIPCUB_304000_NS3MaxENSH_8EqualityElEE10hipError_tPvRmT2_T3_T4_T5_mT6_T7_P12ihipStream_tbENKUlT_T0_E_clISt17integral_constantIbLb1EESZ_IbLb0EEEEDaSV_SW_EUlSV_E_NS1_11comp_targetILNS1_3genE0ELNS1_11target_archE4294967295ELNS1_3gpuE0ELNS1_3repE0EEENS1_30default_config_static_selectorELNS0_4arch9wavefront6targetE1EEEvT1_,comdat
	.protected	_ZN7rocprim17ROCPRIM_400000_NS6detail17trampoline_kernelINS0_14default_configENS1_27scan_by_key_config_selectorIllEEZZNS1_16scan_by_key_implILNS1_25lookback_scan_determinismE0ELb0ES3_N6thrust23THRUST_200600_302600_NS16reverse_iteratorIPKlEESD_NSA_IPlEElN6hipcub16HIPCUB_304000_NS3MaxENSH_8EqualityElEE10hipError_tPvRmT2_T3_T4_T5_mT6_T7_P12ihipStream_tbENKUlT_T0_E_clISt17integral_constantIbLb1EESZ_IbLb0EEEEDaSV_SW_EUlSV_E_NS1_11comp_targetILNS1_3genE0ELNS1_11target_archE4294967295ELNS1_3gpuE0ELNS1_3repE0EEENS1_30default_config_static_selectorELNS0_4arch9wavefront6targetE1EEEvT1_ ; -- Begin function _ZN7rocprim17ROCPRIM_400000_NS6detail17trampoline_kernelINS0_14default_configENS1_27scan_by_key_config_selectorIllEEZZNS1_16scan_by_key_implILNS1_25lookback_scan_determinismE0ELb0ES3_N6thrust23THRUST_200600_302600_NS16reverse_iteratorIPKlEESD_NSA_IPlEElN6hipcub16HIPCUB_304000_NS3MaxENSH_8EqualityElEE10hipError_tPvRmT2_T3_T4_T5_mT6_T7_P12ihipStream_tbENKUlT_T0_E_clISt17integral_constantIbLb1EESZ_IbLb0EEEEDaSV_SW_EUlSV_E_NS1_11comp_targetILNS1_3genE0ELNS1_11target_archE4294967295ELNS1_3gpuE0ELNS1_3repE0EEENS1_30default_config_static_selectorELNS0_4arch9wavefront6targetE1EEEvT1_
	.globl	_ZN7rocprim17ROCPRIM_400000_NS6detail17trampoline_kernelINS0_14default_configENS1_27scan_by_key_config_selectorIllEEZZNS1_16scan_by_key_implILNS1_25lookback_scan_determinismE0ELb0ES3_N6thrust23THRUST_200600_302600_NS16reverse_iteratorIPKlEESD_NSA_IPlEElN6hipcub16HIPCUB_304000_NS3MaxENSH_8EqualityElEE10hipError_tPvRmT2_T3_T4_T5_mT6_T7_P12ihipStream_tbENKUlT_T0_E_clISt17integral_constantIbLb1EESZ_IbLb0EEEEDaSV_SW_EUlSV_E_NS1_11comp_targetILNS1_3genE0ELNS1_11target_archE4294967295ELNS1_3gpuE0ELNS1_3repE0EEENS1_30default_config_static_selectorELNS0_4arch9wavefront6targetE1EEEvT1_
	.p2align	8
	.type	_ZN7rocprim17ROCPRIM_400000_NS6detail17trampoline_kernelINS0_14default_configENS1_27scan_by_key_config_selectorIllEEZZNS1_16scan_by_key_implILNS1_25lookback_scan_determinismE0ELb0ES3_N6thrust23THRUST_200600_302600_NS16reverse_iteratorIPKlEESD_NSA_IPlEElN6hipcub16HIPCUB_304000_NS3MaxENSH_8EqualityElEE10hipError_tPvRmT2_T3_T4_T5_mT6_T7_P12ihipStream_tbENKUlT_T0_E_clISt17integral_constantIbLb1EESZ_IbLb0EEEEDaSV_SW_EUlSV_E_NS1_11comp_targetILNS1_3genE0ELNS1_11target_archE4294967295ELNS1_3gpuE0ELNS1_3repE0EEENS1_30default_config_static_selectorELNS0_4arch9wavefront6targetE1EEEvT1_,@function
_ZN7rocprim17ROCPRIM_400000_NS6detail17trampoline_kernelINS0_14default_configENS1_27scan_by_key_config_selectorIllEEZZNS1_16scan_by_key_implILNS1_25lookback_scan_determinismE0ELb0ES3_N6thrust23THRUST_200600_302600_NS16reverse_iteratorIPKlEESD_NSA_IPlEElN6hipcub16HIPCUB_304000_NS3MaxENSH_8EqualityElEE10hipError_tPvRmT2_T3_T4_T5_mT6_T7_P12ihipStream_tbENKUlT_T0_E_clISt17integral_constantIbLb1EESZ_IbLb0EEEEDaSV_SW_EUlSV_E_NS1_11comp_targetILNS1_3genE0ELNS1_11target_archE4294967295ELNS1_3gpuE0ELNS1_3repE0EEENS1_30default_config_static_selectorELNS0_4arch9wavefront6targetE1EEEvT1_: ; @_ZN7rocprim17ROCPRIM_400000_NS6detail17trampoline_kernelINS0_14default_configENS1_27scan_by_key_config_selectorIllEEZZNS1_16scan_by_key_implILNS1_25lookback_scan_determinismE0ELb0ES3_N6thrust23THRUST_200600_302600_NS16reverse_iteratorIPKlEESD_NSA_IPlEElN6hipcub16HIPCUB_304000_NS3MaxENSH_8EqualityElEE10hipError_tPvRmT2_T3_T4_T5_mT6_T7_P12ihipStream_tbENKUlT_T0_E_clISt17integral_constantIbLb1EESZ_IbLb0EEEEDaSV_SW_EUlSV_E_NS1_11comp_targetILNS1_3genE0ELNS1_11target_archE4294967295ELNS1_3gpuE0ELNS1_3repE0EEENS1_30default_config_static_selectorELNS0_4arch9wavefront6targetE1EEEvT1_
; %bb.0:
	s_endpgm
	.section	.rodata,"a",@progbits
	.p2align	6, 0x0
	.amdhsa_kernel _ZN7rocprim17ROCPRIM_400000_NS6detail17trampoline_kernelINS0_14default_configENS1_27scan_by_key_config_selectorIllEEZZNS1_16scan_by_key_implILNS1_25lookback_scan_determinismE0ELb0ES3_N6thrust23THRUST_200600_302600_NS16reverse_iteratorIPKlEESD_NSA_IPlEElN6hipcub16HIPCUB_304000_NS3MaxENSH_8EqualityElEE10hipError_tPvRmT2_T3_T4_T5_mT6_T7_P12ihipStream_tbENKUlT_T0_E_clISt17integral_constantIbLb1EESZ_IbLb0EEEEDaSV_SW_EUlSV_E_NS1_11comp_targetILNS1_3genE0ELNS1_11target_archE4294967295ELNS1_3gpuE0ELNS1_3repE0EEENS1_30default_config_static_selectorELNS0_4arch9wavefront6targetE1EEEvT1_
		.amdhsa_group_segment_fixed_size 0
		.amdhsa_private_segment_fixed_size 0
		.amdhsa_kernarg_size 136
		.amdhsa_user_sgpr_count 2
		.amdhsa_user_sgpr_dispatch_ptr 0
		.amdhsa_user_sgpr_queue_ptr 0
		.amdhsa_user_sgpr_kernarg_segment_ptr 1
		.amdhsa_user_sgpr_dispatch_id 0
		.amdhsa_user_sgpr_kernarg_preload_length 0
		.amdhsa_user_sgpr_kernarg_preload_offset 0
		.amdhsa_user_sgpr_private_segment_size 0
		.amdhsa_uses_dynamic_stack 0
		.amdhsa_enable_private_segment 0
		.amdhsa_system_sgpr_workgroup_id_x 1
		.amdhsa_system_sgpr_workgroup_id_y 0
		.amdhsa_system_sgpr_workgroup_id_z 0
		.amdhsa_system_sgpr_workgroup_info 0
		.amdhsa_system_vgpr_workitem_id 0
		.amdhsa_next_free_vgpr 1
		.amdhsa_next_free_sgpr 0
		.amdhsa_accum_offset 4
		.amdhsa_reserve_vcc 0
		.amdhsa_float_round_mode_32 0
		.amdhsa_float_round_mode_16_64 0
		.amdhsa_float_denorm_mode_32 3
		.amdhsa_float_denorm_mode_16_64 3
		.amdhsa_dx10_clamp 1
		.amdhsa_ieee_mode 1
		.amdhsa_fp16_overflow 0
		.amdhsa_tg_split 0
		.amdhsa_exception_fp_ieee_invalid_op 0
		.amdhsa_exception_fp_denorm_src 0
		.amdhsa_exception_fp_ieee_div_zero 0
		.amdhsa_exception_fp_ieee_overflow 0
		.amdhsa_exception_fp_ieee_underflow 0
		.amdhsa_exception_fp_ieee_inexact 0
		.amdhsa_exception_int_div_zero 0
	.end_amdhsa_kernel
	.section	.text._ZN7rocprim17ROCPRIM_400000_NS6detail17trampoline_kernelINS0_14default_configENS1_27scan_by_key_config_selectorIllEEZZNS1_16scan_by_key_implILNS1_25lookback_scan_determinismE0ELb0ES3_N6thrust23THRUST_200600_302600_NS16reverse_iteratorIPKlEESD_NSA_IPlEElN6hipcub16HIPCUB_304000_NS3MaxENSH_8EqualityElEE10hipError_tPvRmT2_T3_T4_T5_mT6_T7_P12ihipStream_tbENKUlT_T0_E_clISt17integral_constantIbLb1EESZ_IbLb0EEEEDaSV_SW_EUlSV_E_NS1_11comp_targetILNS1_3genE0ELNS1_11target_archE4294967295ELNS1_3gpuE0ELNS1_3repE0EEENS1_30default_config_static_selectorELNS0_4arch9wavefront6targetE1EEEvT1_,"axG",@progbits,_ZN7rocprim17ROCPRIM_400000_NS6detail17trampoline_kernelINS0_14default_configENS1_27scan_by_key_config_selectorIllEEZZNS1_16scan_by_key_implILNS1_25lookback_scan_determinismE0ELb0ES3_N6thrust23THRUST_200600_302600_NS16reverse_iteratorIPKlEESD_NSA_IPlEElN6hipcub16HIPCUB_304000_NS3MaxENSH_8EqualityElEE10hipError_tPvRmT2_T3_T4_T5_mT6_T7_P12ihipStream_tbENKUlT_T0_E_clISt17integral_constantIbLb1EESZ_IbLb0EEEEDaSV_SW_EUlSV_E_NS1_11comp_targetILNS1_3genE0ELNS1_11target_archE4294967295ELNS1_3gpuE0ELNS1_3repE0EEENS1_30default_config_static_selectorELNS0_4arch9wavefront6targetE1EEEvT1_,comdat
.Lfunc_end157:
	.size	_ZN7rocprim17ROCPRIM_400000_NS6detail17trampoline_kernelINS0_14default_configENS1_27scan_by_key_config_selectorIllEEZZNS1_16scan_by_key_implILNS1_25lookback_scan_determinismE0ELb0ES3_N6thrust23THRUST_200600_302600_NS16reverse_iteratorIPKlEESD_NSA_IPlEElN6hipcub16HIPCUB_304000_NS3MaxENSH_8EqualityElEE10hipError_tPvRmT2_T3_T4_T5_mT6_T7_P12ihipStream_tbENKUlT_T0_E_clISt17integral_constantIbLb1EESZ_IbLb0EEEEDaSV_SW_EUlSV_E_NS1_11comp_targetILNS1_3genE0ELNS1_11target_archE4294967295ELNS1_3gpuE0ELNS1_3repE0EEENS1_30default_config_static_selectorELNS0_4arch9wavefront6targetE1EEEvT1_, .Lfunc_end157-_ZN7rocprim17ROCPRIM_400000_NS6detail17trampoline_kernelINS0_14default_configENS1_27scan_by_key_config_selectorIllEEZZNS1_16scan_by_key_implILNS1_25lookback_scan_determinismE0ELb0ES3_N6thrust23THRUST_200600_302600_NS16reverse_iteratorIPKlEESD_NSA_IPlEElN6hipcub16HIPCUB_304000_NS3MaxENSH_8EqualityElEE10hipError_tPvRmT2_T3_T4_T5_mT6_T7_P12ihipStream_tbENKUlT_T0_E_clISt17integral_constantIbLb1EESZ_IbLb0EEEEDaSV_SW_EUlSV_E_NS1_11comp_targetILNS1_3genE0ELNS1_11target_archE4294967295ELNS1_3gpuE0ELNS1_3repE0EEENS1_30default_config_static_selectorELNS0_4arch9wavefront6targetE1EEEvT1_
                                        ; -- End function
	.set _ZN7rocprim17ROCPRIM_400000_NS6detail17trampoline_kernelINS0_14default_configENS1_27scan_by_key_config_selectorIllEEZZNS1_16scan_by_key_implILNS1_25lookback_scan_determinismE0ELb0ES3_N6thrust23THRUST_200600_302600_NS16reverse_iteratorIPKlEESD_NSA_IPlEElN6hipcub16HIPCUB_304000_NS3MaxENSH_8EqualityElEE10hipError_tPvRmT2_T3_T4_T5_mT6_T7_P12ihipStream_tbENKUlT_T0_E_clISt17integral_constantIbLb1EESZ_IbLb0EEEEDaSV_SW_EUlSV_E_NS1_11comp_targetILNS1_3genE0ELNS1_11target_archE4294967295ELNS1_3gpuE0ELNS1_3repE0EEENS1_30default_config_static_selectorELNS0_4arch9wavefront6targetE1EEEvT1_.num_vgpr, 0
	.set _ZN7rocprim17ROCPRIM_400000_NS6detail17trampoline_kernelINS0_14default_configENS1_27scan_by_key_config_selectorIllEEZZNS1_16scan_by_key_implILNS1_25lookback_scan_determinismE0ELb0ES3_N6thrust23THRUST_200600_302600_NS16reverse_iteratorIPKlEESD_NSA_IPlEElN6hipcub16HIPCUB_304000_NS3MaxENSH_8EqualityElEE10hipError_tPvRmT2_T3_T4_T5_mT6_T7_P12ihipStream_tbENKUlT_T0_E_clISt17integral_constantIbLb1EESZ_IbLb0EEEEDaSV_SW_EUlSV_E_NS1_11comp_targetILNS1_3genE0ELNS1_11target_archE4294967295ELNS1_3gpuE0ELNS1_3repE0EEENS1_30default_config_static_selectorELNS0_4arch9wavefront6targetE1EEEvT1_.num_agpr, 0
	.set _ZN7rocprim17ROCPRIM_400000_NS6detail17trampoline_kernelINS0_14default_configENS1_27scan_by_key_config_selectorIllEEZZNS1_16scan_by_key_implILNS1_25lookback_scan_determinismE0ELb0ES3_N6thrust23THRUST_200600_302600_NS16reverse_iteratorIPKlEESD_NSA_IPlEElN6hipcub16HIPCUB_304000_NS3MaxENSH_8EqualityElEE10hipError_tPvRmT2_T3_T4_T5_mT6_T7_P12ihipStream_tbENKUlT_T0_E_clISt17integral_constantIbLb1EESZ_IbLb0EEEEDaSV_SW_EUlSV_E_NS1_11comp_targetILNS1_3genE0ELNS1_11target_archE4294967295ELNS1_3gpuE0ELNS1_3repE0EEENS1_30default_config_static_selectorELNS0_4arch9wavefront6targetE1EEEvT1_.numbered_sgpr, 0
	.set _ZN7rocprim17ROCPRIM_400000_NS6detail17trampoline_kernelINS0_14default_configENS1_27scan_by_key_config_selectorIllEEZZNS1_16scan_by_key_implILNS1_25lookback_scan_determinismE0ELb0ES3_N6thrust23THRUST_200600_302600_NS16reverse_iteratorIPKlEESD_NSA_IPlEElN6hipcub16HIPCUB_304000_NS3MaxENSH_8EqualityElEE10hipError_tPvRmT2_T3_T4_T5_mT6_T7_P12ihipStream_tbENKUlT_T0_E_clISt17integral_constantIbLb1EESZ_IbLb0EEEEDaSV_SW_EUlSV_E_NS1_11comp_targetILNS1_3genE0ELNS1_11target_archE4294967295ELNS1_3gpuE0ELNS1_3repE0EEENS1_30default_config_static_selectorELNS0_4arch9wavefront6targetE1EEEvT1_.num_named_barrier, 0
	.set _ZN7rocprim17ROCPRIM_400000_NS6detail17trampoline_kernelINS0_14default_configENS1_27scan_by_key_config_selectorIllEEZZNS1_16scan_by_key_implILNS1_25lookback_scan_determinismE0ELb0ES3_N6thrust23THRUST_200600_302600_NS16reverse_iteratorIPKlEESD_NSA_IPlEElN6hipcub16HIPCUB_304000_NS3MaxENSH_8EqualityElEE10hipError_tPvRmT2_T3_T4_T5_mT6_T7_P12ihipStream_tbENKUlT_T0_E_clISt17integral_constantIbLb1EESZ_IbLb0EEEEDaSV_SW_EUlSV_E_NS1_11comp_targetILNS1_3genE0ELNS1_11target_archE4294967295ELNS1_3gpuE0ELNS1_3repE0EEENS1_30default_config_static_selectorELNS0_4arch9wavefront6targetE1EEEvT1_.private_seg_size, 0
	.set _ZN7rocprim17ROCPRIM_400000_NS6detail17trampoline_kernelINS0_14default_configENS1_27scan_by_key_config_selectorIllEEZZNS1_16scan_by_key_implILNS1_25lookback_scan_determinismE0ELb0ES3_N6thrust23THRUST_200600_302600_NS16reverse_iteratorIPKlEESD_NSA_IPlEElN6hipcub16HIPCUB_304000_NS3MaxENSH_8EqualityElEE10hipError_tPvRmT2_T3_T4_T5_mT6_T7_P12ihipStream_tbENKUlT_T0_E_clISt17integral_constantIbLb1EESZ_IbLb0EEEEDaSV_SW_EUlSV_E_NS1_11comp_targetILNS1_3genE0ELNS1_11target_archE4294967295ELNS1_3gpuE0ELNS1_3repE0EEENS1_30default_config_static_selectorELNS0_4arch9wavefront6targetE1EEEvT1_.uses_vcc, 0
	.set _ZN7rocprim17ROCPRIM_400000_NS6detail17trampoline_kernelINS0_14default_configENS1_27scan_by_key_config_selectorIllEEZZNS1_16scan_by_key_implILNS1_25lookback_scan_determinismE0ELb0ES3_N6thrust23THRUST_200600_302600_NS16reverse_iteratorIPKlEESD_NSA_IPlEElN6hipcub16HIPCUB_304000_NS3MaxENSH_8EqualityElEE10hipError_tPvRmT2_T3_T4_T5_mT6_T7_P12ihipStream_tbENKUlT_T0_E_clISt17integral_constantIbLb1EESZ_IbLb0EEEEDaSV_SW_EUlSV_E_NS1_11comp_targetILNS1_3genE0ELNS1_11target_archE4294967295ELNS1_3gpuE0ELNS1_3repE0EEENS1_30default_config_static_selectorELNS0_4arch9wavefront6targetE1EEEvT1_.uses_flat_scratch, 0
	.set _ZN7rocprim17ROCPRIM_400000_NS6detail17trampoline_kernelINS0_14default_configENS1_27scan_by_key_config_selectorIllEEZZNS1_16scan_by_key_implILNS1_25lookback_scan_determinismE0ELb0ES3_N6thrust23THRUST_200600_302600_NS16reverse_iteratorIPKlEESD_NSA_IPlEElN6hipcub16HIPCUB_304000_NS3MaxENSH_8EqualityElEE10hipError_tPvRmT2_T3_T4_T5_mT6_T7_P12ihipStream_tbENKUlT_T0_E_clISt17integral_constantIbLb1EESZ_IbLb0EEEEDaSV_SW_EUlSV_E_NS1_11comp_targetILNS1_3genE0ELNS1_11target_archE4294967295ELNS1_3gpuE0ELNS1_3repE0EEENS1_30default_config_static_selectorELNS0_4arch9wavefront6targetE1EEEvT1_.has_dyn_sized_stack, 0
	.set _ZN7rocprim17ROCPRIM_400000_NS6detail17trampoline_kernelINS0_14default_configENS1_27scan_by_key_config_selectorIllEEZZNS1_16scan_by_key_implILNS1_25lookback_scan_determinismE0ELb0ES3_N6thrust23THRUST_200600_302600_NS16reverse_iteratorIPKlEESD_NSA_IPlEElN6hipcub16HIPCUB_304000_NS3MaxENSH_8EqualityElEE10hipError_tPvRmT2_T3_T4_T5_mT6_T7_P12ihipStream_tbENKUlT_T0_E_clISt17integral_constantIbLb1EESZ_IbLb0EEEEDaSV_SW_EUlSV_E_NS1_11comp_targetILNS1_3genE0ELNS1_11target_archE4294967295ELNS1_3gpuE0ELNS1_3repE0EEENS1_30default_config_static_selectorELNS0_4arch9wavefront6targetE1EEEvT1_.has_recursion, 0
	.set _ZN7rocprim17ROCPRIM_400000_NS6detail17trampoline_kernelINS0_14default_configENS1_27scan_by_key_config_selectorIllEEZZNS1_16scan_by_key_implILNS1_25lookback_scan_determinismE0ELb0ES3_N6thrust23THRUST_200600_302600_NS16reverse_iteratorIPKlEESD_NSA_IPlEElN6hipcub16HIPCUB_304000_NS3MaxENSH_8EqualityElEE10hipError_tPvRmT2_T3_T4_T5_mT6_T7_P12ihipStream_tbENKUlT_T0_E_clISt17integral_constantIbLb1EESZ_IbLb0EEEEDaSV_SW_EUlSV_E_NS1_11comp_targetILNS1_3genE0ELNS1_11target_archE4294967295ELNS1_3gpuE0ELNS1_3repE0EEENS1_30default_config_static_selectorELNS0_4arch9wavefront6targetE1EEEvT1_.has_indirect_call, 0
	.section	.AMDGPU.csdata,"",@progbits
; Kernel info:
; codeLenInByte = 4
; TotalNumSgprs: 6
; NumVgprs: 0
; NumAgprs: 0
; TotalNumVgprs: 0
; ScratchSize: 0
; MemoryBound: 0
; FloatMode: 240
; IeeeMode: 1
; LDSByteSize: 0 bytes/workgroup (compile time only)
; SGPRBlocks: 0
; VGPRBlocks: 0
; NumSGPRsForWavesPerEU: 6
; NumVGPRsForWavesPerEU: 1
; AccumOffset: 4
; Occupancy: 8
; WaveLimiterHint : 0
; COMPUTE_PGM_RSRC2:SCRATCH_EN: 0
; COMPUTE_PGM_RSRC2:USER_SGPR: 2
; COMPUTE_PGM_RSRC2:TRAP_HANDLER: 0
; COMPUTE_PGM_RSRC2:TGID_X_EN: 1
; COMPUTE_PGM_RSRC2:TGID_Y_EN: 0
; COMPUTE_PGM_RSRC2:TGID_Z_EN: 0
; COMPUTE_PGM_RSRC2:TIDIG_COMP_CNT: 0
; COMPUTE_PGM_RSRC3_GFX90A:ACCUM_OFFSET: 0
; COMPUTE_PGM_RSRC3_GFX90A:TG_SPLIT: 0
	.section	.text._ZN7rocprim17ROCPRIM_400000_NS6detail17trampoline_kernelINS0_14default_configENS1_27scan_by_key_config_selectorIllEEZZNS1_16scan_by_key_implILNS1_25lookback_scan_determinismE0ELb0ES3_N6thrust23THRUST_200600_302600_NS16reverse_iteratorIPKlEESD_NSA_IPlEElN6hipcub16HIPCUB_304000_NS3MaxENSH_8EqualityElEE10hipError_tPvRmT2_T3_T4_T5_mT6_T7_P12ihipStream_tbENKUlT_T0_E_clISt17integral_constantIbLb1EESZ_IbLb0EEEEDaSV_SW_EUlSV_E_NS1_11comp_targetILNS1_3genE10ELNS1_11target_archE1201ELNS1_3gpuE5ELNS1_3repE0EEENS1_30default_config_static_selectorELNS0_4arch9wavefront6targetE1EEEvT1_,"axG",@progbits,_ZN7rocprim17ROCPRIM_400000_NS6detail17trampoline_kernelINS0_14default_configENS1_27scan_by_key_config_selectorIllEEZZNS1_16scan_by_key_implILNS1_25lookback_scan_determinismE0ELb0ES3_N6thrust23THRUST_200600_302600_NS16reverse_iteratorIPKlEESD_NSA_IPlEElN6hipcub16HIPCUB_304000_NS3MaxENSH_8EqualityElEE10hipError_tPvRmT2_T3_T4_T5_mT6_T7_P12ihipStream_tbENKUlT_T0_E_clISt17integral_constantIbLb1EESZ_IbLb0EEEEDaSV_SW_EUlSV_E_NS1_11comp_targetILNS1_3genE10ELNS1_11target_archE1201ELNS1_3gpuE5ELNS1_3repE0EEENS1_30default_config_static_selectorELNS0_4arch9wavefront6targetE1EEEvT1_,comdat
	.protected	_ZN7rocprim17ROCPRIM_400000_NS6detail17trampoline_kernelINS0_14default_configENS1_27scan_by_key_config_selectorIllEEZZNS1_16scan_by_key_implILNS1_25lookback_scan_determinismE0ELb0ES3_N6thrust23THRUST_200600_302600_NS16reverse_iteratorIPKlEESD_NSA_IPlEElN6hipcub16HIPCUB_304000_NS3MaxENSH_8EqualityElEE10hipError_tPvRmT2_T3_T4_T5_mT6_T7_P12ihipStream_tbENKUlT_T0_E_clISt17integral_constantIbLb1EESZ_IbLb0EEEEDaSV_SW_EUlSV_E_NS1_11comp_targetILNS1_3genE10ELNS1_11target_archE1201ELNS1_3gpuE5ELNS1_3repE0EEENS1_30default_config_static_selectorELNS0_4arch9wavefront6targetE1EEEvT1_ ; -- Begin function _ZN7rocprim17ROCPRIM_400000_NS6detail17trampoline_kernelINS0_14default_configENS1_27scan_by_key_config_selectorIllEEZZNS1_16scan_by_key_implILNS1_25lookback_scan_determinismE0ELb0ES3_N6thrust23THRUST_200600_302600_NS16reverse_iteratorIPKlEESD_NSA_IPlEElN6hipcub16HIPCUB_304000_NS3MaxENSH_8EqualityElEE10hipError_tPvRmT2_T3_T4_T5_mT6_T7_P12ihipStream_tbENKUlT_T0_E_clISt17integral_constantIbLb1EESZ_IbLb0EEEEDaSV_SW_EUlSV_E_NS1_11comp_targetILNS1_3genE10ELNS1_11target_archE1201ELNS1_3gpuE5ELNS1_3repE0EEENS1_30default_config_static_selectorELNS0_4arch9wavefront6targetE1EEEvT1_
	.globl	_ZN7rocprim17ROCPRIM_400000_NS6detail17trampoline_kernelINS0_14default_configENS1_27scan_by_key_config_selectorIllEEZZNS1_16scan_by_key_implILNS1_25lookback_scan_determinismE0ELb0ES3_N6thrust23THRUST_200600_302600_NS16reverse_iteratorIPKlEESD_NSA_IPlEElN6hipcub16HIPCUB_304000_NS3MaxENSH_8EqualityElEE10hipError_tPvRmT2_T3_T4_T5_mT6_T7_P12ihipStream_tbENKUlT_T0_E_clISt17integral_constantIbLb1EESZ_IbLb0EEEEDaSV_SW_EUlSV_E_NS1_11comp_targetILNS1_3genE10ELNS1_11target_archE1201ELNS1_3gpuE5ELNS1_3repE0EEENS1_30default_config_static_selectorELNS0_4arch9wavefront6targetE1EEEvT1_
	.p2align	8
	.type	_ZN7rocprim17ROCPRIM_400000_NS6detail17trampoline_kernelINS0_14default_configENS1_27scan_by_key_config_selectorIllEEZZNS1_16scan_by_key_implILNS1_25lookback_scan_determinismE0ELb0ES3_N6thrust23THRUST_200600_302600_NS16reverse_iteratorIPKlEESD_NSA_IPlEElN6hipcub16HIPCUB_304000_NS3MaxENSH_8EqualityElEE10hipError_tPvRmT2_T3_T4_T5_mT6_T7_P12ihipStream_tbENKUlT_T0_E_clISt17integral_constantIbLb1EESZ_IbLb0EEEEDaSV_SW_EUlSV_E_NS1_11comp_targetILNS1_3genE10ELNS1_11target_archE1201ELNS1_3gpuE5ELNS1_3repE0EEENS1_30default_config_static_selectorELNS0_4arch9wavefront6targetE1EEEvT1_,@function
_ZN7rocprim17ROCPRIM_400000_NS6detail17trampoline_kernelINS0_14default_configENS1_27scan_by_key_config_selectorIllEEZZNS1_16scan_by_key_implILNS1_25lookback_scan_determinismE0ELb0ES3_N6thrust23THRUST_200600_302600_NS16reverse_iteratorIPKlEESD_NSA_IPlEElN6hipcub16HIPCUB_304000_NS3MaxENSH_8EqualityElEE10hipError_tPvRmT2_T3_T4_T5_mT6_T7_P12ihipStream_tbENKUlT_T0_E_clISt17integral_constantIbLb1EESZ_IbLb0EEEEDaSV_SW_EUlSV_E_NS1_11comp_targetILNS1_3genE10ELNS1_11target_archE1201ELNS1_3gpuE5ELNS1_3repE0EEENS1_30default_config_static_selectorELNS0_4arch9wavefront6targetE1EEEvT1_: ; @_ZN7rocprim17ROCPRIM_400000_NS6detail17trampoline_kernelINS0_14default_configENS1_27scan_by_key_config_selectorIllEEZZNS1_16scan_by_key_implILNS1_25lookback_scan_determinismE0ELb0ES3_N6thrust23THRUST_200600_302600_NS16reverse_iteratorIPKlEESD_NSA_IPlEElN6hipcub16HIPCUB_304000_NS3MaxENSH_8EqualityElEE10hipError_tPvRmT2_T3_T4_T5_mT6_T7_P12ihipStream_tbENKUlT_T0_E_clISt17integral_constantIbLb1EESZ_IbLb0EEEEDaSV_SW_EUlSV_E_NS1_11comp_targetILNS1_3genE10ELNS1_11target_archE1201ELNS1_3gpuE5ELNS1_3repE0EEENS1_30default_config_static_selectorELNS0_4arch9wavefront6targetE1EEEvT1_
; %bb.0:
	.section	.rodata,"a",@progbits
	.p2align	6, 0x0
	.amdhsa_kernel _ZN7rocprim17ROCPRIM_400000_NS6detail17trampoline_kernelINS0_14default_configENS1_27scan_by_key_config_selectorIllEEZZNS1_16scan_by_key_implILNS1_25lookback_scan_determinismE0ELb0ES3_N6thrust23THRUST_200600_302600_NS16reverse_iteratorIPKlEESD_NSA_IPlEElN6hipcub16HIPCUB_304000_NS3MaxENSH_8EqualityElEE10hipError_tPvRmT2_T3_T4_T5_mT6_T7_P12ihipStream_tbENKUlT_T0_E_clISt17integral_constantIbLb1EESZ_IbLb0EEEEDaSV_SW_EUlSV_E_NS1_11comp_targetILNS1_3genE10ELNS1_11target_archE1201ELNS1_3gpuE5ELNS1_3repE0EEENS1_30default_config_static_selectorELNS0_4arch9wavefront6targetE1EEEvT1_
		.amdhsa_group_segment_fixed_size 0
		.amdhsa_private_segment_fixed_size 0
		.amdhsa_kernarg_size 136
		.amdhsa_user_sgpr_count 2
		.amdhsa_user_sgpr_dispatch_ptr 0
		.amdhsa_user_sgpr_queue_ptr 0
		.amdhsa_user_sgpr_kernarg_segment_ptr 1
		.amdhsa_user_sgpr_dispatch_id 0
		.amdhsa_user_sgpr_kernarg_preload_length 0
		.amdhsa_user_sgpr_kernarg_preload_offset 0
		.amdhsa_user_sgpr_private_segment_size 0
		.amdhsa_uses_dynamic_stack 0
		.amdhsa_enable_private_segment 0
		.amdhsa_system_sgpr_workgroup_id_x 1
		.amdhsa_system_sgpr_workgroup_id_y 0
		.amdhsa_system_sgpr_workgroup_id_z 0
		.amdhsa_system_sgpr_workgroup_info 0
		.amdhsa_system_vgpr_workitem_id 0
		.amdhsa_next_free_vgpr 1
		.amdhsa_next_free_sgpr 0
		.amdhsa_accum_offset 4
		.amdhsa_reserve_vcc 0
		.amdhsa_float_round_mode_32 0
		.amdhsa_float_round_mode_16_64 0
		.amdhsa_float_denorm_mode_32 3
		.amdhsa_float_denorm_mode_16_64 3
		.amdhsa_dx10_clamp 1
		.amdhsa_ieee_mode 1
		.amdhsa_fp16_overflow 0
		.amdhsa_tg_split 0
		.amdhsa_exception_fp_ieee_invalid_op 0
		.amdhsa_exception_fp_denorm_src 0
		.amdhsa_exception_fp_ieee_div_zero 0
		.amdhsa_exception_fp_ieee_overflow 0
		.amdhsa_exception_fp_ieee_underflow 0
		.amdhsa_exception_fp_ieee_inexact 0
		.amdhsa_exception_int_div_zero 0
	.end_amdhsa_kernel
	.section	.text._ZN7rocprim17ROCPRIM_400000_NS6detail17trampoline_kernelINS0_14default_configENS1_27scan_by_key_config_selectorIllEEZZNS1_16scan_by_key_implILNS1_25lookback_scan_determinismE0ELb0ES3_N6thrust23THRUST_200600_302600_NS16reverse_iteratorIPKlEESD_NSA_IPlEElN6hipcub16HIPCUB_304000_NS3MaxENSH_8EqualityElEE10hipError_tPvRmT2_T3_T4_T5_mT6_T7_P12ihipStream_tbENKUlT_T0_E_clISt17integral_constantIbLb1EESZ_IbLb0EEEEDaSV_SW_EUlSV_E_NS1_11comp_targetILNS1_3genE10ELNS1_11target_archE1201ELNS1_3gpuE5ELNS1_3repE0EEENS1_30default_config_static_selectorELNS0_4arch9wavefront6targetE1EEEvT1_,"axG",@progbits,_ZN7rocprim17ROCPRIM_400000_NS6detail17trampoline_kernelINS0_14default_configENS1_27scan_by_key_config_selectorIllEEZZNS1_16scan_by_key_implILNS1_25lookback_scan_determinismE0ELb0ES3_N6thrust23THRUST_200600_302600_NS16reverse_iteratorIPKlEESD_NSA_IPlEElN6hipcub16HIPCUB_304000_NS3MaxENSH_8EqualityElEE10hipError_tPvRmT2_T3_T4_T5_mT6_T7_P12ihipStream_tbENKUlT_T0_E_clISt17integral_constantIbLb1EESZ_IbLb0EEEEDaSV_SW_EUlSV_E_NS1_11comp_targetILNS1_3genE10ELNS1_11target_archE1201ELNS1_3gpuE5ELNS1_3repE0EEENS1_30default_config_static_selectorELNS0_4arch9wavefront6targetE1EEEvT1_,comdat
.Lfunc_end158:
	.size	_ZN7rocprim17ROCPRIM_400000_NS6detail17trampoline_kernelINS0_14default_configENS1_27scan_by_key_config_selectorIllEEZZNS1_16scan_by_key_implILNS1_25lookback_scan_determinismE0ELb0ES3_N6thrust23THRUST_200600_302600_NS16reverse_iteratorIPKlEESD_NSA_IPlEElN6hipcub16HIPCUB_304000_NS3MaxENSH_8EqualityElEE10hipError_tPvRmT2_T3_T4_T5_mT6_T7_P12ihipStream_tbENKUlT_T0_E_clISt17integral_constantIbLb1EESZ_IbLb0EEEEDaSV_SW_EUlSV_E_NS1_11comp_targetILNS1_3genE10ELNS1_11target_archE1201ELNS1_3gpuE5ELNS1_3repE0EEENS1_30default_config_static_selectorELNS0_4arch9wavefront6targetE1EEEvT1_, .Lfunc_end158-_ZN7rocprim17ROCPRIM_400000_NS6detail17trampoline_kernelINS0_14default_configENS1_27scan_by_key_config_selectorIllEEZZNS1_16scan_by_key_implILNS1_25lookback_scan_determinismE0ELb0ES3_N6thrust23THRUST_200600_302600_NS16reverse_iteratorIPKlEESD_NSA_IPlEElN6hipcub16HIPCUB_304000_NS3MaxENSH_8EqualityElEE10hipError_tPvRmT2_T3_T4_T5_mT6_T7_P12ihipStream_tbENKUlT_T0_E_clISt17integral_constantIbLb1EESZ_IbLb0EEEEDaSV_SW_EUlSV_E_NS1_11comp_targetILNS1_3genE10ELNS1_11target_archE1201ELNS1_3gpuE5ELNS1_3repE0EEENS1_30default_config_static_selectorELNS0_4arch9wavefront6targetE1EEEvT1_
                                        ; -- End function
	.set _ZN7rocprim17ROCPRIM_400000_NS6detail17trampoline_kernelINS0_14default_configENS1_27scan_by_key_config_selectorIllEEZZNS1_16scan_by_key_implILNS1_25lookback_scan_determinismE0ELb0ES3_N6thrust23THRUST_200600_302600_NS16reverse_iteratorIPKlEESD_NSA_IPlEElN6hipcub16HIPCUB_304000_NS3MaxENSH_8EqualityElEE10hipError_tPvRmT2_T3_T4_T5_mT6_T7_P12ihipStream_tbENKUlT_T0_E_clISt17integral_constantIbLb1EESZ_IbLb0EEEEDaSV_SW_EUlSV_E_NS1_11comp_targetILNS1_3genE10ELNS1_11target_archE1201ELNS1_3gpuE5ELNS1_3repE0EEENS1_30default_config_static_selectorELNS0_4arch9wavefront6targetE1EEEvT1_.num_vgpr, 0
	.set _ZN7rocprim17ROCPRIM_400000_NS6detail17trampoline_kernelINS0_14default_configENS1_27scan_by_key_config_selectorIllEEZZNS1_16scan_by_key_implILNS1_25lookback_scan_determinismE0ELb0ES3_N6thrust23THRUST_200600_302600_NS16reverse_iteratorIPKlEESD_NSA_IPlEElN6hipcub16HIPCUB_304000_NS3MaxENSH_8EqualityElEE10hipError_tPvRmT2_T3_T4_T5_mT6_T7_P12ihipStream_tbENKUlT_T0_E_clISt17integral_constantIbLb1EESZ_IbLb0EEEEDaSV_SW_EUlSV_E_NS1_11comp_targetILNS1_3genE10ELNS1_11target_archE1201ELNS1_3gpuE5ELNS1_3repE0EEENS1_30default_config_static_selectorELNS0_4arch9wavefront6targetE1EEEvT1_.num_agpr, 0
	.set _ZN7rocprim17ROCPRIM_400000_NS6detail17trampoline_kernelINS0_14default_configENS1_27scan_by_key_config_selectorIllEEZZNS1_16scan_by_key_implILNS1_25lookback_scan_determinismE0ELb0ES3_N6thrust23THRUST_200600_302600_NS16reverse_iteratorIPKlEESD_NSA_IPlEElN6hipcub16HIPCUB_304000_NS3MaxENSH_8EqualityElEE10hipError_tPvRmT2_T3_T4_T5_mT6_T7_P12ihipStream_tbENKUlT_T0_E_clISt17integral_constantIbLb1EESZ_IbLb0EEEEDaSV_SW_EUlSV_E_NS1_11comp_targetILNS1_3genE10ELNS1_11target_archE1201ELNS1_3gpuE5ELNS1_3repE0EEENS1_30default_config_static_selectorELNS0_4arch9wavefront6targetE1EEEvT1_.numbered_sgpr, 0
	.set _ZN7rocprim17ROCPRIM_400000_NS6detail17trampoline_kernelINS0_14default_configENS1_27scan_by_key_config_selectorIllEEZZNS1_16scan_by_key_implILNS1_25lookback_scan_determinismE0ELb0ES3_N6thrust23THRUST_200600_302600_NS16reverse_iteratorIPKlEESD_NSA_IPlEElN6hipcub16HIPCUB_304000_NS3MaxENSH_8EqualityElEE10hipError_tPvRmT2_T3_T4_T5_mT6_T7_P12ihipStream_tbENKUlT_T0_E_clISt17integral_constantIbLb1EESZ_IbLb0EEEEDaSV_SW_EUlSV_E_NS1_11comp_targetILNS1_3genE10ELNS1_11target_archE1201ELNS1_3gpuE5ELNS1_3repE0EEENS1_30default_config_static_selectorELNS0_4arch9wavefront6targetE1EEEvT1_.num_named_barrier, 0
	.set _ZN7rocprim17ROCPRIM_400000_NS6detail17trampoline_kernelINS0_14default_configENS1_27scan_by_key_config_selectorIllEEZZNS1_16scan_by_key_implILNS1_25lookback_scan_determinismE0ELb0ES3_N6thrust23THRUST_200600_302600_NS16reverse_iteratorIPKlEESD_NSA_IPlEElN6hipcub16HIPCUB_304000_NS3MaxENSH_8EqualityElEE10hipError_tPvRmT2_T3_T4_T5_mT6_T7_P12ihipStream_tbENKUlT_T0_E_clISt17integral_constantIbLb1EESZ_IbLb0EEEEDaSV_SW_EUlSV_E_NS1_11comp_targetILNS1_3genE10ELNS1_11target_archE1201ELNS1_3gpuE5ELNS1_3repE0EEENS1_30default_config_static_selectorELNS0_4arch9wavefront6targetE1EEEvT1_.private_seg_size, 0
	.set _ZN7rocprim17ROCPRIM_400000_NS6detail17trampoline_kernelINS0_14default_configENS1_27scan_by_key_config_selectorIllEEZZNS1_16scan_by_key_implILNS1_25lookback_scan_determinismE0ELb0ES3_N6thrust23THRUST_200600_302600_NS16reverse_iteratorIPKlEESD_NSA_IPlEElN6hipcub16HIPCUB_304000_NS3MaxENSH_8EqualityElEE10hipError_tPvRmT2_T3_T4_T5_mT6_T7_P12ihipStream_tbENKUlT_T0_E_clISt17integral_constantIbLb1EESZ_IbLb0EEEEDaSV_SW_EUlSV_E_NS1_11comp_targetILNS1_3genE10ELNS1_11target_archE1201ELNS1_3gpuE5ELNS1_3repE0EEENS1_30default_config_static_selectorELNS0_4arch9wavefront6targetE1EEEvT1_.uses_vcc, 0
	.set _ZN7rocprim17ROCPRIM_400000_NS6detail17trampoline_kernelINS0_14default_configENS1_27scan_by_key_config_selectorIllEEZZNS1_16scan_by_key_implILNS1_25lookback_scan_determinismE0ELb0ES3_N6thrust23THRUST_200600_302600_NS16reverse_iteratorIPKlEESD_NSA_IPlEElN6hipcub16HIPCUB_304000_NS3MaxENSH_8EqualityElEE10hipError_tPvRmT2_T3_T4_T5_mT6_T7_P12ihipStream_tbENKUlT_T0_E_clISt17integral_constantIbLb1EESZ_IbLb0EEEEDaSV_SW_EUlSV_E_NS1_11comp_targetILNS1_3genE10ELNS1_11target_archE1201ELNS1_3gpuE5ELNS1_3repE0EEENS1_30default_config_static_selectorELNS0_4arch9wavefront6targetE1EEEvT1_.uses_flat_scratch, 0
	.set _ZN7rocprim17ROCPRIM_400000_NS6detail17trampoline_kernelINS0_14default_configENS1_27scan_by_key_config_selectorIllEEZZNS1_16scan_by_key_implILNS1_25lookback_scan_determinismE0ELb0ES3_N6thrust23THRUST_200600_302600_NS16reverse_iteratorIPKlEESD_NSA_IPlEElN6hipcub16HIPCUB_304000_NS3MaxENSH_8EqualityElEE10hipError_tPvRmT2_T3_T4_T5_mT6_T7_P12ihipStream_tbENKUlT_T0_E_clISt17integral_constantIbLb1EESZ_IbLb0EEEEDaSV_SW_EUlSV_E_NS1_11comp_targetILNS1_3genE10ELNS1_11target_archE1201ELNS1_3gpuE5ELNS1_3repE0EEENS1_30default_config_static_selectorELNS0_4arch9wavefront6targetE1EEEvT1_.has_dyn_sized_stack, 0
	.set _ZN7rocprim17ROCPRIM_400000_NS6detail17trampoline_kernelINS0_14default_configENS1_27scan_by_key_config_selectorIllEEZZNS1_16scan_by_key_implILNS1_25lookback_scan_determinismE0ELb0ES3_N6thrust23THRUST_200600_302600_NS16reverse_iteratorIPKlEESD_NSA_IPlEElN6hipcub16HIPCUB_304000_NS3MaxENSH_8EqualityElEE10hipError_tPvRmT2_T3_T4_T5_mT6_T7_P12ihipStream_tbENKUlT_T0_E_clISt17integral_constantIbLb1EESZ_IbLb0EEEEDaSV_SW_EUlSV_E_NS1_11comp_targetILNS1_3genE10ELNS1_11target_archE1201ELNS1_3gpuE5ELNS1_3repE0EEENS1_30default_config_static_selectorELNS0_4arch9wavefront6targetE1EEEvT1_.has_recursion, 0
	.set _ZN7rocprim17ROCPRIM_400000_NS6detail17trampoline_kernelINS0_14default_configENS1_27scan_by_key_config_selectorIllEEZZNS1_16scan_by_key_implILNS1_25lookback_scan_determinismE0ELb0ES3_N6thrust23THRUST_200600_302600_NS16reverse_iteratorIPKlEESD_NSA_IPlEElN6hipcub16HIPCUB_304000_NS3MaxENSH_8EqualityElEE10hipError_tPvRmT2_T3_T4_T5_mT6_T7_P12ihipStream_tbENKUlT_T0_E_clISt17integral_constantIbLb1EESZ_IbLb0EEEEDaSV_SW_EUlSV_E_NS1_11comp_targetILNS1_3genE10ELNS1_11target_archE1201ELNS1_3gpuE5ELNS1_3repE0EEENS1_30default_config_static_selectorELNS0_4arch9wavefront6targetE1EEEvT1_.has_indirect_call, 0
	.section	.AMDGPU.csdata,"",@progbits
; Kernel info:
; codeLenInByte = 0
; TotalNumSgprs: 6
; NumVgprs: 0
; NumAgprs: 0
; TotalNumVgprs: 0
; ScratchSize: 0
; MemoryBound: 0
; FloatMode: 240
; IeeeMode: 1
; LDSByteSize: 0 bytes/workgroup (compile time only)
; SGPRBlocks: 0
; VGPRBlocks: 0
; NumSGPRsForWavesPerEU: 6
; NumVGPRsForWavesPerEU: 1
; AccumOffset: 4
; Occupancy: 8
; WaveLimiterHint : 0
; COMPUTE_PGM_RSRC2:SCRATCH_EN: 0
; COMPUTE_PGM_RSRC2:USER_SGPR: 2
; COMPUTE_PGM_RSRC2:TRAP_HANDLER: 0
; COMPUTE_PGM_RSRC2:TGID_X_EN: 1
; COMPUTE_PGM_RSRC2:TGID_Y_EN: 0
; COMPUTE_PGM_RSRC2:TGID_Z_EN: 0
; COMPUTE_PGM_RSRC2:TIDIG_COMP_CNT: 0
; COMPUTE_PGM_RSRC3_GFX90A:ACCUM_OFFSET: 0
; COMPUTE_PGM_RSRC3_GFX90A:TG_SPLIT: 0
	.section	.text._ZN7rocprim17ROCPRIM_400000_NS6detail17trampoline_kernelINS0_14default_configENS1_27scan_by_key_config_selectorIllEEZZNS1_16scan_by_key_implILNS1_25lookback_scan_determinismE0ELb0ES3_N6thrust23THRUST_200600_302600_NS16reverse_iteratorIPKlEESD_NSA_IPlEElN6hipcub16HIPCUB_304000_NS3MaxENSH_8EqualityElEE10hipError_tPvRmT2_T3_T4_T5_mT6_T7_P12ihipStream_tbENKUlT_T0_E_clISt17integral_constantIbLb1EESZ_IbLb0EEEEDaSV_SW_EUlSV_E_NS1_11comp_targetILNS1_3genE5ELNS1_11target_archE942ELNS1_3gpuE9ELNS1_3repE0EEENS1_30default_config_static_selectorELNS0_4arch9wavefront6targetE1EEEvT1_,"axG",@progbits,_ZN7rocprim17ROCPRIM_400000_NS6detail17trampoline_kernelINS0_14default_configENS1_27scan_by_key_config_selectorIllEEZZNS1_16scan_by_key_implILNS1_25lookback_scan_determinismE0ELb0ES3_N6thrust23THRUST_200600_302600_NS16reverse_iteratorIPKlEESD_NSA_IPlEElN6hipcub16HIPCUB_304000_NS3MaxENSH_8EqualityElEE10hipError_tPvRmT2_T3_T4_T5_mT6_T7_P12ihipStream_tbENKUlT_T0_E_clISt17integral_constantIbLb1EESZ_IbLb0EEEEDaSV_SW_EUlSV_E_NS1_11comp_targetILNS1_3genE5ELNS1_11target_archE942ELNS1_3gpuE9ELNS1_3repE0EEENS1_30default_config_static_selectorELNS0_4arch9wavefront6targetE1EEEvT1_,comdat
	.protected	_ZN7rocprim17ROCPRIM_400000_NS6detail17trampoline_kernelINS0_14default_configENS1_27scan_by_key_config_selectorIllEEZZNS1_16scan_by_key_implILNS1_25lookback_scan_determinismE0ELb0ES3_N6thrust23THRUST_200600_302600_NS16reverse_iteratorIPKlEESD_NSA_IPlEElN6hipcub16HIPCUB_304000_NS3MaxENSH_8EqualityElEE10hipError_tPvRmT2_T3_T4_T5_mT6_T7_P12ihipStream_tbENKUlT_T0_E_clISt17integral_constantIbLb1EESZ_IbLb0EEEEDaSV_SW_EUlSV_E_NS1_11comp_targetILNS1_3genE5ELNS1_11target_archE942ELNS1_3gpuE9ELNS1_3repE0EEENS1_30default_config_static_selectorELNS0_4arch9wavefront6targetE1EEEvT1_ ; -- Begin function _ZN7rocprim17ROCPRIM_400000_NS6detail17trampoline_kernelINS0_14default_configENS1_27scan_by_key_config_selectorIllEEZZNS1_16scan_by_key_implILNS1_25lookback_scan_determinismE0ELb0ES3_N6thrust23THRUST_200600_302600_NS16reverse_iteratorIPKlEESD_NSA_IPlEElN6hipcub16HIPCUB_304000_NS3MaxENSH_8EqualityElEE10hipError_tPvRmT2_T3_T4_T5_mT6_T7_P12ihipStream_tbENKUlT_T0_E_clISt17integral_constantIbLb1EESZ_IbLb0EEEEDaSV_SW_EUlSV_E_NS1_11comp_targetILNS1_3genE5ELNS1_11target_archE942ELNS1_3gpuE9ELNS1_3repE0EEENS1_30default_config_static_selectorELNS0_4arch9wavefront6targetE1EEEvT1_
	.globl	_ZN7rocprim17ROCPRIM_400000_NS6detail17trampoline_kernelINS0_14default_configENS1_27scan_by_key_config_selectorIllEEZZNS1_16scan_by_key_implILNS1_25lookback_scan_determinismE0ELb0ES3_N6thrust23THRUST_200600_302600_NS16reverse_iteratorIPKlEESD_NSA_IPlEElN6hipcub16HIPCUB_304000_NS3MaxENSH_8EqualityElEE10hipError_tPvRmT2_T3_T4_T5_mT6_T7_P12ihipStream_tbENKUlT_T0_E_clISt17integral_constantIbLb1EESZ_IbLb0EEEEDaSV_SW_EUlSV_E_NS1_11comp_targetILNS1_3genE5ELNS1_11target_archE942ELNS1_3gpuE9ELNS1_3repE0EEENS1_30default_config_static_selectorELNS0_4arch9wavefront6targetE1EEEvT1_
	.p2align	8
	.type	_ZN7rocprim17ROCPRIM_400000_NS6detail17trampoline_kernelINS0_14default_configENS1_27scan_by_key_config_selectorIllEEZZNS1_16scan_by_key_implILNS1_25lookback_scan_determinismE0ELb0ES3_N6thrust23THRUST_200600_302600_NS16reverse_iteratorIPKlEESD_NSA_IPlEElN6hipcub16HIPCUB_304000_NS3MaxENSH_8EqualityElEE10hipError_tPvRmT2_T3_T4_T5_mT6_T7_P12ihipStream_tbENKUlT_T0_E_clISt17integral_constantIbLb1EESZ_IbLb0EEEEDaSV_SW_EUlSV_E_NS1_11comp_targetILNS1_3genE5ELNS1_11target_archE942ELNS1_3gpuE9ELNS1_3repE0EEENS1_30default_config_static_selectorELNS0_4arch9wavefront6targetE1EEEvT1_,@function
_ZN7rocprim17ROCPRIM_400000_NS6detail17trampoline_kernelINS0_14default_configENS1_27scan_by_key_config_selectorIllEEZZNS1_16scan_by_key_implILNS1_25lookback_scan_determinismE0ELb0ES3_N6thrust23THRUST_200600_302600_NS16reverse_iteratorIPKlEESD_NSA_IPlEElN6hipcub16HIPCUB_304000_NS3MaxENSH_8EqualityElEE10hipError_tPvRmT2_T3_T4_T5_mT6_T7_P12ihipStream_tbENKUlT_T0_E_clISt17integral_constantIbLb1EESZ_IbLb0EEEEDaSV_SW_EUlSV_E_NS1_11comp_targetILNS1_3genE5ELNS1_11target_archE942ELNS1_3gpuE9ELNS1_3repE0EEENS1_30default_config_static_selectorELNS0_4arch9wavefront6targetE1EEEvT1_: ; @_ZN7rocprim17ROCPRIM_400000_NS6detail17trampoline_kernelINS0_14default_configENS1_27scan_by_key_config_selectorIllEEZZNS1_16scan_by_key_implILNS1_25lookback_scan_determinismE0ELb0ES3_N6thrust23THRUST_200600_302600_NS16reverse_iteratorIPKlEESD_NSA_IPlEElN6hipcub16HIPCUB_304000_NS3MaxENSH_8EqualityElEE10hipError_tPvRmT2_T3_T4_T5_mT6_T7_P12ihipStream_tbENKUlT_T0_E_clISt17integral_constantIbLb1EESZ_IbLb0EEEEDaSV_SW_EUlSV_E_NS1_11comp_targetILNS1_3genE5ELNS1_11target_archE942ELNS1_3gpuE9ELNS1_3repE0EEENS1_30default_config_static_selectorELNS0_4arch9wavefront6targetE1EEEvT1_
; %bb.0:
	.section	.rodata,"a",@progbits
	.p2align	6, 0x0
	.amdhsa_kernel _ZN7rocprim17ROCPRIM_400000_NS6detail17trampoline_kernelINS0_14default_configENS1_27scan_by_key_config_selectorIllEEZZNS1_16scan_by_key_implILNS1_25lookback_scan_determinismE0ELb0ES3_N6thrust23THRUST_200600_302600_NS16reverse_iteratorIPKlEESD_NSA_IPlEElN6hipcub16HIPCUB_304000_NS3MaxENSH_8EqualityElEE10hipError_tPvRmT2_T3_T4_T5_mT6_T7_P12ihipStream_tbENKUlT_T0_E_clISt17integral_constantIbLb1EESZ_IbLb0EEEEDaSV_SW_EUlSV_E_NS1_11comp_targetILNS1_3genE5ELNS1_11target_archE942ELNS1_3gpuE9ELNS1_3repE0EEENS1_30default_config_static_selectorELNS0_4arch9wavefront6targetE1EEEvT1_
		.amdhsa_group_segment_fixed_size 0
		.amdhsa_private_segment_fixed_size 0
		.amdhsa_kernarg_size 136
		.amdhsa_user_sgpr_count 2
		.amdhsa_user_sgpr_dispatch_ptr 0
		.amdhsa_user_sgpr_queue_ptr 0
		.amdhsa_user_sgpr_kernarg_segment_ptr 1
		.amdhsa_user_sgpr_dispatch_id 0
		.amdhsa_user_sgpr_kernarg_preload_length 0
		.amdhsa_user_sgpr_kernarg_preload_offset 0
		.amdhsa_user_sgpr_private_segment_size 0
		.amdhsa_uses_dynamic_stack 0
		.amdhsa_enable_private_segment 0
		.amdhsa_system_sgpr_workgroup_id_x 1
		.amdhsa_system_sgpr_workgroup_id_y 0
		.amdhsa_system_sgpr_workgroup_id_z 0
		.amdhsa_system_sgpr_workgroup_info 0
		.amdhsa_system_vgpr_workitem_id 0
		.amdhsa_next_free_vgpr 1
		.amdhsa_next_free_sgpr 0
		.amdhsa_accum_offset 4
		.amdhsa_reserve_vcc 0
		.amdhsa_float_round_mode_32 0
		.amdhsa_float_round_mode_16_64 0
		.amdhsa_float_denorm_mode_32 3
		.amdhsa_float_denorm_mode_16_64 3
		.amdhsa_dx10_clamp 1
		.amdhsa_ieee_mode 1
		.amdhsa_fp16_overflow 0
		.amdhsa_tg_split 0
		.amdhsa_exception_fp_ieee_invalid_op 0
		.amdhsa_exception_fp_denorm_src 0
		.amdhsa_exception_fp_ieee_div_zero 0
		.amdhsa_exception_fp_ieee_overflow 0
		.amdhsa_exception_fp_ieee_underflow 0
		.amdhsa_exception_fp_ieee_inexact 0
		.amdhsa_exception_int_div_zero 0
	.end_amdhsa_kernel
	.section	.text._ZN7rocprim17ROCPRIM_400000_NS6detail17trampoline_kernelINS0_14default_configENS1_27scan_by_key_config_selectorIllEEZZNS1_16scan_by_key_implILNS1_25lookback_scan_determinismE0ELb0ES3_N6thrust23THRUST_200600_302600_NS16reverse_iteratorIPKlEESD_NSA_IPlEElN6hipcub16HIPCUB_304000_NS3MaxENSH_8EqualityElEE10hipError_tPvRmT2_T3_T4_T5_mT6_T7_P12ihipStream_tbENKUlT_T0_E_clISt17integral_constantIbLb1EESZ_IbLb0EEEEDaSV_SW_EUlSV_E_NS1_11comp_targetILNS1_3genE5ELNS1_11target_archE942ELNS1_3gpuE9ELNS1_3repE0EEENS1_30default_config_static_selectorELNS0_4arch9wavefront6targetE1EEEvT1_,"axG",@progbits,_ZN7rocprim17ROCPRIM_400000_NS6detail17trampoline_kernelINS0_14default_configENS1_27scan_by_key_config_selectorIllEEZZNS1_16scan_by_key_implILNS1_25lookback_scan_determinismE0ELb0ES3_N6thrust23THRUST_200600_302600_NS16reverse_iteratorIPKlEESD_NSA_IPlEElN6hipcub16HIPCUB_304000_NS3MaxENSH_8EqualityElEE10hipError_tPvRmT2_T3_T4_T5_mT6_T7_P12ihipStream_tbENKUlT_T0_E_clISt17integral_constantIbLb1EESZ_IbLb0EEEEDaSV_SW_EUlSV_E_NS1_11comp_targetILNS1_3genE5ELNS1_11target_archE942ELNS1_3gpuE9ELNS1_3repE0EEENS1_30default_config_static_selectorELNS0_4arch9wavefront6targetE1EEEvT1_,comdat
.Lfunc_end159:
	.size	_ZN7rocprim17ROCPRIM_400000_NS6detail17trampoline_kernelINS0_14default_configENS1_27scan_by_key_config_selectorIllEEZZNS1_16scan_by_key_implILNS1_25lookback_scan_determinismE0ELb0ES3_N6thrust23THRUST_200600_302600_NS16reverse_iteratorIPKlEESD_NSA_IPlEElN6hipcub16HIPCUB_304000_NS3MaxENSH_8EqualityElEE10hipError_tPvRmT2_T3_T4_T5_mT6_T7_P12ihipStream_tbENKUlT_T0_E_clISt17integral_constantIbLb1EESZ_IbLb0EEEEDaSV_SW_EUlSV_E_NS1_11comp_targetILNS1_3genE5ELNS1_11target_archE942ELNS1_3gpuE9ELNS1_3repE0EEENS1_30default_config_static_selectorELNS0_4arch9wavefront6targetE1EEEvT1_, .Lfunc_end159-_ZN7rocprim17ROCPRIM_400000_NS6detail17trampoline_kernelINS0_14default_configENS1_27scan_by_key_config_selectorIllEEZZNS1_16scan_by_key_implILNS1_25lookback_scan_determinismE0ELb0ES3_N6thrust23THRUST_200600_302600_NS16reverse_iteratorIPKlEESD_NSA_IPlEElN6hipcub16HIPCUB_304000_NS3MaxENSH_8EqualityElEE10hipError_tPvRmT2_T3_T4_T5_mT6_T7_P12ihipStream_tbENKUlT_T0_E_clISt17integral_constantIbLb1EESZ_IbLb0EEEEDaSV_SW_EUlSV_E_NS1_11comp_targetILNS1_3genE5ELNS1_11target_archE942ELNS1_3gpuE9ELNS1_3repE0EEENS1_30default_config_static_selectorELNS0_4arch9wavefront6targetE1EEEvT1_
                                        ; -- End function
	.set _ZN7rocprim17ROCPRIM_400000_NS6detail17trampoline_kernelINS0_14default_configENS1_27scan_by_key_config_selectorIllEEZZNS1_16scan_by_key_implILNS1_25lookback_scan_determinismE0ELb0ES3_N6thrust23THRUST_200600_302600_NS16reverse_iteratorIPKlEESD_NSA_IPlEElN6hipcub16HIPCUB_304000_NS3MaxENSH_8EqualityElEE10hipError_tPvRmT2_T3_T4_T5_mT6_T7_P12ihipStream_tbENKUlT_T0_E_clISt17integral_constantIbLb1EESZ_IbLb0EEEEDaSV_SW_EUlSV_E_NS1_11comp_targetILNS1_3genE5ELNS1_11target_archE942ELNS1_3gpuE9ELNS1_3repE0EEENS1_30default_config_static_selectorELNS0_4arch9wavefront6targetE1EEEvT1_.num_vgpr, 0
	.set _ZN7rocprim17ROCPRIM_400000_NS6detail17trampoline_kernelINS0_14default_configENS1_27scan_by_key_config_selectorIllEEZZNS1_16scan_by_key_implILNS1_25lookback_scan_determinismE0ELb0ES3_N6thrust23THRUST_200600_302600_NS16reverse_iteratorIPKlEESD_NSA_IPlEElN6hipcub16HIPCUB_304000_NS3MaxENSH_8EqualityElEE10hipError_tPvRmT2_T3_T4_T5_mT6_T7_P12ihipStream_tbENKUlT_T0_E_clISt17integral_constantIbLb1EESZ_IbLb0EEEEDaSV_SW_EUlSV_E_NS1_11comp_targetILNS1_3genE5ELNS1_11target_archE942ELNS1_3gpuE9ELNS1_3repE0EEENS1_30default_config_static_selectorELNS0_4arch9wavefront6targetE1EEEvT1_.num_agpr, 0
	.set _ZN7rocprim17ROCPRIM_400000_NS6detail17trampoline_kernelINS0_14default_configENS1_27scan_by_key_config_selectorIllEEZZNS1_16scan_by_key_implILNS1_25lookback_scan_determinismE0ELb0ES3_N6thrust23THRUST_200600_302600_NS16reverse_iteratorIPKlEESD_NSA_IPlEElN6hipcub16HIPCUB_304000_NS3MaxENSH_8EqualityElEE10hipError_tPvRmT2_T3_T4_T5_mT6_T7_P12ihipStream_tbENKUlT_T0_E_clISt17integral_constantIbLb1EESZ_IbLb0EEEEDaSV_SW_EUlSV_E_NS1_11comp_targetILNS1_3genE5ELNS1_11target_archE942ELNS1_3gpuE9ELNS1_3repE0EEENS1_30default_config_static_selectorELNS0_4arch9wavefront6targetE1EEEvT1_.numbered_sgpr, 0
	.set _ZN7rocprim17ROCPRIM_400000_NS6detail17trampoline_kernelINS0_14default_configENS1_27scan_by_key_config_selectorIllEEZZNS1_16scan_by_key_implILNS1_25lookback_scan_determinismE0ELb0ES3_N6thrust23THRUST_200600_302600_NS16reverse_iteratorIPKlEESD_NSA_IPlEElN6hipcub16HIPCUB_304000_NS3MaxENSH_8EqualityElEE10hipError_tPvRmT2_T3_T4_T5_mT6_T7_P12ihipStream_tbENKUlT_T0_E_clISt17integral_constantIbLb1EESZ_IbLb0EEEEDaSV_SW_EUlSV_E_NS1_11comp_targetILNS1_3genE5ELNS1_11target_archE942ELNS1_3gpuE9ELNS1_3repE0EEENS1_30default_config_static_selectorELNS0_4arch9wavefront6targetE1EEEvT1_.num_named_barrier, 0
	.set _ZN7rocprim17ROCPRIM_400000_NS6detail17trampoline_kernelINS0_14default_configENS1_27scan_by_key_config_selectorIllEEZZNS1_16scan_by_key_implILNS1_25lookback_scan_determinismE0ELb0ES3_N6thrust23THRUST_200600_302600_NS16reverse_iteratorIPKlEESD_NSA_IPlEElN6hipcub16HIPCUB_304000_NS3MaxENSH_8EqualityElEE10hipError_tPvRmT2_T3_T4_T5_mT6_T7_P12ihipStream_tbENKUlT_T0_E_clISt17integral_constantIbLb1EESZ_IbLb0EEEEDaSV_SW_EUlSV_E_NS1_11comp_targetILNS1_3genE5ELNS1_11target_archE942ELNS1_3gpuE9ELNS1_3repE0EEENS1_30default_config_static_selectorELNS0_4arch9wavefront6targetE1EEEvT1_.private_seg_size, 0
	.set _ZN7rocprim17ROCPRIM_400000_NS6detail17trampoline_kernelINS0_14default_configENS1_27scan_by_key_config_selectorIllEEZZNS1_16scan_by_key_implILNS1_25lookback_scan_determinismE0ELb0ES3_N6thrust23THRUST_200600_302600_NS16reverse_iteratorIPKlEESD_NSA_IPlEElN6hipcub16HIPCUB_304000_NS3MaxENSH_8EqualityElEE10hipError_tPvRmT2_T3_T4_T5_mT6_T7_P12ihipStream_tbENKUlT_T0_E_clISt17integral_constantIbLb1EESZ_IbLb0EEEEDaSV_SW_EUlSV_E_NS1_11comp_targetILNS1_3genE5ELNS1_11target_archE942ELNS1_3gpuE9ELNS1_3repE0EEENS1_30default_config_static_selectorELNS0_4arch9wavefront6targetE1EEEvT1_.uses_vcc, 0
	.set _ZN7rocprim17ROCPRIM_400000_NS6detail17trampoline_kernelINS0_14default_configENS1_27scan_by_key_config_selectorIllEEZZNS1_16scan_by_key_implILNS1_25lookback_scan_determinismE0ELb0ES3_N6thrust23THRUST_200600_302600_NS16reverse_iteratorIPKlEESD_NSA_IPlEElN6hipcub16HIPCUB_304000_NS3MaxENSH_8EqualityElEE10hipError_tPvRmT2_T3_T4_T5_mT6_T7_P12ihipStream_tbENKUlT_T0_E_clISt17integral_constantIbLb1EESZ_IbLb0EEEEDaSV_SW_EUlSV_E_NS1_11comp_targetILNS1_3genE5ELNS1_11target_archE942ELNS1_3gpuE9ELNS1_3repE0EEENS1_30default_config_static_selectorELNS0_4arch9wavefront6targetE1EEEvT1_.uses_flat_scratch, 0
	.set _ZN7rocprim17ROCPRIM_400000_NS6detail17trampoline_kernelINS0_14default_configENS1_27scan_by_key_config_selectorIllEEZZNS1_16scan_by_key_implILNS1_25lookback_scan_determinismE0ELb0ES3_N6thrust23THRUST_200600_302600_NS16reverse_iteratorIPKlEESD_NSA_IPlEElN6hipcub16HIPCUB_304000_NS3MaxENSH_8EqualityElEE10hipError_tPvRmT2_T3_T4_T5_mT6_T7_P12ihipStream_tbENKUlT_T0_E_clISt17integral_constantIbLb1EESZ_IbLb0EEEEDaSV_SW_EUlSV_E_NS1_11comp_targetILNS1_3genE5ELNS1_11target_archE942ELNS1_3gpuE9ELNS1_3repE0EEENS1_30default_config_static_selectorELNS0_4arch9wavefront6targetE1EEEvT1_.has_dyn_sized_stack, 0
	.set _ZN7rocprim17ROCPRIM_400000_NS6detail17trampoline_kernelINS0_14default_configENS1_27scan_by_key_config_selectorIllEEZZNS1_16scan_by_key_implILNS1_25lookback_scan_determinismE0ELb0ES3_N6thrust23THRUST_200600_302600_NS16reverse_iteratorIPKlEESD_NSA_IPlEElN6hipcub16HIPCUB_304000_NS3MaxENSH_8EqualityElEE10hipError_tPvRmT2_T3_T4_T5_mT6_T7_P12ihipStream_tbENKUlT_T0_E_clISt17integral_constantIbLb1EESZ_IbLb0EEEEDaSV_SW_EUlSV_E_NS1_11comp_targetILNS1_3genE5ELNS1_11target_archE942ELNS1_3gpuE9ELNS1_3repE0EEENS1_30default_config_static_selectorELNS0_4arch9wavefront6targetE1EEEvT1_.has_recursion, 0
	.set _ZN7rocprim17ROCPRIM_400000_NS6detail17trampoline_kernelINS0_14default_configENS1_27scan_by_key_config_selectorIllEEZZNS1_16scan_by_key_implILNS1_25lookback_scan_determinismE0ELb0ES3_N6thrust23THRUST_200600_302600_NS16reverse_iteratorIPKlEESD_NSA_IPlEElN6hipcub16HIPCUB_304000_NS3MaxENSH_8EqualityElEE10hipError_tPvRmT2_T3_T4_T5_mT6_T7_P12ihipStream_tbENKUlT_T0_E_clISt17integral_constantIbLb1EESZ_IbLb0EEEEDaSV_SW_EUlSV_E_NS1_11comp_targetILNS1_3genE5ELNS1_11target_archE942ELNS1_3gpuE9ELNS1_3repE0EEENS1_30default_config_static_selectorELNS0_4arch9wavefront6targetE1EEEvT1_.has_indirect_call, 0
	.section	.AMDGPU.csdata,"",@progbits
; Kernel info:
; codeLenInByte = 0
; TotalNumSgprs: 6
; NumVgprs: 0
; NumAgprs: 0
; TotalNumVgprs: 0
; ScratchSize: 0
; MemoryBound: 0
; FloatMode: 240
; IeeeMode: 1
; LDSByteSize: 0 bytes/workgroup (compile time only)
; SGPRBlocks: 0
; VGPRBlocks: 0
; NumSGPRsForWavesPerEU: 6
; NumVGPRsForWavesPerEU: 1
; AccumOffset: 4
; Occupancy: 8
; WaveLimiterHint : 0
; COMPUTE_PGM_RSRC2:SCRATCH_EN: 0
; COMPUTE_PGM_RSRC2:USER_SGPR: 2
; COMPUTE_PGM_RSRC2:TRAP_HANDLER: 0
; COMPUTE_PGM_RSRC2:TGID_X_EN: 1
; COMPUTE_PGM_RSRC2:TGID_Y_EN: 0
; COMPUTE_PGM_RSRC2:TGID_Z_EN: 0
; COMPUTE_PGM_RSRC2:TIDIG_COMP_CNT: 0
; COMPUTE_PGM_RSRC3_GFX90A:ACCUM_OFFSET: 0
; COMPUTE_PGM_RSRC3_GFX90A:TG_SPLIT: 0
	.section	.text._ZN7rocprim17ROCPRIM_400000_NS6detail17trampoline_kernelINS0_14default_configENS1_27scan_by_key_config_selectorIllEEZZNS1_16scan_by_key_implILNS1_25lookback_scan_determinismE0ELb0ES3_N6thrust23THRUST_200600_302600_NS16reverse_iteratorIPKlEESD_NSA_IPlEElN6hipcub16HIPCUB_304000_NS3MaxENSH_8EqualityElEE10hipError_tPvRmT2_T3_T4_T5_mT6_T7_P12ihipStream_tbENKUlT_T0_E_clISt17integral_constantIbLb1EESZ_IbLb0EEEEDaSV_SW_EUlSV_E_NS1_11comp_targetILNS1_3genE4ELNS1_11target_archE910ELNS1_3gpuE8ELNS1_3repE0EEENS1_30default_config_static_selectorELNS0_4arch9wavefront6targetE1EEEvT1_,"axG",@progbits,_ZN7rocprim17ROCPRIM_400000_NS6detail17trampoline_kernelINS0_14default_configENS1_27scan_by_key_config_selectorIllEEZZNS1_16scan_by_key_implILNS1_25lookback_scan_determinismE0ELb0ES3_N6thrust23THRUST_200600_302600_NS16reverse_iteratorIPKlEESD_NSA_IPlEElN6hipcub16HIPCUB_304000_NS3MaxENSH_8EqualityElEE10hipError_tPvRmT2_T3_T4_T5_mT6_T7_P12ihipStream_tbENKUlT_T0_E_clISt17integral_constantIbLb1EESZ_IbLb0EEEEDaSV_SW_EUlSV_E_NS1_11comp_targetILNS1_3genE4ELNS1_11target_archE910ELNS1_3gpuE8ELNS1_3repE0EEENS1_30default_config_static_selectorELNS0_4arch9wavefront6targetE1EEEvT1_,comdat
	.protected	_ZN7rocprim17ROCPRIM_400000_NS6detail17trampoline_kernelINS0_14default_configENS1_27scan_by_key_config_selectorIllEEZZNS1_16scan_by_key_implILNS1_25lookback_scan_determinismE0ELb0ES3_N6thrust23THRUST_200600_302600_NS16reverse_iteratorIPKlEESD_NSA_IPlEElN6hipcub16HIPCUB_304000_NS3MaxENSH_8EqualityElEE10hipError_tPvRmT2_T3_T4_T5_mT6_T7_P12ihipStream_tbENKUlT_T0_E_clISt17integral_constantIbLb1EESZ_IbLb0EEEEDaSV_SW_EUlSV_E_NS1_11comp_targetILNS1_3genE4ELNS1_11target_archE910ELNS1_3gpuE8ELNS1_3repE0EEENS1_30default_config_static_selectorELNS0_4arch9wavefront6targetE1EEEvT1_ ; -- Begin function _ZN7rocprim17ROCPRIM_400000_NS6detail17trampoline_kernelINS0_14default_configENS1_27scan_by_key_config_selectorIllEEZZNS1_16scan_by_key_implILNS1_25lookback_scan_determinismE0ELb0ES3_N6thrust23THRUST_200600_302600_NS16reverse_iteratorIPKlEESD_NSA_IPlEElN6hipcub16HIPCUB_304000_NS3MaxENSH_8EqualityElEE10hipError_tPvRmT2_T3_T4_T5_mT6_T7_P12ihipStream_tbENKUlT_T0_E_clISt17integral_constantIbLb1EESZ_IbLb0EEEEDaSV_SW_EUlSV_E_NS1_11comp_targetILNS1_3genE4ELNS1_11target_archE910ELNS1_3gpuE8ELNS1_3repE0EEENS1_30default_config_static_selectorELNS0_4arch9wavefront6targetE1EEEvT1_
	.globl	_ZN7rocprim17ROCPRIM_400000_NS6detail17trampoline_kernelINS0_14default_configENS1_27scan_by_key_config_selectorIllEEZZNS1_16scan_by_key_implILNS1_25lookback_scan_determinismE0ELb0ES3_N6thrust23THRUST_200600_302600_NS16reverse_iteratorIPKlEESD_NSA_IPlEElN6hipcub16HIPCUB_304000_NS3MaxENSH_8EqualityElEE10hipError_tPvRmT2_T3_T4_T5_mT6_T7_P12ihipStream_tbENKUlT_T0_E_clISt17integral_constantIbLb1EESZ_IbLb0EEEEDaSV_SW_EUlSV_E_NS1_11comp_targetILNS1_3genE4ELNS1_11target_archE910ELNS1_3gpuE8ELNS1_3repE0EEENS1_30default_config_static_selectorELNS0_4arch9wavefront6targetE1EEEvT1_
	.p2align	8
	.type	_ZN7rocprim17ROCPRIM_400000_NS6detail17trampoline_kernelINS0_14default_configENS1_27scan_by_key_config_selectorIllEEZZNS1_16scan_by_key_implILNS1_25lookback_scan_determinismE0ELb0ES3_N6thrust23THRUST_200600_302600_NS16reverse_iteratorIPKlEESD_NSA_IPlEElN6hipcub16HIPCUB_304000_NS3MaxENSH_8EqualityElEE10hipError_tPvRmT2_T3_T4_T5_mT6_T7_P12ihipStream_tbENKUlT_T0_E_clISt17integral_constantIbLb1EESZ_IbLb0EEEEDaSV_SW_EUlSV_E_NS1_11comp_targetILNS1_3genE4ELNS1_11target_archE910ELNS1_3gpuE8ELNS1_3repE0EEENS1_30default_config_static_selectorELNS0_4arch9wavefront6targetE1EEEvT1_,@function
_ZN7rocprim17ROCPRIM_400000_NS6detail17trampoline_kernelINS0_14default_configENS1_27scan_by_key_config_selectorIllEEZZNS1_16scan_by_key_implILNS1_25lookback_scan_determinismE0ELb0ES3_N6thrust23THRUST_200600_302600_NS16reverse_iteratorIPKlEESD_NSA_IPlEElN6hipcub16HIPCUB_304000_NS3MaxENSH_8EqualityElEE10hipError_tPvRmT2_T3_T4_T5_mT6_T7_P12ihipStream_tbENKUlT_T0_E_clISt17integral_constantIbLb1EESZ_IbLb0EEEEDaSV_SW_EUlSV_E_NS1_11comp_targetILNS1_3genE4ELNS1_11target_archE910ELNS1_3gpuE8ELNS1_3repE0EEENS1_30default_config_static_selectorELNS0_4arch9wavefront6targetE1EEEvT1_: ; @_ZN7rocprim17ROCPRIM_400000_NS6detail17trampoline_kernelINS0_14default_configENS1_27scan_by_key_config_selectorIllEEZZNS1_16scan_by_key_implILNS1_25lookback_scan_determinismE0ELb0ES3_N6thrust23THRUST_200600_302600_NS16reverse_iteratorIPKlEESD_NSA_IPlEElN6hipcub16HIPCUB_304000_NS3MaxENSH_8EqualityElEE10hipError_tPvRmT2_T3_T4_T5_mT6_T7_P12ihipStream_tbENKUlT_T0_E_clISt17integral_constantIbLb1EESZ_IbLb0EEEEDaSV_SW_EUlSV_E_NS1_11comp_targetILNS1_3genE4ELNS1_11target_archE910ELNS1_3gpuE8ELNS1_3repE0EEENS1_30default_config_static_selectorELNS0_4arch9wavefront6targetE1EEEvT1_
; %bb.0:
	.section	.rodata,"a",@progbits
	.p2align	6, 0x0
	.amdhsa_kernel _ZN7rocprim17ROCPRIM_400000_NS6detail17trampoline_kernelINS0_14default_configENS1_27scan_by_key_config_selectorIllEEZZNS1_16scan_by_key_implILNS1_25lookback_scan_determinismE0ELb0ES3_N6thrust23THRUST_200600_302600_NS16reverse_iteratorIPKlEESD_NSA_IPlEElN6hipcub16HIPCUB_304000_NS3MaxENSH_8EqualityElEE10hipError_tPvRmT2_T3_T4_T5_mT6_T7_P12ihipStream_tbENKUlT_T0_E_clISt17integral_constantIbLb1EESZ_IbLb0EEEEDaSV_SW_EUlSV_E_NS1_11comp_targetILNS1_3genE4ELNS1_11target_archE910ELNS1_3gpuE8ELNS1_3repE0EEENS1_30default_config_static_selectorELNS0_4arch9wavefront6targetE1EEEvT1_
		.amdhsa_group_segment_fixed_size 0
		.amdhsa_private_segment_fixed_size 0
		.amdhsa_kernarg_size 136
		.amdhsa_user_sgpr_count 2
		.amdhsa_user_sgpr_dispatch_ptr 0
		.amdhsa_user_sgpr_queue_ptr 0
		.amdhsa_user_sgpr_kernarg_segment_ptr 1
		.amdhsa_user_sgpr_dispatch_id 0
		.amdhsa_user_sgpr_kernarg_preload_length 0
		.amdhsa_user_sgpr_kernarg_preload_offset 0
		.amdhsa_user_sgpr_private_segment_size 0
		.amdhsa_uses_dynamic_stack 0
		.amdhsa_enable_private_segment 0
		.amdhsa_system_sgpr_workgroup_id_x 1
		.amdhsa_system_sgpr_workgroup_id_y 0
		.amdhsa_system_sgpr_workgroup_id_z 0
		.amdhsa_system_sgpr_workgroup_info 0
		.amdhsa_system_vgpr_workitem_id 0
		.amdhsa_next_free_vgpr 1
		.amdhsa_next_free_sgpr 0
		.amdhsa_accum_offset 4
		.amdhsa_reserve_vcc 0
		.amdhsa_float_round_mode_32 0
		.amdhsa_float_round_mode_16_64 0
		.amdhsa_float_denorm_mode_32 3
		.amdhsa_float_denorm_mode_16_64 3
		.amdhsa_dx10_clamp 1
		.amdhsa_ieee_mode 1
		.amdhsa_fp16_overflow 0
		.amdhsa_tg_split 0
		.amdhsa_exception_fp_ieee_invalid_op 0
		.amdhsa_exception_fp_denorm_src 0
		.amdhsa_exception_fp_ieee_div_zero 0
		.amdhsa_exception_fp_ieee_overflow 0
		.amdhsa_exception_fp_ieee_underflow 0
		.amdhsa_exception_fp_ieee_inexact 0
		.amdhsa_exception_int_div_zero 0
	.end_amdhsa_kernel
	.section	.text._ZN7rocprim17ROCPRIM_400000_NS6detail17trampoline_kernelINS0_14default_configENS1_27scan_by_key_config_selectorIllEEZZNS1_16scan_by_key_implILNS1_25lookback_scan_determinismE0ELb0ES3_N6thrust23THRUST_200600_302600_NS16reverse_iteratorIPKlEESD_NSA_IPlEElN6hipcub16HIPCUB_304000_NS3MaxENSH_8EqualityElEE10hipError_tPvRmT2_T3_T4_T5_mT6_T7_P12ihipStream_tbENKUlT_T0_E_clISt17integral_constantIbLb1EESZ_IbLb0EEEEDaSV_SW_EUlSV_E_NS1_11comp_targetILNS1_3genE4ELNS1_11target_archE910ELNS1_3gpuE8ELNS1_3repE0EEENS1_30default_config_static_selectorELNS0_4arch9wavefront6targetE1EEEvT1_,"axG",@progbits,_ZN7rocprim17ROCPRIM_400000_NS6detail17trampoline_kernelINS0_14default_configENS1_27scan_by_key_config_selectorIllEEZZNS1_16scan_by_key_implILNS1_25lookback_scan_determinismE0ELb0ES3_N6thrust23THRUST_200600_302600_NS16reverse_iteratorIPKlEESD_NSA_IPlEElN6hipcub16HIPCUB_304000_NS3MaxENSH_8EqualityElEE10hipError_tPvRmT2_T3_T4_T5_mT6_T7_P12ihipStream_tbENKUlT_T0_E_clISt17integral_constantIbLb1EESZ_IbLb0EEEEDaSV_SW_EUlSV_E_NS1_11comp_targetILNS1_3genE4ELNS1_11target_archE910ELNS1_3gpuE8ELNS1_3repE0EEENS1_30default_config_static_selectorELNS0_4arch9wavefront6targetE1EEEvT1_,comdat
.Lfunc_end160:
	.size	_ZN7rocprim17ROCPRIM_400000_NS6detail17trampoline_kernelINS0_14default_configENS1_27scan_by_key_config_selectorIllEEZZNS1_16scan_by_key_implILNS1_25lookback_scan_determinismE0ELb0ES3_N6thrust23THRUST_200600_302600_NS16reverse_iteratorIPKlEESD_NSA_IPlEElN6hipcub16HIPCUB_304000_NS3MaxENSH_8EqualityElEE10hipError_tPvRmT2_T3_T4_T5_mT6_T7_P12ihipStream_tbENKUlT_T0_E_clISt17integral_constantIbLb1EESZ_IbLb0EEEEDaSV_SW_EUlSV_E_NS1_11comp_targetILNS1_3genE4ELNS1_11target_archE910ELNS1_3gpuE8ELNS1_3repE0EEENS1_30default_config_static_selectorELNS0_4arch9wavefront6targetE1EEEvT1_, .Lfunc_end160-_ZN7rocprim17ROCPRIM_400000_NS6detail17trampoline_kernelINS0_14default_configENS1_27scan_by_key_config_selectorIllEEZZNS1_16scan_by_key_implILNS1_25lookback_scan_determinismE0ELb0ES3_N6thrust23THRUST_200600_302600_NS16reverse_iteratorIPKlEESD_NSA_IPlEElN6hipcub16HIPCUB_304000_NS3MaxENSH_8EqualityElEE10hipError_tPvRmT2_T3_T4_T5_mT6_T7_P12ihipStream_tbENKUlT_T0_E_clISt17integral_constantIbLb1EESZ_IbLb0EEEEDaSV_SW_EUlSV_E_NS1_11comp_targetILNS1_3genE4ELNS1_11target_archE910ELNS1_3gpuE8ELNS1_3repE0EEENS1_30default_config_static_selectorELNS0_4arch9wavefront6targetE1EEEvT1_
                                        ; -- End function
	.set _ZN7rocprim17ROCPRIM_400000_NS6detail17trampoline_kernelINS0_14default_configENS1_27scan_by_key_config_selectorIllEEZZNS1_16scan_by_key_implILNS1_25lookback_scan_determinismE0ELb0ES3_N6thrust23THRUST_200600_302600_NS16reverse_iteratorIPKlEESD_NSA_IPlEElN6hipcub16HIPCUB_304000_NS3MaxENSH_8EqualityElEE10hipError_tPvRmT2_T3_T4_T5_mT6_T7_P12ihipStream_tbENKUlT_T0_E_clISt17integral_constantIbLb1EESZ_IbLb0EEEEDaSV_SW_EUlSV_E_NS1_11comp_targetILNS1_3genE4ELNS1_11target_archE910ELNS1_3gpuE8ELNS1_3repE0EEENS1_30default_config_static_selectorELNS0_4arch9wavefront6targetE1EEEvT1_.num_vgpr, 0
	.set _ZN7rocprim17ROCPRIM_400000_NS6detail17trampoline_kernelINS0_14default_configENS1_27scan_by_key_config_selectorIllEEZZNS1_16scan_by_key_implILNS1_25lookback_scan_determinismE0ELb0ES3_N6thrust23THRUST_200600_302600_NS16reverse_iteratorIPKlEESD_NSA_IPlEElN6hipcub16HIPCUB_304000_NS3MaxENSH_8EqualityElEE10hipError_tPvRmT2_T3_T4_T5_mT6_T7_P12ihipStream_tbENKUlT_T0_E_clISt17integral_constantIbLb1EESZ_IbLb0EEEEDaSV_SW_EUlSV_E_NS1_11comp_targetILNS1_3genE4ELNS1_11target_archE910ELNS1_3gpuE8ELNS1_3repE0EEENS1_30default_config_static_selectorELNS0_4arch9wavefront6targetE1EEEvT1_.num_agpr, 0
	.set _ZN7rocprim17ROCPRIM_400000_NS6detail17trampoline_kernelINS0_14default_configENS1_27scan_by_key_config_selectorIllEEZZNS1_16scan_by_key_implILNS1_25lookback_scan_determinismE0ELb0ES3_N6thrust23THRUST_200600_302600_NS16reverse_iteratorIPKlEESD_NSA_IPlEElN6hipcub16HIPCUB_304000_NS3MaxENSH_8EqualityElEE10hipError_tPvRmT2_T3_T4_T5_mT6_T7_P12ihipStream_tbENKUlT_T0_E_clISt17integral_constantIbLb1EESZ_IbLb0EEEEDaSV_SW_EUlSV_E_NS1_11comp_targetILNS1_3genE4ELNS1_11target_archE910ELNS1_3gpuE8ELNS1_3repE0EEENS1_30default_config_static_selectorELNS0_4arch9wavefront6targetE1EEEvT1_.numbered_sgpr, 0
	.set _ZN7rocprim17ROCPRIM_400000_NS6detail17trampoline_kernelINS0_14default_configENS1_27scan_by_key_config_selectorIllEEZZNS1_16scan_by_key_implILNS1_25lookback_scan_determinismE0ELb0ES3_N6thrust23THRUST_200600_302600_NS16reverse_iteratorIPKlEESD_NSA_IPlEElN6hipcub16HIPCUB_304000_NS3MaxENSH_8EqualityElEE10hipError_tPvRmT2_T3_T4_T5_mT6_T7_P12ihipStream_tbENKUlT_T0_E_clISt17integral_constantIbLb1EESZ_IbLb0EEEEDaSV_SW_EUlSV_E_NS1_11comp_targetILNS1_3genE4ELNS1_11target_archE910ELNS1_3gpuE8ELNS1_3repE0EEENS1_30default_config_static_selectorELNS0_4arch9wavefront6targetE1EEEvT1_.num_named_barrier, 0
	.set _ZN7rocprim17ROCPRIM_400000_NS6detail17trampoline_kernelINS0_14default_configENS1_27scan_by_key_config_selectorIllEEZZNS1_16scan_by_key_implILNS1_25lookback_scan_determinismE0ELb0ES3_N6thrust23THRUST_200600_302600_NS16reverse_iteratorIPKlEESD_NSA_IPlEElN6hipcub16HIPCUB_304000_NS3MaxENSH_8EqualityElEE10hipError_tPvRmT2_T3_T4_T5_mT6_T7_P12ihipStream_tbENKUlT_T0_E_clISt17integral_constantIbLb1EESZ_IbLb0EEEEDaSV_SW_EUlSV_E_NS1_11comp_targetILNS1_3genE4ELNS1_11target_archE910ELNS1_3gpuE8ELNS1_3repE0EEENS1_30default_config_static_selectorELNS0_4arch9wavefront6targetE1EEEvT1_.private_seg_size, 0
	.set _ZN7rocprim17ROCPRIM_400000_NS6detail17trampoline_kernelINS0_14default_configENS1_27scan_by_key_config_selectorIllEEZZNS1_16scan_by_key_implILNS1_25lookback_scan_determinismE0ELb0ES3_N6thrust23THRUST_200600_302600_NS16reverse_iteratorIPKlEESD_NSA_IPlEElN6hipcub16HIPCUB_304000_NS3MaxENSH_8EqualityElEE10hipError_tPvRmT2_T3_T4_T5_mT6_T7_P12ihipStream_tbENKUlT_T0_E_clISt17integral_constantIbLb1EESZ_IbLb0EEEEDaSV_SW_EUlSV_E_NS1_11comp_targetILNS1_3genE4ELNS1_11target_archE910ELNS1_3gpuE8ELNS1_3repE0EEENS1_30default_config_static_selectorELNS0_4arch9wavefront6targetE1EEEvT1_.uses_vcc, 0
	.set _ZN7rocprim17ROCPRIM_400000_NS6detail17trampoline_kernelINS0_14default_configENS1_27scan_by_key_config_selectorIllEEZZNS1_16scan_by_key_implILNS1_25lookback_scan_determinismE0ELb0ES3_N6thrust23THRUST_200600_302600_NS16reverse_iteratorIPKlEESD_NSA_IPlEElN6hipcub16HIPCUB_304000_NS3MaxENSH_8EqualityElEE10hipError_tPvRmT2_T3_T4_T5_mT6_T7_P12ihipStream_tbENKUlT_T0_E_clISt17integral_constantIbLb1EESZ_IbLb0EEEEDaSV_SW_EUlSV_E_NS1_11comp_targetILNS1_3genE4ELNS1_11target_archE910ELNS1_3gpuE8ELNS1_3repE0EEENS1_30default_config_static_selectorELNS0_4arch9wavefront6targetE1EEEvT1_.uses_flat_scratch, 0
	.set _ZN7rocprim17ROCPRIM_400000_NS6detail17trampoline_kernelINS0_14default_configENS1_27scan_by_key_config_selectorIllEEZZNS1_16scan_by_key_implILNS1_25lookback_scan_determinismE0ELb0ES3_N6thrust23THRUST_200600_302600_NS16reverse_iteratorIPKlEESD_NSA_IPlEElN6hipcub16HIPCUB_304000_NS3MaxENSH_8EqualityElEE10hipError_tPvRmT2_T3_T4_T5_mT6_T7_P12ihipStream_tbENKUlT_T0_E_clISt17integral_constantIbLb1EESZ_IbLb0EEEEDaSV_SW_EUlSV_E_NS1_11comp_targetILNS1_3genE4ELNS1_11target_archE910ELNS1_3gpuE8ELNS1_3repE0EEENS1_30default_config_static_selectorELNS0_4arch9wavefront6targetE1EEEvT1_.has_dyn_sized_stack, 0
	.set _ZN7rocprim17ROCPRIM_400000_NS6detail17trampoline_kernelINS0_14default_configENS1_27scan_by_key_config_selectorIllEEZZNS1_16scan_by_key_implILNS1_25lookback_scan_determinismE0ELb0ES3_N6thrust23THRUST_200600_302600_NS16reverse_iteratorIPKlEESD_NSA_IPlEElN6hipcub16HIPCUB_304000_NS3MaxENSH_8EqualityElEE10hipError_tPvRmT2_T3_T4_T5_mT6_T7_P12ihipStream_tbENKUlT_T0_E_clISt17integral_constantIbLb1EESZ_IbLb0EEEEDaSV_SW_EUlSV_E_NS1_11comp_targetILNS1_3genE4ELNS1_11target_archE910ELNS1_3gpuE8ELNS1_3repE0EEENS1_30default_config_static_selectorELNS0_4arch9wavefront6targetE1EEEvT1_.has_recursion, 0
	.set _ZN7rocprim17ROCPRIM_400000_NS6detail17trampoline_kernelINS0_14default_configENS1_27scan_by_key_config_selectorIllEEZZNS1_16scan_by_key_implILNS1_25lookback_scan_determinismE0ELb0ES3_N6thrust23THRUST_200600_302600_NS16reverse_iteratorIPKlEESD_NSA_IPlEElN6hipcub16HIPCUB_304000_NS3MaxENSH_8EqualityElEE10hipError_tPvRmT2_T3_T4_T5_mT6_T7_P12ihipStream_tbENKUlT_T0_E_clISt17integral_constantIbLb1EESZ_IbLb0EEEEDaSV_SW_EUlSV_E_NS1_11comp_targetILNS1_3genE4ELNS1_11target_archE910ELNS1_3gpuE8ELNS1_3repE0EEENS1_30default_config_static_selectorELNS0_4arch9wavefront6targetE1EEEvT1_.has_indirect_call, 0
	.section	.AMDGPU.csdata,"",@progbits
; Kernel info:
; codeLenInByte = 0
; TotalNumSgprs: 6
; NumVgprs: 0
; NumAgprs: 0
; TotalNumVgprs: 0
; ScratchSize: 0
; MemoryBound: 0
; FloatMode: 240
; IeeeMode: 1
; LDSByteSize: 0 bytes/workgroup (compile time only)
; SGPRBlocks: 0
; VGPRBlocks: 0
; NumSGPRsForWavesPerEU: 6
; NumVGPRsForWavesPerEU: 1
; AccumOffset: 4
; Occupancy: 8
; WaveLimiterHint : 0
; COMPUTE_PGM_RSRC2:SCRATCH_EN: 0
; COMPUTE_PGM_RSRC2:USER_SGPR: 2
; COMPUTE_PGM_RSRC2:TRAP_HANDLER: 0
; COMPUTE_PGM_RSRC2:TGID_X_EN: 1
; COMPUTE_PGM_RSRC2:TGID_Y_EN: 0
; COMPUTE_PGM_RSRC2:TGID_Z_EN: 0
; COMPUTE_PGM_RSRC2:TIDIG_COMP_CNT: 0
; COMPUTE_PGM_RSRC3_GFX90A:ACCUM_OFFSET: 0
; COMPUTE_PGM_RSRC3_GFX90A:TG_SPLIT: 0
	.section	.text._ZN7rocprim17ROCPRIM_400000_NS6detail17trampoline_kernelINS0_14default_configENS1_27scan_by_key_config_selectorIllEEZZNS1_16scan_by_key_implILNS1_25lookback_scan_determinismE0ELb0ES3_N6thrust23THRUST_200600_302600_NS16reverse_iteratorIPKlEESD_NSA_IPlEElN6hipcub16HIPCUB_304000_NS3MaxENSH_8EqualityElEE10hipError_tPvRmT2_T3_T4_T5_mT6_T7_P12ihipStream_tbENKUlT_T0_E_clISt17integral_constantIbLb1EESZ_IbLb0EEEEDaSV_SW_EUlSV_E_NS1_11comp_targetILNS1_3genE3ELNS1_11target_archE908ELNS1_3gpuE7ELNS1_3repE0EEENS1_30default_config_static_selectorELNS0_4arch9wavefront6targetE1EEEvT1_,"axG",@progbits,_ZN7rocprim17ROCPRIM_400000_NS6detail17trampoline_kernelINS0_14default_configENS1_27scan_by_key_config_selectorIllEEZZNS1_16scan_by_key_implILNS1_25lookback_scan_determinismE0ELb0ES3_N6thrust23THRUST_200600_302600_NS16reverse_iteratorIPKlEESD_NSA_IPlEElN6hipcub16HIPCUB_304000_NS3MaxENSH_8EqualityElEE10hipError_tPvRmT2_T3_T4_T5_mT6_T7_P12ihipStream_tbENKUlT_T0_E_clISt17integral_constantIbLb1EESZ_IbLb0EEEEDaSV_SW_EUlSV_E_NS1_11comp_targetILNS1_3genE3ELNS1_11target_archE908ELNS1_3gpuE7ELNS1_3repE0EEENS1_30default_config_static_selectorELNS0_4arch9wavefront6targetE1EEEvT1_,comdat
	.protected	_ZN7rocprim17ROCPRIM_400000_NS6detail17trampoline_kernelINS0_14default_configENS1_27scan_by_key_config_selectorIllEEZZNS1_16scan_by_key_implILNS1_25lookback_scan_determinismE0ELb0ES3_N6thrust23THRUST_200600_302600_NS16reverse_iteratorIPKlEESD_NSA_IPlEElN6hipcub16HIPCUB_304000_NS3MaxENSH_8EqualityElEE10hipError_tPvRmT2_T3_T4_T5_mT6_T7_P12ihipStream_tbENKUlT_T0_E_clISt17integral_constantIbLb1EESZ_IbLb0EEEEDaSV_SW_EUlSV_E_NS1_11comp_targetILNS1_3genE3ELNS1_11target_archE908ELNS1_3gpuE7ELNS1_3repE0EEENS1_30default_config_static_selectorELNS0_4arch9wavefront6targetE1EEEvT1_ ; -- Begin function _ZN7rocprim17ROCPRIM_400000_NS6detail17trampoline_kernelINS0_14default_configENS1_27scan_by_key_config_selectorIllEEZZNS1_16scan_by_key_implILNS1_25lookback_scan_determinismE0ELb0ES3_N6thrust23THRUST_200600_302600_NS16reverse_iteratorIPKlEESD_NSA_IPlEElN6hipcub16HIPCUB_304000_NS3MaxENSH_8EqualityElEE10hipError_tPvRmT2_T3_T4_T5_mT6_T7_P12ihipStream_tbENKUlT_T0_E_clISt17integral_constantIbLb1EESZ_IbLb0EEEEDaSV_SW_EUlSV_E_NS1_11comp_targetILNS1_3genE3ELNS1_11target_archE908ELNS1_3gpuE7ELNS1_3repE0EEENS1_30default_config_static_selectorELNS0_4arch9wavefront6targetE1EEEvT1_
	.globl	_ZN7rocprim17ROCPRIM_400000_NS6detail17trampoline_kernelINS0_14default_configENS1_27scan_by_key_config_selectorIllEEZZNS1_16scan_by_key_implILNS1_25lookback_scan_determinismE0ELb0ES3_N6thrust23THRUST_200600_302600_NS16reverse_iteratorIPKlEESD_NSA_IPlEElN6hipcub16HIPCUB_304000_NS3MaxENSH_8EqualityElEE10hipError_tPvRmT2_T3_T4_T5_mT6_T7_P12ihipStream_tbENKUlT_T0_E_clISt17integral_constantIbLb1EESZ_IbLb0EEEEDaSV_SW_EUlSV_E_NS1_11comp_targetILNS1_3genE3ELNS1_11target_archE908ELNS1_3gpuE7ELNS1_3repE0EEENS1_30default_config_static_selectorELNS0_4arch9wavefront6targetE1EEEvT1_
	.p2align	8
	.type	_ZN7rocprim17ROCPRIM_400000_NS6detail17trampoline_kernelINS0_14default_configENS1_27scan_by_key_config_selectorIllEEZZNS1_16scan_by_key_implILNS1_25lookback_scan_determinismE0ELb0ES3_N6thrust23THRUST_200600_302600_NS16reverse_iteratorIPKlEESD_NSA_IPlEElN6hipcub16HIPCUB_304000_NS3MaxENSH_8EqualityElEE10hipError_tPvRmT2_T3_T4_T5_mT6_T7_P12ihipStream_tbENKUlT_T0_E_clISt17integral_constantIbLb1EESZ_IbLb0EEEEDaSV_SW_EUlSV_E_NS1_11comp_targetILNS1_3genE3ELNS1_11target_archE908ELNS1_3gpuE7ELNS1_3repE0EEENS1_30default_config_static_selectorELNS0_4arch9wavefront6targetE1EEEvT1_,@function
_ZN7rocprim17ROCPRIM_400000_NS6detail17trampoline_kernelINS0_14default_configENS1_27scan_by_key_config_selectorIllEEZZNS1_16scan_by_key_implILNS1_25lookback_scan_determinismE0ELb0ES3_N6thrust23THRUST_200600_302600_NS16reverse_iteratorIPKlEESD_NSA_IPlEElN6hipcub16HIPCUB_304000_NS3MaxENSH_8EqualityElEE10hipError_tPvRmT2_T3_T4_T5_mT6_T7_P12ihipStream_tbENKUlT_T0_E_clISt17integral_constantIbLb1EESZ_IbLb0EEEEDaSV_SW_EUlSV_E_NS1_11comp_targetILNS1_3genE3ELNS1_11target_archE908ELNS1_3gpuE7ELNS1_3repE0EEENS1_30default_config_static_selectorELNS0_4arch9wavefront6targetE1EEEvT1_: ; @_ZN7rocprim17ROCPRIM_400000_NS6detail17trampoline_kernelINS0_14default_configENS1_27scan_by_key_config_selectorIllEEZZNS1_16scan_by_key_implILNS1_25lookback_scan_determinismE0ELb0ES3_N6thrust23THRUST_200600_302600_NS16reverse_iteratorIPKlEESD_NSA_IPlEElN6hipcub16HIPCUB_304000_NS3MaxENSH_8EqualityElEE10hipError_tPvRmT2_T3_T4_T5_mT6_T7_P12ihipStream_tbENKUlT_T0_E_clISt17integral_constantIbLb1EESZ_IbLb0EEEEDaSV_SW_EUlSV_E_NS1_11comp_targetILNS1_3genE3ELNS1_11target_archE908ELNS1_3gpuE7ELNS1_3repE0EEENS1_30default_config_static_selectorELNS0_4arch9wavefront6targetE1EEEvT1_
; %bb.0:
	.section	.rodata,"a",@progbits
	.p2align	6, 0x0
	.amdhsa_kernel _ZN7rocprim17ROCPRIM_400000_NS6detail17trampoline_kernelINS0_14default_configENS1_27scan_by_key_config_selectorIllEEZZNS1_16scan_by_key_implILNS1_25lookback_scan_determinismE0ELb0ES3_N6thrust23THRUST_200600_302600_NS16reverse_iteratorIPKlEESD_NSA_IPlEElN6hipcub16HIPCUB_304000_NS3MaxENSH_8EqualityElEE10hipError_tPvRmT2_T3_T4_T5_mT6_T7_P12ihipStream_tbENKUlT_T0_E_clISt17integral_constantIbLb1EESZ_IbLb0EEEEDaSV_SW_EUlSV_E_NS1_11comp_targetILNS1_3genE3ELNS1_11target_archE908ELNS1_3gpuE7ELNS1_3repE0EEENS1_30default_config_static_selectorELNS0_4arch9wavefront6targetE1EEEvT1_
		.amdhsa_group_segment_fixed_size 0
		.amdhsa_private_segment_fixed_size 0
		.amdhsa_kernarg_size 136
		.amdhsa_user_sgpr_count 2
		.amdhsa_user_sgpr_dispatch_ptr 0
		.amdhsa_user_sgpr_queue_ptr 0
		.amdhsa_user_sgpr_kernarg_segment_ptr 1
		.amdhsa_user_sgpr_dispatch_id 0
		.amdhsa_user_sgpr_kernarg_preload_length 0
		.amdhsa_user_sgpr_kernarg_preload_offset 0
		.amdhsa_user_sgpr_private_segment_size 0
		.amdhsa_uses_dynamic_stack 0
		.amdhsa_enable_private_segment 0
		.amdhsa_system_sgpr_workgroup_id_x 1
		.amdhsa_system_sgpr_workgroup_id_y 0
		.amdhsa_system_sgpr_workgroup_id_z 0
		.amdhsa_system_sgpr_workgroup_info 0
		.amdhsa_system_vgpr_workitem_id 0
		.amdhsa_next_free_vgpr 1
		.amdhsa_next_free_sgpr 0
		.amdhsa_accum_offset 4
		.amdhsa_reserve_vcc 0
		.amdhsa_float_round_mode_32 0
		.amdhsa_float_round_mode_16_64 0
		.amdhsa_float_denorm_mode_32 3
		.amdhsa_float_denorm_mode_16_64 3
		.amdhsa_dx10_clamp 1
		.amdhsa_ieee_mode 1
		.amdhsa_fp16_overflow 0
		.amdhsa_tg_split 0
		.amdhsa_exception_fp_ieee_invalid_op 0
		.amdhsa_exception_fp_denorm_src 0
		.amdhsa_exception_fp_ieee_div_zero 0
		.amdhsa_exception_fp_ieee_overflow 0
		.amdhsa_exception_fp_ieee_underflow 0
		.amdhsa_exception_fp_ieee_inexact 0
		.amdhsa_exception_int_div_zero 0
	.end_amdhsa_kernel
	.section	.text._ZN7rocprim17ROCPRIM_400000_NS6detail17trampoline_kernelINS0_14default_configENS1_27scan_by_key_config_selectorIllEEZZNS1_16scan_by_key_implILNS1_25lookback_scan_determinismE0ELb0ES3_N6thrust23THRUST_200600_302600_NS16reverse_iteratorIPKlEESD_NSA_IPlEElN6hipcub16HIPCUB_304000_NS3MaxENSH_8EqualityElEE10hipError_tPvRmT2_T3_T4_T5_mT6_T7_P12ihipStream_tbENKUlT_T0_E_clISt17integral_constantIbLb1EESZ_IbLb0EEEEDaSV_SW_EUlSV_E_NS1_11comp_targetILNS1_3genE3ELNS1_11target_archE908ELNS1_3gpuE7ELNS1_3repE0EEENS1_30default_config_static_selectorELNS0_4arch9wavefront6targetE1EEEvT1_,"axG",@progbits,_ZN7rocprim17ROCPRIM_400000_NS6detail17trampoline_kernelINS0_14default_configENS1_27scan_by_key_config_selectorIllEEZZNS1_16scan_by_key_implILNS1_25lookback_scan_determinismE0ELb0ES3_N6thrust23THRUST_200600_302600_NS16reverse_iteratorIPKlEESD_NSA_IPlEElN6hipcub16HIPCUB_304000_NS3MaxENSH_8EqualityElEE10hipError_tPvRmT2_T3_T4_T5_mT6_T7_P12ihipStream_tbENKUlT_T0_E_clISt17integral_constantIbLb1EESZ_IbLb0EEEEDaSV_SW_EUlSV_E_NS1_11comp_targetILNS1_3genE3ELNS1_11target_archE908ELNS1_3gpuE7ELNS1_3repE0EEENS1_30default_config_static_selectorELNS0_4arch9wavefront6targetE1EEEvT1_,comdat
.Lfunc_end161:
	.size	_ZN7rocprim17ROCPRIM_400000_NS6detail17trampoline_kernelINS0_14default_configENS1_27scan_by_key_config_selectorIllEEZZNS1_16scan_by_key_implILNS1_25lookback_scan_determinismE0ELb0ES3_N6thrust23THRUST_200600_302600_NS16reverse_iteratorIPKlEESD_NSA_IPlEElN6hipcub16HIPCUB_304000_NS3MaxENSH_8EqualityElEE10hipError_tPvRmT2_T3_T4_T5_mT6_T7_P12ihipStream_tbENKUlT_T0_E_clISt17integral_constantIbLb1EESZ_IbLb0EEEEDaSV_SW_EUlSV_E_NS1_11comp_targetILNS1_3genE3ELNS1_11target_archE908ELNS1_3gpuE7ELNS1_3repE0EEENS1_30default_config_static_selectorELNS0_4arch9wavefront6targetE1EEEvT1_, .Lfunc_end161-_ZN7rocprim17ROCPRIM_400000_NS6detail17trampoline_kernelINS0_14default_configENS1_27scan_by_key_config_selectorIllEEZZNS1_16scan_by_key_implILNS1_25lookback_scan_determinismE0ELb0ES3_N6thrust23THRUST_200600_302600_NS16reverse_iteratorIPKlEESD_NSA_IPlEElN6hipcub16HIPCUB_304000_NS3MaxENSH_8EqualityElEE10hipError_tPvRmT2_T3_T4_T5_mT6_T7_P12ihipStream_tbENKUlT_T0_E_clISt17integral_constantIbLb1EESZ_IbLb0EEEEDaSV_SW_EUlSV_E_NS1_11comp_targetILNS1_3genE3ELNS1_11target_archE908ELNS1_3gpuE7ELNS1_3repE0EEENS1_30default_config_static_selectorELNS0_4arch9wavefront6targetE1EEEvT1_
                                        ; -- End function
	.set _ZN7rocprim17ROCPRIM_400000_NS6detail17trampoline_kernelINS0_14default_configENS1_27scan_by_key_config_selectorIllEEZZNS1_16scan_by_key_implILNS1_25lookback_scan_determinismE0ELb0ES3_N6thrust23THRUST_200600_302600_NS16reverse_iteratorIPKlEESD_NSA_IPlEElN6hipcub16HIPCUB_304000_NS3MaxENSH_8EqualityElEE10hipError_tPvRmT2_T3_T4_T5_mT6_T7_P12ihipStream_tbENKUlT_T0_E_clISt17integral_constantIbLb1EESZ_IbLb0EEEEDaSV_SW_EUlSV_E_NS1_11comp_targetILNS1_3genE3ELNS1_11target_archE908ELNS1_3gpuE7ELNS1_3repE0EEENS1_30default_config_static_selectorELNS0_4arch9wavefront6targetE1EEEvT1_.num_vgpr, 0
	.set _ZN7rocprim17ROCPRIM_400000_NS6detail17trampoline_kernelINS0_14default_configENS1_27scan_by_key_config_selectorIllEEZZNS1_16scan_by_key_implILNS1_25lookback_scan_determinismE0ELb0ES3_N6thrust23THRUST_200600_302600_NS16reverse_iteratorIPKlEESD_NSA_IPlEElN6hipcub16HIPCUB_304000_NS3MaxENSH_8EqualityElEE10hipError_tPvRmT2_T3_T4_T5_mT6_T7_P12ihipStream_tbENKUlT_T0_E_clISt17integral_constantIbLb1EESZ_IbLb0EEEEDaSV_SW_EUlSV_E_NS1_11comp_targetILNS1_3genE3ELNS1_11target_archE908ELNS1_3gpuE7ELNS1_3repE0EEENS1_30default_config_static_selectorELNS0_4arch9wavefront6targetE1EEEvT1_.num_agpr, 0
	.set _ZN7rocprim17ROCPRIM_400000_NS6detail17trampoline_kernelINS0_14default_configENS1_27scan_by_key_config_selectorIllEEZZNS1_16scan_by_key_implILNS1_25lookback_scan_determinismE0ELb0ES3_N6thrust23THRUST_200600_302600_NS16reverse_iteratorIPKlEESD_NSA_IPlEElN6hipcub16HIPCUB_304000_NS3MaxENSH_8EqualityElEE10hipError_tPvRmT2_T3_T4_T5_mT6_T7_P12ihipStream_tbENKUlT_T0_E_clISt17integral_constantIbLb1EESZ_IbLb0EEEEDaSV_SW_EUlSV_E_NS1_11comp_targetILNS1_3genE3ELNS1_11target_archE908ELNS1_3gpuE7ELNS1_3repE0EEENS1_30default_config_static_selectorELNS0_4arch9wavefront6targetE1EEEvT1_.numbered_sgpr, 0
	.set _ZN7rocprim17ROCPRIM_400000_NS6detail17trampoline_kernelINS0_14default_configENS1_27scan_by_key_config_selectorIllEEZZNS1_16scan_by_key_implILNS1_25lookback_scan_determinismE0ELb0ES3_N6thrust23THRUST_200600_302600_NS16reverse_iteratorIPKlEESD_NSA_IPlEElN6hipcub16HIPCUB_304000_NS3MaxENSH_8EqualityElEE10hipError_tPvRmT2_T3_T4_T5_mT6_T7_P12ihipStream_tbENKUlT_T0_E_clISt17integral_constantIbLb1EESZ_IbLb0EEEEDaSV_SW_EUlSV_E_NS1_11comp_targetILNS1_3genE3ELNS1_11target_archE908ELNS1_3gpuE7ELNS1_3repE0EEENS1_30default_config_static_selectorELNS0_4arch9wavefront6targetE1EEEvT1_.num_named_barrier, 0
	.set _ZN7rocprim17ROCPRIM_400000_NS6detail17trampoline_kernelINS0_14default_configENS1_27scan_by_key_config_selectorIllEEZZNS1_16scan_by_key_implILNS1_25lookback_scan_determinismE0ELb0ES3_N6thrust23THRUST_200600_302600_NS16reverse_iteratorIPKlEESD_NSA_IPlEElN6hipcub16HIPCUB_304000_NS3MaxENSH_8EqualityElEE10hipError_tPvRmT2_T3_T4_T5_mT6_T7_P12ihipStream_tbENKUlT_T0_E_clISt17integral_constantIbLb1EESZ_IbLb0EEEEDaSV_SW_EUlSV_E_NS1_11comp_targetILNS1_3genE3ELNS1_11target_archE908ELNS1_3gpuE7ELNS1_3repE0EEENS1_30default_config_static_selectorELNS0_4arch9wavefront6targetE1EEEvT1_.private_seg_size, 0
	.set _ZN7rocprim17ROCPRIM_400000_NS6detail17trampoline_kernelINS0_14default_configENS1_27scan_by_key_config_selectorIllEEZZNS1_16scan_by_key_implILNS1_25lookback_scan_determinismE0ELb0ES3_N6thrust23THRUST_200600_302600_NS16reverse_iteratorIPKlEESD_NSA_IPlEElN6hipcub16HIPCUB_304000_NS3MaxENSH_8EqualityElEE10hipError_tPvRmT2_T3_T4_T5_mT6_T7_P12ihipStream_tbENKUlT_T0_E_clISt17integral_constantIbLb1EESZ_IbLb0EEEEDaSV_SW_EUlSV_E_NS1_11comp_targetILNS1_3genE3ELNS1_11target_archE908ELNS1_3gpuE7ELNS1_3repE0EEENS1_30default_config_static_selectorELNS0_4arch9wavefront6targetE1EEEvT1_.uses_vcc, 0
	.set _ZN7rocprim17ROCPRIM_400000_NS6detail17trampoline_kernelINS0_14default_configENS1_27scan_by_key_config_selectorIllEEZZNS1_16scan_by_key_implILNS1_25lookback_scan_determinismE0ELb0ES3_N6thrust23THRUST_200600_302600_NS16reverse_iteratorIPKlEESD_NSA_IPlEElN6hipcub16HIPCUB_304000_NS3MaxENSH_8EqualityElEE10hipError_tPvRmT2_T3_T4_T5_mT6_T7_P12ihipStream_tbENKUlT_T0_E_clISt17integral_constantIbLb1EESZ_IbLb0EEEEDaSV_SW_EUlSV_E_NS1_11comp_targetILNS1_3genE3ELNS1_11target_archE908ELNS1_3gpuE7ELNS1_3repE0EEENS1_30default_config_static_selectorELNS0_4arch9wavefront6targetE1EEEvT1_.uses_flat_scratch, 0
	.set _ZN7rocprim17ROCPRIM_400000_NS6detail17trampoline_kernelINS0_14default_configENS1_27scan_by_key_config_selectorIllEEZZNS1_16scan_by_key_implILNS1_25lookback_scan_determinismE0ELb0ES3_N6thrust23THRUST_200600_302600_NS16reverse_iteratorIPKlEESD_NSA_IPlEElN6hipcub16HIPCUB_304000_NS3MaxENSH_8EqualityElEE10hipError_tPvRmT2_T3_T4_T5_mT6_T7_P12ihipStream_tbENKUlT_T0_E_clISt17integral_constantIbLb1EESZ_IbLb0EEEEDaSV_SW_EUlSV_E_NS1_11comp_targetILNS1_3genE3ELNS1_11target_archE908ELNS1_3gpuE7ELNS1_3repE0EEENS1_30default_config_static_selectorELNS0_4arch9wavefront6targetE1EEEvT1_.has_dyn_sized_stack, 0
	.set _ZN7rocprim17ROCPRIM_400000_NS6detail17trampoline_kernelINS0_14default_configENS1_27scan_by_key_config_selectorIllEEZZNS1_16scan_by_key_implILNS1_25lookback_scan_determinismE0ELb0ES3_N6thrust23THRUST_200600_302600_NS16reverse_iteratorIPKlEESD_NSA_IPlEElN6hipcub16HIPCUB_304000_NS3MaxENSH_8EqualityElEE10hipError_tPvRmT2_T3_T4_T5_mT6_T7_P12ihipStream_tbENKUlT_T0_E_clISt17integral_constantIbLb1EESZ_IbLb0EEEEDaSV_SW_EUlSV_E_NS1_11comp_targetILNS1_3genE3ELNS1_11target_archE908ELNS1_3gpuE7ELNS1_3repE0EEENS1_30default_config_static_selectorELNS0_4arch9wavefront6targetE1EEEvT1_.has_recursion, 0
	.set _ZN7rocprim17ROCPRIM_400000_NS6detail17trampoline_kernelINS0_14default_configENS1_27scan_by_key_config_selectorIllEEZZNS1_16scan_by_key_implILNS1_25lookback_scan_determinismE0ELb0ES3_N6thrust23THRUST_200600_302600_NS16reverse_iteratorIPKlEESD_NSA_IPlEElN6hipcub16HIPCUB_304000_NS3MaxENSH_8EqualityElEE10hipError_tPvRmT2_T3_T4_T5_mT6_T7_P12ihipStream_tbENKUlT_T0_E_clISt17integral_constantIbLb1EESZ_IbLb0EEEEDaSV_SW_EUlSV_E_NS1_11comp_targetILNS1_3genE3ELNS1_11target_archE908ELNS1_3gpuE7ELNS1_3repE0EEENS1_30default_config_static_selectorELNS0_4arch9wavefront6targetE1EEEvT1_.has_indirect_call, 0
	.section	.AMDGPU.csdata,"",@progbits
; Kernel info:
; codeLenInByte = 0
; TotalNumSgprs: 6
; NumVgprs: 0
; NumAgprs: 0
; TotalNumVgprs: 0
; ScratchSize: 0
; MemoryBound: 0
; FloatMode: 240
; IeeeMode: 1
; LDSByteSize: 0 bytes/workgroup (compile time only)
; SGPRBlocks: 0
; VGPRBlocks: 0
; NumSGPRsForWavesPerEU: 6
; NumVGPRsForWavesPerEU: 1
; AccumOffset: 4
; Occupancy: 8
; WaveLimiterHint : 0
; COMPUTE_PGM_RSRC2:SCRATCH_EN: 0
; COMPUTE_PGM_RSRC2:USER_SGPR: 2
; COMPUTE_PGM_RSRC2:TRAP_HANDLER: 0
; COMPUTE_PGM_RSRC2:TGID_X_EN: 1
; COMPUTE_PGM_RSRC2:TGID_Y_EN: 0
; COMPUTE_PGM_RSRC2:TGID_Z_EN: 0
; COMPUTE_PGM_RSRC2:TIDIG_COMP_CNT: 0
; COMPUTE_PGM_RSRC3_GFX90A:ACCUM_OFFSET: 0
; COMPUTE_PGM_RSRC3_GFX90A:TG_SPLIT: 0
	.section	.text._ZN7rocprim17ROCPRIM_400000_NS6detail17trampoline_kernelINS0_14default_configENS1_27scan_by_key_config_selectorIllEEZZNS1_16scan_by_key_implILNS1_25lookback_scan_determinismE0ELb0ES3_N6thrust23THRUST_200600_302600_NS16reverse_iteratorIPKlEESD_NSA_IPlEElN6hipcub16HIPCUB_304000_NS3MaxENSH_8EqualityElEE10hipError_tPvRmT2_T3_T4_T5_mT6_T7_P12ihipStream_tbENKUlT_T0_E_clISt17integral_constantIbLb1EESZ_IbLb0EEEEDaSV_SW_EUlSV_E_NS1_11comp_targetILNS1_3genE2ELNS1_11target_archE906ELNS1_3gpuE6ELNS1_3repE0EEENS1_30default_config_static_selectorELNS0_4arch9wavefront6targetE1EEEvT1_,"axG",@progbits,_ZN7rocprim17ROCPRIM_400000_NS6detail17trampoline_kernelINS0_14default_configENS1_27scan_by_key_config_selectorIllEEZZNS1_16scan_by_key_implILNS1_25lookback_scan_determinismE0ELb0ES3_N6thrust23THRUST_200600_302600_NS16reverse_iteratorIPKlEESD_NSA_IPlEElN6hipcub16HIPCUB_304000_NS3MaxENSH_8EqualityElEE10hipError_tPvRmT2_T3_T4_T5_mT6_T7_P12ihipStream_tbENKUlT_T0_E_clISt17integral_constantIbLb1EESZ_IbLb0EEEEDaSV_SW_EUlSV_E_NS1_11comp_targetILNS1_3genE2ELNS1_11target_archE906ELNS1_3gpuE6ELNS1_3repE0EEENS1_30default_config_static_selectorELNS0_4arch9wavefront6targetE1EEEvT1_,comdat
	.protected	_ZN7rocprim17ROCPRIM_400000_NS6detail17trampoline_kernelINS0_14default_configENS1_27scan_by_key_config_selectorIllEEZZNS1_16scan_by_key_implILNS1_25lookback_scan_determinismE0ELb0ES3_N6thrust23THRUST_200600_302600_NS16reverse_iteratorIPKlEESD_NSA_IPlEElN6hipcub16HIPCUB_304000_NS3MaxENSH_8EqualityElEE10hipError_tPvRmT2_T3_T4_T5_mT6_T7_P12ihipStream_tbENKUlT_T0_E_clISt17integral_constantIbLb1EESZ_IbLb0EEEEDaSV_SW_EUlSV_E_NS1_11comp_targetILNS1_3genE2ELNS1_11target_archE906ELNS1_3gpuE6ELNS1_3repE0EEENS1_30default_config_static_selectorELNS0_4arch9wavefront6targetE1EEEvT1_ ; -- Begin function _ZN7rocprim17ROCPRIM_400000_NS6detail17trampoline_kernelINS0_14default_configENS1_27scan_by_key_config_selectorIllEEZZNS1_16scan_by_key_implILNS1_25lookback_scan_determinismE0ELb0ES3_N6thrust23THRUST_200600_302600_NS16reverse_iteratorIPKlEESD_NSA_IPlEElN6hipcub16HIPCUB_304000_NS3MaxENSH_8EqualityElEE10hipError_tPvRmT2_T3_T4_T5_mT6_T7_P12ihipStream_tbENKUlT_T0_E_clISt17integral_constantIbLb1EESZ_IbLb0EEEEDaSV_SW_EUlSV_E_NS1_11comp_targetILNS1_3genE2ELNS1_11target_archE906ELNS1_3gpuE6ELNS1_3repE0EEENS1_30default_config_static_selectorELNS0_4arch9wavefront6targetE1EEEvT1_
	.globl	_ZN7rocprim17ROCPRIM_400000_NS6detail17trampoline_kernelINS0_14default_configENS1_27scan_by_key_config_selectorIllEEZZNS1_16scan_by_key_implILNS1_25lookback_scan_determinismE0ELb0ES3_N6thrust23THRUST_200600_302600_NS16reverse_iteratorIPKlEESD_NSA_IPlEElN6hipcub16HIPCUB_304000_NS3MaxENSH_8EqualityElEE10hipError_tPvRmT2_T3_T4_T5_mT6_T7_P12ihipStream_tbENKUlT_T0_E_clISt17integral_constantIbLb1EESZ_IbLb0EEEEDaSV_SW_EUlSV_E_NS1_11comp_targetILNS1_3genE2ELNS1_11target_archE906ELNS1_3gpuE6ELNS1_3repE0EEENS1_30default_config_static_selectorELNS0_4arch9wavefront6targetE1EEEvT1_
	.p2align	8
	.type	_ZN7rocprim17ROCPRIM_400000_NS6detail17trampoline_kernelINS0_14default_configENS1_27scan_by_key_config_selectorIllEEZZNS1_16scan_by_key_implILNS1_25lookback_scan_determinismE0ELb0ES3_N6thrust23THRUST_200600_302600_NS16reverse_iteratorIPKlEESD_NSA_IPlEElN6hipcub16HIPCUB_304000_NS3MaxENSH_8EqualityElEE10hipError_tPvRmT2_T3_T4_T5_mT6_T7_P12ihipStream_tbENKUlT_T0_E_clISt17integral_constantIbLb1EESZ_IbLb0EEEEDaSV_SW_EUlSV_E_NS1_11comp_targetILNS1_3genE2ELNS1_11target_archE906ELNS1_3gpuE6ELNS1_3repE0EEENS1_30default_config_static_selectorELNS0_4arch9wavefront6targetE1EEEvT1_,@function
_ZN7rocprim17ROCPRIM_400000_NS6detail17trampoline_kernelINS0_14default_configENS1_27scan_by_key_config_selectorIllEEZZNS1_16scan_by_key_implILNS1_25lookback_scan_determinismE0ELb0ES3_N6thrust23THRUST_200600_302600_NS16reverse_iteratorIPKlEESD_NSA_IPlEElN6hipcub16HIPCUB_304000_NS3MaxENSH_8EqualityElEE10hipError_tPvRmT2_T3_T4_T5_mT6_T7_P12ihipStream_tbENKUlT_T0_E_clISt17integral_constantIbLb1EESZ_IbLb0EEEEDaSV_SW_EUlSV_E_NS1_11comp_targetILNS1_3genE2ELNS1_11target_archE906ELNS1_3gpuE6ELNS1_3repE0EEENS1_30default_config_static_selectorELNS0_4arch9wavefront6targetE1EEEvT1_: ; @_ZN7rocprim17ROCPRIM_400000_NS6detail17trampoline_kernelINS0_14default_configENS1_27scan_by_key_config_selectorIllEEZZNS1_16scan_by_key_implILNS1_25lookback_scan_determinismE0ELb0ES3_N6thrust23THRUST_200600_302600_NS16reverse_iteratorIPKlEESD_NSA_IPlEElN6hipcub16HIPCUB_304000_NS3MaxENSH_8EqualityElEE10hipError_tPvRmT2_T3_T4_T5_mT6_T7_P12ihipStream_tbENKUlT_T0_E_clISt17integral_constantIbLb1EESZ_IbLb0EEEEDaSV_SW_EUlSV_E_NS1_11comp_targetILNS1_3genE2ELNS1_11target_archE906ELNS1_3gpuE6ELNS1_3repE0EEENS1_30default_config_static_selectorELNS0_4arch9wavefront6targetE1EEEvT1_
; %bb.0:
	.section	.rodata,"a",@progbits
	.p2align	6, 0x0
	.amdhsa_kernel _ZN7rocprim17ROCPRIM_400000_NS6detail17trampoline_kernelINS0_14default_configENS1_27scan_by_key_config_selectorIllEEZZNS1_16scan_by_key_implILNS1_25lookback_scan_determinismE0ELb0ES3_N6thrust23THRUST_200600_302600_NS16reverse_iteratorIPKlEESD_NSA_IPlEElN6hipcub16HIPCUB_304000_NS3MaxENSH_8EqualityElEE10hipError_tPvRmT2_T3_T4_T5_mT6_T7_P12ihipStream_tbENKUlT_T0_E_clISt17integral_constantIbLb1EESZ_IbLb0EEEEDaSV_SW_EUlSV_E_NS1_11comp_targetILNS1_3genE2ELNS1_11target_archE906ELNS1_3gpuE6ELNS1_3repE0EEENS1_30default_config_static_selectorELNS0_4arch9wavefront6targetE1EEEvT1_
		.amdhsa_group_segment_fixed_size 0
		.amdhsa_private_segment_fixed_size 0
		.amdhsa_kernarg_size 136
		.amdhsa_user_sgpr_count 2
		.amdhsa_user_sgpr_dispatch_ptr 0
		.amdhsa_user_sgpr_queue_ptr 0
		.amdhsa_user_sgpr_kernarg_segment_ptr 1
		.amdhsa_user_sgpr_dispatch_id 0
		.amdhsa_user_sgpr_kernarg_preload_length 0
		.amdhsa_user_sgpr_kernarg_preload_offset 0
		.amdhsa_user_sgpr_private_segment_size 0
		.amdhsa_uses_dynamic_stack 0
		.amdhsa_enable_private_segment 0
		.amdhsa_system_sgpr_workgroup_id_x 1
		.amdhsa_system_sgpr_workgroup_id_y 0
		.amdhsa_system_sgpr_workgroup_id_z 0
		.amdhsa_system_sgpr_workgroup_info 0
		.amdhsa_system_vgpr_workitem_id 0
		.amdhsa_next_free_vgpr 1
		.amdhsa_next_free_sgpr 0
		.amdhsa_accum_offset 4
		.amdhsa_reserve_vcc 0
		.amdhsa_float_round_mode_32 0
		.amdhsa_float_round_mode_16_64 0
		.amdhsa_float_denorm_mode_32 3
		.amdhsa_float_denorm_mode_16_64 3
		.amdhsa_dx10_clamp 1
		.amdhsa_ieee_mode 1
		.amdhsa_fp16_overflow 0
		.amdhsa_tg_split 0
		.amdhsa_exception_fp_ieee_invalid_op 0
		.amdhsa_exception_fp_denorm_src 0
		.amdhsa_exception_fp_ieee_div_zero 0
		.amdhsa_exception_fp_ieee_overflow 0
		.amdhsa_exception_fp_ieee_underflow 0
		.amdhsa_exception_fp_ieee_inexact 0
		.amdhsa_exception_int_div_zero 0
	.end_amdhsa_kernel
	.section	.text._ZN7rocprim17ROCPRIM_400000_NS6detail17trampoline_kernelINS0_14default_configENS1_27scan_by_key_config_selectorIllEEZZNS1_16scan_by_key_implILNS1_25lookback_scan_determinismE0ELb0ES3_N6thrust23THRUST_200600_302600_NS16reverse_iteratorIPKlEESD_NSA_IPlEElN6hipcub16HIPCUB_304000_NS3MaxENSH_8EqualityElEE10hipError_tPvRmT2_T3_T4_T5_mT6_T7_P12ihipStream_tbENKUlT_T0_E_clISt17integral_constantIbLb1EESZ_IbLb0EEEEDaSV_SW_EUlSV_E_NS1_11comp_targetILNS1_3genE2ELNS1_11target_archE906ELNS1_3gpuE6ELNS1_3repE0EEENS1_30default_config_static_selectorELNS0_4arch9wavefront6targetE1EEEvT1_,"axG",@progbits,_ZN7rocprim17ROCPRIM_400000_NS6detail17trampoline_kernelINS0_14default_configENS1_27scan_by_key_config_selectorIllEEZZNS1_16scan_by_key_implILNS1_25lookback_scan_determinismE0ELb0ES3_N6thrust23THRUST_200600_302600_NS16reverse_iteratorIPKlEESD_NSA_IPlEElN6hipcub16HIPCUB_304000_NS3MaxENSH_8EqualityElEE10hipError_tPvRmT2_T3_T4_T5_mT6_T7_P12ihipStream_tbENKUlT_T0_E_clISt17integral_constantIbLb1EESZ_IbLb0EEEEDaSV_SW_EUlSV_E_NS1_11comp_targetILNS1_3genE2ELNS1_11target_archE906ELNS1_3gpuE6ELNS1_3repE0EEENS1_30default_config_static_selectorELNS0_4arch9wavefront6targetE1EEEvT1_,comdat
.Lfunc_end162:
	.size	_ZN7rocprim17ROCPRIM_400000_NS6detail17trampoline_kernelINS0_14default_configENS1_27scan_by_key_config_selectorIllEEZZNS1_16scan_by_key_implILNS1_25lookback_scan_determinismE0ELb0ES3_N6thrust23THRUST_200600_302600_NS16reverse_iteratorIPKlEESD_NSA_IPlEElN6hipcub16HIPCUB_304000_NS3MaxENSH_8EqualityElEE10hipError_tPvRmT2_T3_T4_T5_mT6_T7_P12ihipStream_tbENKUlT_T0_E_clISt17integral_constantIbLb1EESZ_IbLb0EEEEDaSV_SW_EUlSV_E_NS1_11comp_targetILNS1_3genE2ELNS1_11target_archE906ELNS1_3gpuE6ELNS1_3repE0EEENS1_30default_config_static_selectorELNS0_4arch9wavefront6targetE1EEEvT1_, .Lfunc_end162-_ZN7rocprim17ROCPRIM_400000_NS6detail17trampoline_kernelINS0_14default_configENS1_27scan_by_key_config_selectorIllEEZZNS1_16scan_by_key_implILNS1_25lookback_scan_determinismE0ELb0ES3_N6thrust23THRUST_200600_302600_NS16reverse_iteratorIPKlEESD_NSA_IPlEElN6hipcub16HIPCUB_304000_NS3MaxENSH_8EqualityElEE10hipError_tPvRmT2_T3_T4_T5_mT6_T7_P12ihipStream_tbENKUlT_T0_E_clISt17integral_constantIbLb1EESZ_IbLb0EEEEDaSV_SW_EUlSV_E_NS1_11comp_targetILNS1_3genE2ELNS1_11target_archE906ELNS1_3gpuE6ELNS1_3repE0EEENS1_30default_config_static_selectorELNS0_4arch9wavefront6targetE1EEEvT1_
                                        ; -- End function
	.set _ZN7rocprim17ROCPRIM_400000_NS6detail17trampoline_kernelINS0_14default_configENS1_27scan_by_key_config_selectorIllEEZZNS1_16scan_by_key_implILNS1_25lookback_scan_determinismE0ELb0ES3_N6thrust23THRUST_200600_302600_NS16reverse_iteratorIPKlEESD_NSA_IPlEElN6hipcub16HIPCUB_304000_NS3MaxENSH_8EqualityElEE10hipError_tPvRmT2_T3_T4_T5_mT6_T7_P12ihipStream_tbENKUlT_T0_E_clISt17integral_constantIbLb1EESZ_IbLb0EEEEDaSV_SW_EUlSV_E_NS1_11comp_targetILNS1_3genE2ELNS1_11target_archE906ELNS1_3gpuE6ELNS1_3repE0EEENS1_30default_config_static_selectorELNS0_4arch9wavefront6targetE1EEEvT1_.num_vgpr, 0
	.set _ZN7rocprim17ROCPRIM_400000_NS6detail17trampoline_kernelINS0_14default_configENS1_27scan_by_key_config_selectorIllEEZZNS1_16scan_by_key_implILNS1_25lookback_scan_determinismE0ELb0ES3_N6thrust23THRUST_200600_302600_NS16reverse_iteratorIPKlEESD_NSA_IPlEElN6hipcub16HIPCUB_304000_NS3MaxENSH_8EqualityElEE10hipError_tPvRmT2_T3_T4_T5_mT6_T7_P12ihipStream_tbENKUlT_T0_E_clISt17integral_constantIbLb1EESZ_IbLb0EEEEDaSV_SW_EUlSV_E_NS1_11comp_targetILNS1_3genE2ELNS1_11target_archE906ELNS1_3gpuE6ELNS1_3repE0EEENS1_30default_config_static_selectorELNS0_4arch9wavefront6targetE1EEEvT1_.num_agpr, 0
	.set _ZN7rocprim17ROCPRIM_400000_NS6detail17trampoline_kernelINS0_14default_configENS1_27scan_by_key_config_selectorIllEEZZNS1_16scan_by_key_implILNS1_25lookback_scan_determinismE0ELb0ES3_N6thrust23THRUST_200600_302600_NS16reverse_iteratorIPKlEESD_NSA_IPlEElN6hipcub16HIPCUB_304000_NS3MaxENSH_8EqualityElEE10hipError_tPvRmT2_T3_T4_T5_mT6_T7_P12ihipStream_tbENKUlT_T0_E_clISt17integral_constantIbLb1EESZ_IbLb0EEEEDaSV_SW_EUlSV_E_NS1_11comp_targetILNS1_3genE2ELNS1_11target_archE906ELNS1_3gpuE6ELNS1_3repE0EEENS1_30default_config_static_selectorELNS0_4arch9wavefront6targetE1EEEvT1_.numbered_sgpr, 0
	.set _ZN7rocprim17ROCPRIM_400000_NS6detail17trampoline_kernelINS0_14default_configENS1_27scan_by_key_config_selectorIllEEZZNS1_16scan_by_key_implILNS1_25lookback_scan_determinismE0ELb0ES3_N6thrust23THRUST_200600_302600_NS16reverse_iteratorIPKlEESD_NSA_IPlEElN6hipcub16HIPCUB_304000_NS3MaxENSH_8EqualityElEE10hipError_tPvRmT2_T3_T4_T5_mT6_T7_P12ihipStream_tbENKUlT_T0_E_clISt17integral_constantIbLb1EESZ_IbLb0EEEEDaSV_SW_EUlSV_E_NS1_11comp_targetILNS1_3genE2ELNS1_11target_archE906ELNS1_3gpuE6ELNS1_3repE0EEENS1_30default_config_static_selectorELNS0_4arch9wavefront6targetE1EEEvT1_.num_named_barrier, 0
	.set _ZN7rocprim17ROCPRIM_400000_NS6detail17trampoline_kernelINS0_14default_configENS1_27scan_by_key_config_selectorIllEEZZNS1_16scan_by_key_implILNS1_25lookback_scan_determinismE0ELb0ES3_N6thrust23THRUST_200600_302600_NS16reverse_iteratorIPKlEESD_NSA_IPlEElN6hipcub16HIPCUB_304000_NS3MaxENSH_8EqualityElEE10hipError_tPvRmT2_T3_T4_T5_mT6_T7_P12ihipStream_tbENKUlT_T0_E_clISt17integral_constantIbLb1EESZ_IbLb0EEEEDaSV_SW_EUlSV_E_NS1_11comp_targetILNS1_3genE2ELNS1_11target_archE906ELNS1_3gpuE6ELNS1_3repE0EEENS1_30default_config_static_selectorELNS0_4arch9wavefront6targetE1EEEvT1_.private_seg_size, 0
	.set _ZN7rocprim17ROCPRIM_400000_NS6detail17trampoline_kernelINS0_14default_configENS1_27scan_by_key_config_selectorIllEEZZNS1_16scan_by_key_implILNS1_25lookback_scan_determinismE0ELb0ES3_N6thrust23THRUST_200600_302600_NS16reverse_iteratorIPKlEESD_NSA_IPlEElN6hipcub16HIPCUB_304000_NS3MaxENSH_8EqualityElEE10hipError_tPvRmT2_T3_T4_T5_mT6_T7_P12ihipStream_tbENKUlT_T0_E_clISt17integral_constantIbLb1EESZ_IbLb0EEEEDaSV_SW_EUlSV_E_NS1_11comp_targetILNS1_3genE2ELNS1_11target_archE906ELNS1_3gpuE6ELNS1_3repE0EEENS1_30default_config_static_selectorELNS0_4arch9wavefront6targetE1EEEvT1_.uses_vcc, 0
	.set _ZN7rocprim17ROCPRIM_400000_NS6detail17trampoline_kernelINS0_14default_configENS1_27scan_by_key_config_selectorIllEEZZNS1_16scan_by_key_implILNS1_25lookback_scan_determinismE0ELb0ES3_N6thrust23THRUST_200600_302600_NS16reverse_iteratorIPKlEESD_NSA_IPlEElN6hipcub16HIPCUB_304000_NS3MaxENSH_8EqualityElEE10hipError_tPvRmT2_T3_T4_T5_mT6_T7_P12ihipStream_tbENKUlT_T0_E_clISt17integral_constantIbLb1EESZ_IbLb0EEEEDaSV_SW_EUlSV_E_NS1_11comp_targetILNS1_3genE2ELNS1_11target_archE906ELNS1_3gpuE6ELNS1_3repE0EEENS1_30default_config_static_selectorELNS0_4arch9wavefront6targetE1EEEvT1_.uses_flat_scratch, 0
	.set _ZN7rocprim17ROCPRIM_400000_NS6detail17trampoline_kernelINS0_14default_configENS1_27scan_by_key_config_selectorIllEEZZNS1_16scan_by_key_implILNS1_25lookback_scan_determinismE0ELb0ES3_N6thrust23THRUST_200600_302600_NS16reverse_iteratorIPKlEESD_NSA_IPlEElN6hipcub16HIPCUB_304000_NS3MaxENSH_8EqualityElEE10hipError_tPvRmT2_T3_T4_T5_mT6_T7_P12ihipStream_tbENKUlT_T0_E_clISt17integral_constantIbLb1EESZ_IbLb0EEEEDaSV_SW_EUlSV_E_NS1_11comp_targetILNS1_3genE2ELNS1_11target_archE906ELNS1_3gpuE6ELNS1_3repE0EEENS1_30default_config_static_selectorELNS0_4arch9wavefront6targetE1EEEvT1_.has_dyn_sized_stack, 0
	.set _ZN7rocprim17ROCPRIM_400000_NS6detail17trampoline_kernelINS0_14default_configENS1_27scan_by_key_config_selectorIllEEZZNS1_16scan_by_key_implILNS1_25lookback_scan_determinismE0ELb0ES3_N6thrust23THRUST_200600_302600_NS16reverse_iteratorIPKlEESD_NSA_IPlEElN6hipcub16HIPCUB_304000_NS3MaxENSH_8EqualityElEE10hipError_tPvRmT2_T3_T4_T5_mT6_T7_P12ihipStream_tbENKUlT_T0_E_clISt17integral_constantIbLb1EESZ_IbLb0EEEEDaSV_SW_EUlSV_E_NS1_11comp_targetILNS1_3genE2ELNS1_11target_archE906ELNS1_3gpuE6ELNS1_3repE0EEENS1_30default_config_static_selectorELNS0_4arch9wavefront6targetE1EEEvT1_.has_recursion, 0
	.set _ZN7rocprim17ROCPRIM_400000_NS6detail17trampoline_kernelINS0_14default_configENS1_27scan_by_key_config_selectorIllEEZZNS1_16scan_by_key_implILNS1_25lookback_scan_determinismE0ELb0ES3_N6thrust23THRUST_200600_302600_NS16reverse_iteratorIPKlEESD_NSA_IPlEElN6hipcub16HIPCUB_304000_NS3MaxENSH_8EqualityElEE10hipError_tPvRmT2_T3_T4_T5_mT6_T7_P12ihipStream_tbENKUlT_T0_E_clISt17integral_constantIbLb1EESZ_IbLb0EEEEDaSV_SW_EUlSV_E_NS1_11comp_targetILNS1_3genE2ELNS1_11target_archE906ELNS1_3gpuE6ELNS1_3repE0EEENS1_30default_config_static_selectorELNS0_4arch9wavefront6targetE1EEEvT1_.has_indirect_call, 0
	.section	.AMDGPU.csdata,"",@progbits
; Kernel info:
; codeLenInByte = 0
; TotalNumSgprs: 6
; NumVgprs: 0
; NumAgprs: 0
; TotalNumVgprs: 0
; ScratchSize: 0
; MemoryBound: 0
; FloatMode: 240
; IeeeMode: 1
; LDSByteSize: 0 bytes/workgroup (compile time only)
; SGPRBlocks: 0
; VGPRBlocks: 0
; NumSGPRsForWavesPerEU: 6
; NumVGPRsForWavesPerEU: 1
; AccumOffset: 4
; Occupancy: 8
; WaveLimiterHint : 0
; COMPUTE_PGM_RSRC2:SCRATCH_EN: 0
; COMPUTE_PGM_RSRC2:USER_SGPR: 2
; COMPUTE_PGM_RSRC2:TRAP_HANDLER: 0
; COMPUTE_PGM_RSRC2:TGID_X_EN: 1
; COMPUTE_PGM_RSRC2:TGID_Y_EN: 0
; COMPUTE_PGM_RSRC2:TGID_Z_EN: 0
; COMPUTE_PGM_RSRC2:TIDIG_COMP_CNT: 0
; COMPUTE_PGM_RSRC3_GFX90A:ACCUM_OFFSET: 0
; COMPUTE_PGM_RSRC3_GFX90A:TG_SPLIT: 0
	.section	.text._ZN7rocprim17ROCPRIM_400000_NS6detail17trampoline_kernelINS0_14default_configENS1_27scan_by_key_config_selectorIllEEZZNS1_16scan_by_key_implILNS1_25lookback_scan_determinismE0ELb0ES3_N6thrust23THRUST_200600_302600_NS16reverse_iteratorIPKlEESD_NSA_IPlEElN6hipcub16HIPCUB_304000_NS3MaxENSH_8EqualityElEE10hipError_tPvRmT2_T3_T4_T5_mT6_T7_P12ihipStream_tbENKUlT_T0_E_clISt17integral_constantIbLb1EESZ_IbLb0EEEEDaSV_SW_EUlSV_E_NS1_11comp_targetILNS1_3genE10ELNS1_11target_archE1200ELNS1_3gpuE4ELNS1_3repE0EEENS1_30default_config_static_selectorELNS0_4arch9wavefront6targetE1EEEvT1_,"axG",@progbits,_ZN7rocprim17ROCPRIM_400000_NS6detail17trampoline_kernelINS0_14default_configENS1_27scan_by_key_config_selectorIllEEZZNS1_16scan_by_key_implILNS1_25lookback_scan_determinismE0ELb0ES3_N6thrust23THRUST_200600_302600_NS16reverse_iteratorIPKlEESD_NSA_IPlEElN6hipcub16HIPCUB_304000_NS3MaxENSH_8EqualityElEE10hipError_tPvRmT2_T3_T4_T5_mT6_T7_P12ihipStream_tbENKUlT_T0_E_clISt17integral_constantIbLb1EESZ_IbLb0EEEEDaSV_SW_EUlSV_E_NS1_11comp_targetILNS1_3genE10ELNS1_11target_archE1200ELNS1_3gpuE4ELNS1_3repE0EEENS1_30default_config_static_selectorELNS0_4arch9wavefront6targetE1EEEvT1_,comdat
	.protected	_ZN7rocprim17ROCPRIM_400000_NS6detail17trampoline_kernelINS0_14default_configENS1_27scan_by_key_config_selectorIllEEZZNS1_16scan_by_key_implILNS1_25lookback_scan_determinismE0ELb0ES3_N6thrust23THRUST_200600_302600_NS16reverse_iteratorIPKlEESD_NSA_IPlEElN6hipcub16HIPCUB_304000_NS3MaxENSH_8EqualityElEE10hipError_tPvRmT2_T3_T4_T5_mT6_T7_P12ihipStream_tbENKUlT_T0_E_clISt17integral_constantIbLb1EESZ_IbLb0EEEEDaSV_SW_EUlSV_E_NS1_11comp_targetILNS1_3genE10ELNS1_11target_archE1200ELNS1_3gpuE4ELNS1_3repE0EEENS1_30default_config_static_selectorELNS0_4arch9wavefront6targetE1EEEvT1_ ; -- Begin function _ZN7rocprim17ROCPRIM_400000_NS6detail17trampoline_kernelINS0_14default_configENS1_27scan_by_key_config_selectorIllEEZZNS1_16scan_by_key_implILNS1_25lookback_scan_determinismE0ELb0ES3_N6thrust23THRUST_200600_302600_NS16reverse_iteratorIPKlEESD_NSA_IPlEElN6hipcub16HIPCUB_304000_NS3MaxENSH_8EqualityElEE10hipError_tPvRmT2_T3_T4_T5_mT6_T7_P12ihipStream_tbENKUlT_T0_E_clISt17integral_constantIbLb1EESZ_IbLb0EEEEDaSV_SW_EUlSV_E_NS1_11comp_targetILNS1_3genE10ELNS1_11target_archE1200ELNS1_3gpuE4ELNS1_3repE0EEENS1_30default_config_static_selectorELNS0_4arch9wavefront6targetE1EEEvT1_
	.globl	_ZN7rocprim17ROCPRIM_400000_NS6detail17trampoline_kernelINS0_14default_configENS1_27scan_by_key_config_selectorIllEEZZNS1_16scan_by_key_implILNS1_25lookback_scan_determinismE0ELb0ES3_N6thrust23THRUST_200600_302600_NS16reverse_iteratorIPKlEESD_NSA_IPlEElN6hipcub16HIPCUB_304000_NS3MaxENSH_8EqualityElEE10hipError_tPvRmT2_T3_T4_T5_mT6_T7_P12ihipStream_tbENKUlT_T0_E_clISt17integral_constantIbLb1EESZ_IbLb0EEEEDaSV_SW_EUlSV_E_NS1_11comp_targetILNS1_3genE10ELNS1_11target_archE1200ELNS1_3gpuE4ELNS1_3repE0EEENS1_30default_config_static_selectorELNS0_4arch9wavefront6targetE1EEEvT1_
	.p2align	8
	.type	_ZN7rocprim17ROCPRIM_400000_NS6detail17trampoline_kernelINS0_14default_configENS1_27scan_by_key_config_selectorIllEEZZNS1_16scan_by_key_implILNS1_25lookback_scan_determinismE0ELb0ES3_N6thrust23THRUST_200600_302600_NS16reverse_iteratorIPKlEESD_NSA_IPlEElN6hipcub16HIPCUB_304000_NS3MaxENSH_8EqualityElEE10hipError_tPvRmT2_T3_T4_T5_mT6_T7_P12ihipStream_tbENKUlT_T0_E_clISt17integral_constantIbLb1EESZ_IbLb0EEEEDaSV_SW_EUlSV_E_NS1_11comp_targetILNS1_3genE10ELNS1_11target_archE1200ELNS1_3gpuE4ELNS1_3repE0EEENS1_30default_config_static_selectorELNS0_4arch9wavefront6targetE1EEEvT1_,@function
_ZN7rocprim17ROCPRIM_400000_NS6detail17trampoline_kernelINS0_14default_configENS1_27scan_by_key_config_selectorIllEEZZNS1_16scan_by_key_implILNS1_25lookback_scan_determinismE0ELb0ES3_N6thrust23THRUST_200600_302600_NS16reverse_iteratorIPKlEESD_NSA_IPlEElN6hipcub16HIPCUB_304000_NS3MaxENSH_8EqualityElEE10hipError_tPvRmT2_T3_T4_T5_mT6_T7_P12ihipStream_tbENKUlT_T0_E_clISt17integral_constantIbLb1EESZ_IbLb0EEEEDaSV_SW_EUlSV_E_NS1_11comp_targetILNS1_3genE10ELNS1_11target_archE1200ELNS1_3gpuE4ELNS1_3repE0EEENS1_30default_config_static_selectorELNS0_4arch9wavefront6targetE1EEEvT1_: ; @_ZN7rocprim17ROCPRIM_400000_NS6detail17trampoline_kernelINS0_14default_configENS1_27scan_by_key_config_selectorIllEEZZNS1_16scan_by_key_implILNS1_25lookback_scan_determinismE0ELb0ES3_N6thrust23THRUST_200600_302600_NS16reverse_iteratorIPKlEESD_NSA_IPlEElN6hipcub16HIPCUB_304000_NS3MaxENSH_8EqualityElEE10hipError_tPvRmT2_T3_T4_T5_mT6_T7_P12ihipStream_tbENKUlT_T0_E_clISt17integral_constantIbLb1EESZ_IbLb0EEEEDaSV_SW_EUlSV_E_NS1_11comp_targetILNS1_3genE10ELNS1_11target_archE1200ELNS1_3gpuE4ELNS1_3repE0EEENS1_30default_config_static_selectorELNS0_4arch9wavefront6targetE1EEEvT1_
; %bb.0:
	.section	.rodata,"a",@progbits
	.p2align	6, 0x0
	.amdhsa_kernel _ZN7rocprim17ROCPRIM_400000_NS6detail17trampoline_kernelINS0_14default_configENS1_27scan_by_key_config_selectorIllEEZZNS1_16scan_by_key_implILNS1_25lookback_scan_determinismE0ELb0ES3_N6thrust23THRUST_200600_302600_NS16reverse_iteratorIPKlEESD_NSA_IPlEElN6hipcub16HIPCUB_304000_NS3MaxENSH_8EqualityElEE10hipError_tPvRmT2_T3_T4_T5_mT6_T7_P12ihipStream_tbENKUlT_T0_E_clISt17integral_constantIbLb1EESZ_IbLb0EEEEDaSV_SW_EUlSV_E_NS1_11comp_targetILNS1_3genE10ELNS1_11target_archE1200ELNS1_3gpuE4ELNS1_3repE0EEENS1_30default_config_static_selectorELNS0_4arch9wavefront6targetE1EEEvT1_
		.amdhsa_group_segment_fixed_size 0
		.amdhsa_private_segment_fixed_size 0
		.amdhsa_kernarg_size 136
		.amdhsa_user_sgpr_count 2
		.amdhsa_user_sgpr_dispatch_ptr 0
		.amdhsa_user_sgpr_queue_ptr 0
		.amdhsa_user_sgpr_kernarg_segment_ptr 1
		.amdhsa_user_sgpr_dispatch_id 0
		.amdhsa_user_sgpr_kernarg_preload_length 0
		.amdhsa_user_sgpr_kernarg_preload_offset 0
		.amdhsa_user_sgpr_private_segment_size 0
		.amdhsa_uses_dynamic_stack 0
		.amdhsa_enable_private_segment 0
		.amdhsa_system_sgpr_workgroup_id_x 1
		.amdhsa_system_sgpr_workgroup_id_y 0
		.amdhsa_system_sgpr_workgroup_id_z 0
		.amdhsa_system_sgpr_workgroup_info 0
		.amdhsa_system_vgpr_workitem_id 0
		.amdhsa_next_free_vgpr 1
		.amdhsa_next_free_sgpr 0
		.amdhsa_accum_offset 4
		.amdhsa_reserve_vcc 0
		.amdhsa_float_round_mode_32 0
		.amdhsa_float_round_mode_16_64 0
		.amdhsa_float_denorm_mode_32 3
		.amdhsa_float_denorm_mode_16_64 3
		.amdhsa_dx10_clamp 1
		.amdhsa_ieee_mode 1
		.amdhsa_fp16_overflow 0
		.amdhsa_tg_split 0
		.amdhsa_exception_fp_ieee_invalid_op 0
		.amdhsa_exception_fp_denorm_src 0
		.amdhsa_exception_fp_ieee_div_zero 0
		.amdhsa_exception_fp_ieee_overflow 0
		.amdhsa_exception_fp_ieee_underflow 0
		.amdhsa_exception_fp_ieee_inexact 0
		.amdhsa_exception_int_div_zero 0
	.end_amdhsa_kernel
	.section	.text._ZN7rocprim17ROCPRIM_400000_NS6detail17trampoline_kernelINS0_14default_configENS1_27scan_by_key_config_selectorIllEEZZNS1_16scan_by_key_implILNS1_25lookback_scan_determinismE0ELb0ES3_N6thrust23THRUST_200600_302600_NS16reverse_iteratorIPKlEESD_NSA_IPlEElN6hipcub16HIPCUB_304000_NS3MaxENSH_8EqualityElEE10hipError_tPvRmT2_T3_T4_T5_mT6_T7_P12ihipStream_tbENKUlT_T0_E_clISt17integral_constantIbLb1EESZ_IbLb0EEEEDaSV_SW_EUlSV_E_NS1_11comp_targetILNS1_3genE10ELNS1_11target_archE1200ELNS1_3gpuE4ELNS1_3repE0EEENS1_30default_config_static_selectorELNS0_4arch9wavefront6targetE1EEEvT1_,"axG",@progbits,_ZN7rocprim17ROCPRIM_400000_NS6detail17trampoline_kernelINS0_14default_configENS1_27scan_by_key_config_selectorIllEEZZNS1_16scan_by_key_implILNS1_25lookback_scan_determinismE0ELb0ES3_N6thrust23THRUST_200600_302600_NS16reverse_iteratorIPKlEESD_NSA_IPlEElN6hipcub16HIPCUB_304000_NS3MaxENSH_8EqualityElEE10hipError_tPvRmT2_T3_T4_T5_mT6_T7_P12ihipStream_tbENKUlT_T0_E_clISt17integral_constantIbLb1EESZ_IbLb0EEEEDaSV_SW_EUlSV_E_NS1_11comp_targetILNS1_3genE10ELNS1_11target_archE1200ELNS1_3gpuE4ELNS1_3repE0EEENS1_30default_config_static_selectorELNS0_4arch9wavefront6targetE1EEEvT1_,comdat
.Lfunc_end163:
	.size	_ZN7rocprim17ROCPRIM_400000_NS6detail17trampoline_kernelINS0_14default_configENS1_27scan_by_key_config_selectorIllEEZZNS1_16scan_by_key_implILNS1_25lookback_scan_determinismE0ELb0ES3_N6thrust23THRUST_200600_302600_NS16reverse_iteratorIPKlEESD_NSA_IPlEElN6hipcub16HIPCUB_304000_NS3MaxENSH_8EqualityElEE10hipError_tPvRmT2_T3_T4_T5_mT6_T7_P12ihipStream_tbENKUlT_T0_E_clISt17integral_constantIbLb1EESZ_IbLb0EEEEDaSV_SW_EUlSV_E_NS1_11comp_targetILNS1_3genE10ELNS1_11target_archE1200ELNS1_3gpuE4ELNS1_3repE0EEENS1_30default_config_static_selectorELNS0_4arch9wavefront6targetE1EEEvT1_, .Lfunc_end163-_ZN7rocprim17ROCPRIM_400000_NS6detail17trampoline_kernelINS0_14default_configENS1_27scan_by_key_config_selectorIllEEZZNS1_16scan_by_key_implILNS1_25lookback_scan_determinismE0ELb0ES3_N6thrust23THRUST_200600_302600_NS16reverse_iteratorIPKlEESD_NSA_IPlEElN6hipcub16HIPCUB_304000_NS3MaxENSH_8EqualityElEE10hipError_tPvRmT2_T3_T4_T5_mT6_T7_P12ihipStream_tbENKUlT_T0_E_clISt17integral_constantIbLb1EESZ_IbLb0EEEEDaSV_SW_EUlSV_E_NS1_11comp_targetILNS1_3genE10ELNS1_11target_archE1200ELNS1_3gpuE4ELNS1_3repE0EEENS1_30default_config_static_selectorELNS0_4arch9wavefront6targetE1EEEvT1_
                                        ; -- End function
	.set _ZN7rocprim17ROCPRIM_400000_NS6detail17trampoline_kernelINS0_14default_configENS1_27scan_by_key_config_selectorIllEEZZNS1_16scan_by_key_implILNS1_25lookback_scan_determinismE0ELb0ES3_N6thrust23THRUST_200600_302600_NS16reverse_iteratorIPKlEESD_NSA_IPlEElN6hipcub16HIPCUB_304000_NS3MaxENSH_8EqualityElEE10hipError_tPvRmT2_T3_T4_T5_mT6_T7_P12ihipStream_tbENKUlT_T0_E_clISt17integral_constantIbLb1EESZ_IbLb0EEEEDaSV_SW_EUlSV_E_NS1_11comp_targetILNS1_3genE10ELNS1_11target_archE1200ELNS1_3gpuE4ELNS1_3repE0EEENS1_30default_config_static_selectorELNS0_4arch9wavefront6targetE1EEEvT1_.num_vgpr, 0
	.set _ZN7rocprim17ROCPRIM_400000_NS6detail17trampoline_kernelINS0_14default_configENS1_27scan_by_key_config_selectorIllEEZZNS1_16scan_by_key_implILNS1_25lookback_scan_determinismE0ELb0ES3_N6thrust23THRUST_200600_302600_NS16reverse_iteratorIPKlEESD_NSA_IPlEElN6hipcub16HIPCUB_304000_NS3MaxENSH_8EqualityElEE10hipError_tPvRmT2_T3_T4_T5_mT6_T7_P12ihipStream_tbENKUlT_T0_E_clISt17integral_constantIbLb1EESZ_IbLb0EEEEDaSV_SW_EUlSV_E_NS1_11comp_targetILNS1_3genE10ELNS1_11target_archE1200ELNS1_3gpuE4ELNS1_3repE0EEENS1_30default_config_static_selectorELNS0_4arch9wavefront6targetE1EEEvT1_.num_agpr, 0
	.set _ZN7rocprim17ROCPRIM_400000_NS6detail17trampoline_kernelINS0_14default_configENS1_27scan_by_key_config_selectorIllEEZZNS1_16scan_by_key_implILNS1_25lookback_scan_determinismE0ELb0ES3_N6thrust23THRUST_200600_302600_NS16reverse_iteratorIPKlEESD_NSA_IPlEElN6hipcub16HIPCUB_304000_NS3MaxENSH_8EqualityElEE10hipError_tPvRmT2_T3_T4_T5_mT6_T7_P12ihipStream_tbENKUlT_T0_E_clISt17integral_constantIbLb1EESZ_IbLb0EEEEDaSV_SW_EUlSV_E_NS1_11comp_targetILNS1_3genE10ELNS1_11target_archE1200ELNS1_3gpuE4ELNS1_3repE0EEENS1_30default_config_static_selectorELNS0_4arch9wavefront6targetE1EEEvT1_.numbered_sgpr, 0
	.set _ZN7rocprim17ROCPRIM_400000_NS6detail17trampoline_kernelINS0_14default_configENS1_27scan_by_key_config_selectorIllEEZZNS1_16scan_by_key_implILNS1_25lookback_scan_determinismE0ELb0ES3_N6thrust23THRUST_200600_302600_NS16reverse_iteratorIPKlEESD_NSA_IPlEElN6hipcub16HIPCUB_304000_NS3MaxENSH_8EqualityElEE10hipError_tPvRmT2_T3_T4_T5_mT6_T7_P12ihipStream_tbENKUlT_T0_E_clISt17integral_constantIbLb1EESZ_IbLb0EEEEDaSV_SW_EUlSV_E_NS1_11comp_targetILNS1_3genE10ELNS1_11target_archE1200ELNS1_3gpuE4ELNS1_3repE0EEENS1_30default_config_static_selectorELNS0_4arch9wavefront6targetE1EEEvT1_.num_named_barrier, 0
	.set _ZN7rocprim17ROCPRIM_400000_NS6detail17trampoline_kernelINS0_14default_configENS1_27scan_by_key_config_selectorIllEEZZNS1_16scan_by_key_implILNS1_25lookback_scan_determinismE0ELb0ES3_N6thrust23THRUST_200600_302600_NS16reverse_iteratorIPKlEESD_NSA_IPlEElN6hipcub16HIPCUB_304000_NS3MaxENSH_8EqualityElEE10hipError_tPvRmT2_T3_T4_T5_mT6_T7_P12ihipStream_tbENKUlT_T0_E_clISt17integral_constantIbLb1EESZ_IbLb0EEEEDaSV_SW_EUlSV_E_NS1_11comp_targetILNS1_3genE10ELNS1_11target_archE1200ELNS1_3gpuE4ELNS1_3repE0EEENS1_30default_config_static_selectorELNS0_4arch9wavefront6targetE1EEEvT1_.private_seg_size, 0
	.set _ZN7rocprim17ROCPRIM_400000_NS6detail17trampoline_kernelINS0_14default_configENS1_27scan_by_key_config_selectorIllEEZZNS1_16scan_by_key_implILNS1_25lookback_scan_determinismE0ELb0ES3_N6thrust23THRUST_200600_302600_NS16reverse_iteratorIPKlEESD_NSA_IPlEElN6hipcub16HIPCUB_304000_NS3MaxENSH_8EqualityElEE10hipError_tPvRmT2_T3_T4_T5_mT6_T7_P12ihipStream_tbENKUlT_T0_E_clISt17integral_constantIbLb1EESZ_IbLb0EEEEDaSV_SW_EUlSV_E_NS1_11comp_targetILNS1_3genE10ELNS1_11target_archE1200ELNS1_3gpuE4ELNS1_3repE0EEENS1_30default_config_static_selectorELNS0_4arch9wavefront6targetE1EEEvT1_.uses_vcc, 0
	.set _ZN7rocprim17ROCPRIM_400000_NS6detail17trampoline_kernelINS0_14default_configENS1_27scan_by_key_config_selectorIllEEZZNS1_16scan_by_key_implILNS1_25lookback_scan_determinismE0ELb0ES3_N6thrust23THRUST_200600_302600_NS16reverse_iteratorIPKlEESD_NSA_IPlEElN6hipcub16HIPCUB_304000_NS3MaxENSH_8EqualityElEE10hipError_tPvRmT2_T3_T4_T5_mT6_T7_P12ihipStream_tbENKUlT_T0_E_clISt17integral_constantIbLb1EESZ_IbLb0EEEEDaSV_SW_EUlSV_E_NS1_11comp_targetILNS1_3genE10ELNS1_11target_archE1200ELNS1_3gpuE4ELNS1_3repE0EEENS1_30default_config_static_selectorELNS0_4arch9wavefront6targetE1EEEvT1_.uses_flat_scratch, 0
	.set _ZN7rocprim17ROCPRIM_400000_NS6detail17trampoline_kernelINS0_14default_configENS1_27scan_by_key_config_selectorIllEEZZNS1_16scan_by_key_implILNS1_25lookback_scan_determinismE0ELb0ES3_N6thrust23THRUST_200600_302600_NS16reverse_iteratorIPKlEESD_NSA_IPlEElN6hipcub16HIPCUB_304000_NS3MaxENSH_8EqualityElEE10hipError_tPvRmT2_T3_T4_T5_mT6_T7_P12ihipStream_tbENKUlT_T0_E_clISt17integral_constantIbLb1EESZ_IbLb0EEEEDaSV_SW_EUlSV_E_NS1_11comp_targetILNS1_3genE10ELNS1_11target_archE1200ELNS1_3gpuE4ELNS1_3repE0EEENS1_30default_config_static_selectorELNS0_4arch9wavefront6targetE1EEEvT1_.has_dyn_sized_stack, 0
	.set _ZN7rocprim17ROCPRIM_400000_NS6detail17trampoline_kernelINS0_14default_configENS1_27scan_by_key_config_selectorIllEEZZNS1_16scan_by_key_implILNS1_25lookback_scan_determinismE0ELb0ES3_N6thrust23THRUST_200600_302600_NS16reverse_iteratorIPKlEESD_NSA_IPlEElN6hipcub16HIPCUB_304000_NS3MaxENSH_8EqualityElEE10hipError_tPvRmT2_T3_T4_T5_mT6_T7_P12ihipStream_tbENKUlT_T0_E_clISt17integral_constantIbLb1EESZ_IbLb0EEEEDaSV_SW_EUlSV_E_NS1_11comp_targetILNS1_3genE10ELNS1_11target_archE1200ELNS1_3gpuE4ELNS1_3repE0EEENS1_30default_config_static_selectorELNS0_4arch9wavefront6targetE1EEEvT1_.has_recursion, 0
	.set _ZN7rocprim17ROCPRIM_400000_NS6detail17trampoline_kernelINS0_14default_configENS1_27scan_by_key_config_selectorIllEEZZNS1_16scan_by_key_implILNS1_25lookback_scan_determinismE0ELb0ES3_N6thrust23THRUST_200600_302600_NS16reverse_iteratorIPKlEESD_NSA_IPlEElN6hipcub16HIPCUB_304000_NS3MaxENSH_8EqualityElEE10hipError_tPvRmT2_T3_T4_T5_mT6_T7_P12ihipStream_tbENKUlT_T0_E_clISt17integral_constantIbLb1EESZ_IbLb0EEEEDaSV_SW_EUlSV_E_NS1_11comp_targetILNS1_3genE10ELNS1_11target_archE1200ELNS1_3gpuE4ELNS1_3repE0EEENS1_30default_config_static_selectorELNS0_4arch9wavefront6targetE1EEEvT1_.has_indirect_call, 0
	.section	.AMDGPU.csdata,"",@progbits
; Kernel info:
; codeLenInByte = 0
; TotalNumSgprs: 6
; NumVgprs: 0
; NumAgprs: 0
; TotalNumVgprs: 0
; ScratchSize: 0
; MemoryBound: 0
; FloatMode: 240
; IeeeMode: 1
; LDSByteSize: 0 bytes/workgroup (compile time only)
; SGPRBlocks: 0
; VGPRBlocks: 0
; NumSGPRsForWavesPerEU: 6
; NumVGPRsForWavesPerEU: 1
; AccumOffset: 4
; Occupancy: 8
; WaveLimiterHint : 0
; COMPUTE_PGM_RSRC2:SCRATCH_EN: 0
; COMPUTE_PGM_RSRC2:USER_SGPR: 2
; COMPUTE_PGM_RSRC2:TRAP_HANDLER: 0
; COMPUTE_PGM_RSRC2:TGID_X_EN: 1
; COMPUTE_PGM_RSRC2:TGID_Y_EN: 0
; COMPUTE_PGM_RSRC2:TGID_Z_EN: 0
; COMPUTE_PGM_RSRC2:TIDIG_COMP_CNT: 0
; COMPUTE_PGM_RSRC3_GFX90A:ACCUM_OFFSET: 0
; COMPUTE_PGM_RSRC3_GFX90A:TG_SPLIT: 0
	.section	.text._ZN7rocprim17ROCPRIM_400000_NS6detail17trampoline_kernelINS0_14default_configENS1_27scan_by_key_config_selectorIllEEZZNS1_16scan_by_key_implILNS1_25lookback_scan_determinismE0ELb0ES3_N6thrust23THRUST_200600_302600_NS16reverse_iteratorIPKlEESD_NSA_IPlEElN6hipcub16HIPCUB_304000_NS3MaxENSH_8EqualityElEE10hipError_tPvRmT2_T3_T4_T5_mT6_T7_P12ihipStream_tbENKUlT_T0_E_clISt17integral_constantIbLb1EESZ_IbLb0EEEEDaSV_SW_EUlSV_E_NS1_11comp_targetILNS1_3genE9ELNS1_11target_archE1100ELNS1_3gpuE3ELNS1_3repE0EEENS1_30default_config_static_selectorELNS0_4arch9wavefront6targetE1EEEvT1_,"axG",@progbits,_ZN7rocprim17ROCPRIM_400000_NS6detail17trampoline_kernelINS0_14default_configENS1_27scan_by_key_config_selectorIllEEZZNS1_16scan_by_key_implILNS1_25lookback_scan_determinismE0ELb0ES3_N6thrust23THRUST_200600_302600_NS16reverse_iteratorIPKlEESD_NSA_IPlEElN6hipcub16HIPCUB_304000_NS3MaxENSH_8EqualityElEE10hipError_tPvRmT2_T3_T4_T5_mT6_T7_P12ihipStream_tbENKUlT_T0_E_clISt17integral_constantIbLb1EESZ_IbLb0EEEEDaSV_SW_EUlSV_E_NS1_11comp_targetILNS1_3genE9ELNS1_11target_archE1100ELNS1_3gpuE3ELNS1_3repE0EEENS1_30default_config_static_selectorELNS0_4arch9wavefront6targetE1EEEvT1_,comdat
	.protected	_ZN7rocprim17ROCPRIM_400000_NS6detail17trampoline_kernelINS0_14default_configENS1_27scan_by_key_config_selectorIllEEZZNS1_16scan_by_key_implILNS1_25lookback_scan_determinismE0ELb0ES3_N6thrust23THRUST_200600_302600_NS16reverse_iteratorIPKlEESD_NSA_IPlEElN6hipcub16HIPCUB_304000_NS3MaxENSH_8EqualityElEE10hipError_tPvRmT2_T3_T4_T5_mT6_T7_P12ihipStream_tbENKUlT_T0_E_clISt17integral_constantIbLb1EESZ_IbLb0EEEEDaSV_SW_EUlSV_E_NS1_11comp_targetILNS1_3genE9ELNS1_11target_archE1100ELNS1_3gpuE3ELNS1_3repE0EEENS1_30default_config_static_selectorELNS0_4arch9wavefront6targetE1EEEvT1_ ; -- Begin function _ZN7rocprim17ROCPRIM_400000_NS6detail17trampoline_kernelINS0_14default_configENS1_27scan_by_key_config_selectorIllEEZZNS1_16scan_by_key_implILNS1_25lookback_scan_determinismE0ELb0ES3_N6thrust23THRUST_200600_302600_NS16reverse_iteratorIPKlEESD_NSA_IPlEElN6hipcub16HIPCUB_304000_NS3MaxENSH_8EqualityElEE10hipError_tPvRmT2_T3_T4_T5_mT6_T7_P12ihipStream_tbENKUlT_T0_E_clISt17integral_constantIbLb1EESZ_IbLb0EEEEDaSV_SW_EUlSV_E_NS1_11comp_targetILNS1_3genE9ELNS1_11target_archE1100ELNS1_3gpuE3ELNS1_3repE0EEENS1_30default_config_static_selectorELNS0_4arch9wavefront6targetE1EEEvT1_
	.globl	_ZN7rocprim17ROCPRIM_400000_NS6detail17trampoline_kernelINS0_14default_configENS1_27scan_by_key_config_selectorIllEEZZNS1_16scan_by_key_implILNS1_25lookback_scan_determinismE0ELb0ES3_N6thrust23THRUST_200600_302600_NS16reverse_iteratorIPKlEESD_NSA_IPlEElN6hipcub16HIPCUB_304000_NS3MaxENSH_8EqualityElEE10hipError_tPvRmT2_T3_T4_T5_mT6_T7_P12ihipStream_tbENKUlT_T0_E_clISt17integral_constantIbLb1EESZ_IbLb0EEEEDaSV_SW_EUlSV_E_NS1_11comp_targetILNS1_3genE9ELNS1_11target_archE1100ELNS1_3gpuE3ELNS1_3repE0EEENS1_30default_config_static_selectorELNS0_4arch9wavefront6targetE1EEEvT1_
	.p2align	8
	.type	_ZN7rocprim17ROCPRIM_400000_NS6detail17trampoline_kernelINS0_14default_configENS1_27scan_by_key_config_selectorIllEEZZNS1_16scan_by_key_implILNS1_25lookback_scan_determinismE0ELb0ES3_N6thrust23THRUST_200600_302600_NS16reverse_iteratorIPKlEESD_NSA_IPlEElN6hipcub16HIPCUB_304000_NS3MaxENSH_8EqualityElEE10hipError_tPvRmT2_T3_T4_T5_mT6_T7_P12ihipStream_tbENKUlT_T0_E_clISt17integral_constantIbLb1EESZ_IbLb0EEEEDaSV_SW_EUlSV_E_NS1_11comp_targetILNS1_3genE9ELNS1_11target_archE1100ELNS1_3gpuE3ELNS1_3repE0EEENS1_30default_config_static_selectorELNS0_4arch9wavefront6targetE1EEEvT1_,@function
_ZN7rocprim17ROCPRIM_400000_NS6detail17trampoline_kernelINS0_14default_configENS1_27scan_by_key_config_selectorIllEEZZNS1_16scan_by_key_implILNS1_25lookback_scan_determinismE0ELb0ES3_N6thrust23THRUST_200600_302600_NS16reverse_iteratorIPKlEESD_NSA_IPlEElN6hipcub16HIPCUB_304000_NS3MaxENSH_8EqualityElEE10hipError_tPvRmT2_T3_T4_T5_mT6_T7_P12ihipStream_tbENKUlT_T0_E_clISt17integral_constantIbLb1EESZ_IbLb0EEEEDaSV_SW_EUlSV_E_NS1_11comp_targetILNS1_3genE9ELNS1_11target_archE1100ELNS1_3gpuE3ELNS1_3repE0EEENS1_30default_config_static_selectorELNS0_4arch9wavefront6targetE1EEEvT1_: ; @_ZN7rocprim17ROCPRIM_400000_NS6detail17trampoline_kernelINS0_14default_configENS1_27scan_by_key_config_selectorIllEEZZNS1_16scan_by_key_implILNS1_25lookback_scan_determinismE0ELb0ES3_N6thrust23THRUST_200600_302600_NS16reverse_iteratorIPKlEESD_NSA_IPlEElN6hipcub16HIPCUB_304000_NS3MaxENSH_8EqualityElEE10hipError_tPvRmT2_T3_T4_T5_mT6_T7_P12ihipStream_tbENKUlT_T0_E_clISt17integral_constantIbLb1EESZ_IbLb0EEEEDaSV_SW_EUlSV_E_NS1_11comp_targetILNS1_3genE9ELNS1_11target_archE1100ELNS1_3gpuE3ELNS1_3repE0EEENS1_30default_config_static_selectorELNS0_4arch9wavefront6targetE1EEEvT1_
; %bb.0:
	.section	.rodata,"a",@progbits
	.p2align	6, 0x0
	.amdhsa_kernel _ZN7rocprim17ROCPRIM_400000_NS6detail17trampoline_kernelINS0_14default_configENS1_27scan_by_key_config_selectorIllEEZZNS1_16scan_by_key_implILNS1_25lookback_scan_determinismE0ELb0ES3_N6thrust23THRUST_200600_302600_NS16reverse_iteratorIPKlEESD_NSA_IPlEElN6hipcub16HIPCUB_304000_NS3MaxENSH_8EqualityElEE10hipError_tPvRmT2_T3_T4_T5_mT6_T7_P12ihipStream_tbENKUlT_T0_E_clISt17integral_constantIbLb1EESZ_IbLb0EEEEDaSV_SW_EUlSV_E_NS1_11comp_targetILNS1_3genE9ELNS1_11target_archE1100ELNS1_3gpuE3ELNS1_3repE0EEENS1_30default_config_static_selectorELNS0_4arch9wavefront6targetE1EEEvT1_
		.amdhsa_group_segment_fixed_size 0
		.amdhsa_private_segment_fixed_size 0
		.amdhsa_kernarg_size 136
		.amdhsa_user_sgpr_count 2
		.amdhsa_user_sgpr_dispatch_ptr 0
		.amdhsa_user_sgpr_queue_ptr 0
		.amdhsa_user_sgpr_kernarg_segment_ptr 1
		.amdhsa_user_sgpr_dispatch_id 0
		.amdhsa_user_sgpr_kernarg_preload_length 0
		.amdhsa_user_sgpr_kernarg_preload_offset 0
		.amdhsa_user_sgpr_private_segment_size 0
		.amdhsa_uses_dynamic_stack 0
		.amdhsa_enable_private_segment 0
		.amdhsa_system_sgpr_workgroup_id_x 1
		.amdhsa_system_sgpr_workgroup_id_y 0
		.amdhsa_system_sgpr_workgroup_id_z 0
		.amdhsa_system_sgpr_workgroup_info 0
		.amdhsa_system_vgpr_workitem_id 0
		.amdhsa_next_free_vgpr 1
		.amdhsa_next_free_sgpr 0
		.amdhsa_accum_offset 4
		.amdhsa_reserve_vcc 0
		.amdhsa_float_round_mode_32 0
		.amdhsa_float_round_mode_16_64 0
		.amdhsa_float_denorm_mode_32 3
		.amdhsa_float_denorm_mode_16_64 3
		.amdhsa_dx10_clamp 1
		.amdhsa_ieee_mode 1
		.amdhsa_fp16_overflow 0
		.amdhsa_tg_split 0
		.amdhsa_exception_fp_ieee_invalid_op 0
		.amdhsa_exception_fp_denorm_src 0
		.amdhsa_exception_fp_ieee_div_zero 0
		.amdhsa_exception_fp_ieee_overflow 0
		.amdhsa_exception_fp_ieee_underflow 0
		.amdhsa_exception_fp_ieee_inexact 0
		.amdhsa_exception_int_div_zero 0
	.end_amdhsa_kernel
	.section	.text._ZN7rocprim17ROCPRIM_400000_NS6detail17trampoline_kernelINS0_14default_configENS1_27scan_by_key_config_selectorIllEEZZNS1_16scan_by_key_implILNS1_25lookback_scan_determinismE0ELb0ES3_N6thrust23THRUST_200600_302600_NS16reverse_iteratorIPKlEESD_NSA_IPlEElN6hipcub16HIPCUB_304000_NS3MaxENSH_8EqualityElEE10hipError_tPvRmT2_T3_T4_T5_mT6_T7_P12ihipStream_tbENKUlT_T0_E_clISt17integral_constantIbLb1EESZ_IbLb0EEEEDaSV_SW_EUlSV_E_NS1_11comp_targetILNS1_3genE9ELNS1_11target_archE1100ELNS1_3gpuE3ELNS1_3repE0EEENS1_30default_config_static_selectorELNS0_4arch9wavefront6targetE1EEEvT1_,"axG",@progbits,_ZN7rocprim17ROCPRIM_400000_NS6detail17trampoline_kernelINS0_14default_configENS1_27scan_by_key_config_selectorIllEEZZNS1_16scan_by_key_implILNS1_25lookback_scan_determinismE0ELb0ES3_N6thrust23THRUST_200600_302600_NS16reverse_iteratorIPKlEESD_NSA_IPlEElN6hipcub16HIPCUB_304000_NS3MaxENSH_8EqualityElEE10hipError_tPvRmT2_T3_T4_T5_mT6_T7_P12ihipStream_tbENKUlT_T0_E_clISt17integral_constantIbLb1EESZ_IbLb0EEEEDaSV_SW_EUlSV_E_NS1_11comp_targetILNS1_3genE9ELNS1_11target_archE1100ELNS1_3gpuE3ELNS1_3repE0EEENS1_30default_config_static_selectorELNS0_4arch9wavefront6targetE1EEEvT1_,comdat
.Lfunc_end164:
	.size	_ZN7rocprim17ROCPRIM_400000_NS6detail17trampoline_kernelINS0_14default_configENS1_27scan_by_key_config_selectorIllEEZZNS1_16scan_by_key_implILNS1_25lookback_scan_determinismE0ELb0ES3_N6thrust23THRUST_200600_302600_NS16reverse_iteratorIPKlEESD_NSA_IPlEElN6hipcub16HIPCUB_304000_NS3MaxENSH_8EqualityElEE10hipError_tPvRmT2_T3_T4_T5_mT6_T7_P12ihipStream_tbENKUlT_T0_E_clISt17integral_constantIbLb1EESZ_IbLb0EEEEDaSV_SW_EUlSV_E_NS1_11comp_targetILNS1_3genE9ELNS1_11target_archE1100ELNS1_3gpuE3ELNS1_3repE0EEENS1_30default_config_static_selectorELNS0_4arch9wavefront6targetE1EEEvT1_, .Lfunc_end164-_ZN7rocprim17ROCPRIM_400000_NS6detail17trampoline_kernelINS0_14default_configENS1_27scan_by_key_config_selectorIllEEZZNS1_16scan_by_key_implILNS1_25lookback_scan_determinismE0ELb0ES3_N6thrust23THRUST_200600_302600_NS16reverse_iteratorIPKlEESD_NSA_IPlEElN6hipcub16HIPCUB_304000_NS3MaxENSH_8EqualityElEE10hipError_tPvRmT2_T3_T4_T5_mT6_T7_P12ihipStream_tbENKUlT_T0_E_clISt17integral_constantIbLb1EESZ_IbLb0EEEEDaSV_SW_EUlSV_E_NS1_11comp_targetILNS1_3genE9ELNS1_11target_archE1100ELNS1_3gpuE3ELNS1_3repE0EEENS1_30default_config_static_selectorELNS0_4arch9wavefront6targetE1EEEvT1_
                                        ; -- End function
	.set _ZN7rocprim17ROCPRIM_400000_NS6detail17trampoline_kernelINS0_14default_configENS1_27scan_by_key_config_selectorIllEEZZNS1_16scan_by_key_implILNS1_25lookback_scan_determinismE0ELb0ES3_N6thrust23THRUST_200600_302600_NS16reverse_iteratorIPKlEESD_NSA_IPlEElN6hipcub16HIPCUB_304000_NS3MaxENSH_8EqualityElEE10hipError_tPvRmT2_T3_T4_T5_mT6_T7_P12ihipStream_tbENKUlT_T0_E_clISt17integral_constantIbLb1EESZ_IbLb0EEEEDaSV_SW_EUlSV_E_NS1_11comp_targetILNS1_3genE9ELNS1_11target_archE1100ELNS1_3gpuE3ELNS1_3repE0EEENS1_30default_config_static_selectorELNS0_4arch9wavefront6targetE1EEEvT1_.num_vgpr, 0
	.set _ZN7rocprim17ROCPRIM_400000_NS6detail17trampoline_kernelINS0_14default_configENS1_27scan_by_key_config_selectorIllEEZZNS1_16scan_by_key_implILNS1_25lookback_scan_determinismE0ELb0ES3_N6thrust23THRUST_200600_302600_NS16reverse_iteratorIPKlEESD_NSA_IPlEElN6hipcub16HIPCUB_304000_NS3MaxENSH_8EqualityElEE10hipError_tPvRmT2_T3_T4_T5_mT6_T7_P12ihipStream_tbENKUlT_T0_E_clISt17integral_constantIbLb1EESZ_IbLb0EEEEDaSV_SW_EUlSV_E_NS1_11comp_targetILNS1_3genE9ELNS1_11target_archE1100ELNS1_3gpuE3ELNS1_3repE0EEENS1_30default_config_static_selectorELNS0_4arch9wavefront6targetE1EEEvT1_.num_agpr, 0
	.set _ZN7rocprim17ROCPRIM_400000_NS6detail17trampoline_kernelINS0_14default_configENS1_27scan_by_key_config_selectorIllEEZZNS1_16scan_by_key_implILNS1_25lookback_scan_determinismE0ELb0ES3_N6thrust23THRUST_200600_302600_NS16reverse_iteratorIPKlEESD_NSA_IPlEElN6hipcub16HIPCUB_304000_NS3MaxENSH_8EqualityElEE10hipError_tPvRmT2_T3_T4_T5_mT6_T7_P12ihipStream_tbENKUlT_T0_E_clISt17integral_constantIbLb1EESZ_IbLb0EEEEDaSV_SW_EUlSV_E_NS1_11comp_targetILNS1_3genE9ELNS1_11target_archE1100ELNS1_3gpuE3ELNS1_3repE0EEENS1_30default_config_static_selectorELNS0_4arch9wavefront6targetE1EEEvT1_.numbered_sgpr, 0
	.set _ZN7rocprim17ROCPRIM_400000_NS6detail17trampoline_kernelINS0_14default_configENS1_27scan_by_key_config_selectorIllEEZZNS1_16scan_by_key_implILNS1_25lookback_scan_determinismE0ELb0ES3_N6thrust23THRUST_200600_302600_NS16reverse_iteratorIPKlEESD_NSA_IPlEElN6hipcub16HIPCUB_304000_NS3MaxENSH_8EqualityElEE10hipError_tPvRmT2_T3_T4_T5_mT6_T7_P12ihipStream_tbENKUlT_T0_E_clISt17integral_constantIbLb1EESZ_IbLb0EEEEDaSV_SW_EUlSV_E_NS1_11comp_targetILNS1_3genE9ELNS1_11target_archE1100ELNS1_3gpuE3ELNS1_3repE0EEENS1_30default_config_static_selectorELNS0_4arch9wavefront6targetE1EEEvT1_.num_named_barrier, 0
	.set _ZN7rocprim17ROCPRIM_400000_NS6detail17trampoline_kernelINS0_14default_configENS1_27scan_by_key_config_selectorIllEEZZNS1_16scan_by_key_implILNS1_25lookback_scan_determinismE0ELb0ES3_N6thrust23THRUST_200600_302600_NS16reverse_iteratorIPKlEESD_NSA_IPlEElN6hipcub16HIPCUB_304000_NS3MaxENSH_8EqualityElEE10hipError_tPvRmT2_T3_T4_T5_mT6_T7_P12ihipStream_tbENKUlT_T0_E_clISt17integral_constantIbLb1EESZ_IbLb0EEEEDaSV_SW_EUlSV_E_NS1_11comp_targetILNS1_3genE9ELNS1_11target_archE1100ELNS1_3gpuE3ELNS1_3repE0EEENS1_30default_config_static_selectorELNS0_4arch9wavefront6targetE1EEEvT1_.private_seg_size, 0
	.set _ZN7rocprim17ROCPRIM_400000_NS6detail17trampoline_kernelINS0_14default_configENS1_27scan_by_key_config_selectorIllEEZZNS1_16scan_by_key_implILNS1_25lookback_scan_determinismE0ELb0ES3_N6thrust23THRUST_200600_302600_NS16reverse_iteratorIPKlEESD_NSA_IPlEElN6hipcub16HIPCUB_304000_NS3MaxENSH_8EqualityElEE10hipError_tPvRmT2_T3_T4_T5_mT6_T7_P12ihipStream_tbENKUlT_T0_E_clISt17integral_constantIbLb1EESZ_IbLb0EEEEDaSV_SW_EUlSV_E_NS1_11comp_targetILNS1_3genE9ELNS1_11target_archE1100ELNS1_3gpuE3ELNS1_3repE0EEENS1_30default_config_static_selectorELNS0_4arch9wavefront6targetE1EEEvT1_.uses_vcc, 0
	.set _ZN7rocprim17ROCPRIM_400000_NS6detail17trampoline_kernelINS0_14default_configENS1_27scan_by_key_config_selectorIllEEZZNS1_16scan_by_key_implILNS1_25lookback_scan_determinismE0ELb0ES3_N6thrust23THRUST_200600_302600_NS16reverse_iteratorIPKlEESD_NSA_IPlEElN6hipcub16HIPCUB_304000_NS3MaxENSH_8EqualityElEE10hipError_tPvRmT2_T3_T4_T5_mT6_T7_P12ihipStream_tbENKUlT_T0_E_clISt17integral_constantIbLb1EESZ_IbLb0EEEEDaSV_SW_EUlSV_E_NS1_11comp_targetILNS1_3genE9ELNS1_11target_archE1100ELNS1_3gpuE3ELNS1_3repE0EEENS1_30default_config_static_selectorELNS0_4arch9wavefront6targetE1EEEvT1_.uses_flat_scratch, 0
	.set _ZN7rocprim17ROCPRIM_400000_NS6detail17trampoline_kernelINS0_14default_configENS1_27scan_by_key_config_selectorIllEEZZNS1_16scan_by_key_implILNS1_25lookback_scan_determinismE0ELb0ES3_N6thrust23THRUST_200600_302600_NS16reverse_iteratorIPKlEESD_NSA_IPlEElN6hipcub16HIPCUB_304000_NS3MaxENSH_8EqualityElEE10hipError_tPvRmT2_T3_T4_T5_mT6_T7_P12ihipStream_tbENKUlT_T0_E_clISt17integral_constantIbLb1EESZ_IbLb0EEEEDaSV_SW_EUlSV_E_NS1_11comp_targetILNS1_3genE9ELNS1_11target_archE1100ELNS1_3gpuE3ELNS1_3repE0EEENS1_30default_config_static_selectorELNS0_4arch9wavefront6targetE1EEEvT1_.has_dyn_sized_stack, 0
	.set _ZN7rocprim17ROCPRIM_400000_NS6detail17trampoline_kernelINS0_14default_configENS1_27scan_by_key_config_selectorIllEEZZNS1_16scan_by_key_implILNS1_25lookback_scan_determinismE0ELb0ES3_N6thrust23THRUST_200600_302600_NS16reverse_iteratorIPKlEESD_NSA_IPlEElN6hipcub16HIPCUB_304000_NS3MaxENSH_8EqualityElEE10hipError_tPvRmT2_T3_T4_T5_mT6_T7_P12ihipStream_tbENKUlT_T0_E_clISt17integral_constantIbLb1EESZ_IbLb0EEEEDaSV_SW_EUlSV_E_NS1_11comp_targetILNS1_3genE9ELNS1_11target_archE1100ELNS1_3gpuE3ELNS1_3repE0EEENS1_30default_config_static_selectorELNS0_4arch9wavefront6targetE1EEEvT1_.has_recursion, 0
	.set _ZN7rocprim17ROCPRIM_400000_NS6detail17trampoline_kernelINS0_14default_configENS1_27scan_by_key_config_selectorIllEEZZNS1_16scan_by_key_implILNS1_25lookback_scan_determinismE0ELb0ES3_N6thrust23THRUST_200600_302600_NS16reverse_iteratorIPKlEESD_NSA_IPlEElN6hipcub16HIPCUB_304000_NS3MaxENSH_8EqualityElEE10hipError_tPvRmT2_T3_T4_T5_mT6_T7_P12ihipStream_tbENKUlT_T0_E_clISt17integral_constantIbLb1EESZ_IbLb0EEEEDaSV_SW_EUlSV_E_NS1_11comp_targetILNS1_3genE9ELNS1_11target_archE1100ELNS1_3gpuE3ELNS1_3repE0EEENS1_30default_config_static_selectorELNS0_4arch9wavefront6targetE1EEEvT1_.has_indirect_call, 0
	.section	.AMDGPU.csdata,"",@progbits
; Kernel info:
; codeLenInByte = 0
; TotalNumSgprs: 6
; NumVgprs: 0
; NumAgprs: 0
; TotalNumVgprs: 0
; ScratchSize: 0
; MemoryBound: 0
; FloatMode: 240
; IeeeMode: 1
; LDSByteSize: 0 bytes/workgroup (compile time only)
; SGPRBlocks: 0
; VGPRBlocks: 0
; NumSGPRsForWavesPerEU: 6
; NumVGPRsForWavesPerEU: 1
; AccumOffset: 4
; Occupancy: 8
; WaveLimiterHint : 0
; COMPUTE_PGM_RSRC2:SCRATCH_EN: 0
; COMPUTE_PGM_RSRC2:USER_SGPR: 2
; COMPUTE_PGM_RSRC2:TRAP_HANDLER: 0
; COMPUTE_PGM_RSRC2:TGID_X_EN: 1
; COMPUTE_PGM_RSRC2:TGID_Y_EN: 0
; COMPUTE_PGM_RSRC2:TGID_Z_EN: 0
; COMPUTE_PGM_RSRC2:TIDIG_COMP_CNT: 0
; COMPUTE_PGM_RSRC3_GFX90A:ACCUM_OFFSET: 0
; COMPUTE_PGM_RSRC3_GFX90A:TG_SPLIT: 0
	.section	.text._ZN7rocprim17ROCPRIM_400000_NS6detail17trampoline_kernelINS0_14default_configENS1_27scan_by_key_config_selectorIllEEZZNS1_16scan_by_key_implILNS1_25lookback_scan_determinismE0ELb0ES3_N6thrust23THRUST_200600_302600_NS16reverse_iteratorIPKlEESD_NSA_IPlEElN6hipcub16HIPCUB_304000_NS3MaxENSH_8EqualityElEE10hipError_tPvRmT2_T3_T4_T5_mT6_T7_P12ihipStream_tbENKUlT_T0_E_clISt17integral_constantIbLb1EESZ_IbLb0EEEEDaSV_SW_EUlSV_E_NS1_11comp_targetILNS1_3genE8ELNS1_11target_archE1030ELNS1_3gpuE2ELNS1_3repE0EEENS1_30default_config_static_selectorELNS0_4arch9wavefront6targetE1EEEvT1_,"axG",@progbits,_ZN7rocprim17ROCPRIM_400000_NS6detail17trampoline_kernelINS0_14default_configENS1_27scan_by_key_config_selectorIllEEZZNS1_16scan_by_key_implILNS1_25lookback_scan_determinismE0ELb0ES3_N6thrust23THRUST_200600_302600_NS16reverse_iteratorIPKlEESD_NSA_IPlEElN6hipcub16HIPCUB_304000_NS3MaxENSH_8EqualityElEE10hipError_tPvRmT2_T3_T4_T5_mT6_T7_P12ihipStream_tbENKUlT_T0_E_clISt17integral_constantIbLb1EESZ_IbLb0EEEEDaSV_SW_EUlSV_E_NS1_11comp_targetILNS1_3genE8ELNS1_11target_archE1030ELNS1_3gpuE2ELNS1_3repE0EEENS1_30default_config_static_selectorELNS0_4arch9wavefront6targetE1EEEvT1_,comdat
	.protected	_ZN7rocprim17ROCPRIM_400000_NS6detail17trampoline_kernelINS0_14default_configENS1_27scan_by_key_config_selectorIllEEZZNS1_16scan_by_key_implILNS1_25lookback_scan_determinismE0ELb0ES3_N6thrust23THRUST_200600_302600_NS16reverse_iteratorIPKlEESD_NSA_IPlEElN6hipcub16HIPCUB_304000_NS3MaxENSH_8EqualityElEE10hipError_tPvRmT2_T3_T4_T5_mT6_T7_P12ihipStream_tbENKUlT_T0_E_clISt17integral_constantIbLb1EESZ_IbLb0EEEEDaSV_SW_EUlSV_E_NS1_11comp_targetILNS1_3genE8ELNS1_11target_archE1030ELNS1_3gpuE2ELNS1_3repE0EEENS1_30default_config_static_selectorELNS0_4arch9wavefront6targetE1EEEvT1_ ; -- Begin function _ZN7rocprim17ROCPRIM_400000_NS6detail17trampoline_kernelINS0_14default_configENS1_27scan_by_key_config_selectorIllEEZZNS1_16scan_by_key_implILNS1_25lookback_scan_determinismE0ELb0ES3_N6thrust23THRUST_200600_302600_NS16reverse_iteratorIPKlEESD_NSA_IPlEElN6hipcub16HIPCUB_304000_NS3MaxENSH_8EqualityElEE10hipError_tPvRmT2_T3_T4_T5_mT6_T7_P12ihipStream_tbENKUlT_T0_E_clISt17integral_constantIbLb1EESZ_IbLb0EEEEDaSV_SW_EUlSV_E_NS1_11comp_targetILNS1_3genE8ELNS1_11target_archE1030ELNS1_3gpuE2ELNS1_3repE0EEENS1_30default_config_static_selectorELNS0_4arch9wavefront6targetE1EEEvT1_
	.globl	_ZN7rocprim17ROCPRIM_400000_NS6detail17trampoline_kernelINS0_14default_configENS1_27scan_by_key_config_selectorIllEEZZNS1_16scan_by_key_implILNS1_25lookback_scan_determinismE0ELb0ES3_N6thrust23THRUST_200600_302600_NS16reverse_iteratorIPKlEESD_NSA_IPlEElN6hipcub16HIPCUB_304000_NS3MaxENSH_8EqualityElEE10hipError_tPvRmT2_T3_T4_T5_mT6_T7_P12ihipStream_tbENKUlT_T0_E_clISt17integral_constantIbLb1EESZ_IbLb0EEEEDaSV_SW_EUlSV_E_NS1_11comp_targetILNS1_3genE8ELNS1_11target_archE1030ELNS1_3gpuE2ELNS1_3repE0EEENS1_30default_config_static_selectorELNS0_4arch9wavefront6targetE1EEEvT1_
	.p2align	8
	.type	_ZN7rocprim17ROCPRIM_400000_NS6detail17trampoline_kernelINS0_14default_configENS1_27scan_by_key_config_selectorIllEEZZNS1_16scan_by_key_implILNS1_25lookback_scan_determinismE0ELb0ES3_N6thrust23THRUST_200600_302600_NS16reverse_iteratorIPKlEESD_NSA_IPlEElN6hipcub16HIPCUB_304000_NS3MaxENSH_8EqualityElEE10hipError_tPvRmT2_T3_T4_T5_mT6_T7_P12ihipStream_tbENKUlT_T0_E_clISt17integral_constantIbLb1EESZ_IbLb0EEEEDaSV_SW_EUlSV_E_NS1_11comp_targetILNS1_3genE8ELNS1_11target_archE1030ELNS1_3gpuE2ELNS1_3repE0EEENS1_30default_config_static_selectorELNS0_4arch9wavefront6targetE1EEEvT1_,@function
_ZN7rocprim17ROCPRIM_400000_NS6detail17trampoline_kernelINS0_14default_configENS1_27scan_by_key_config_selectorIllEEZZNS1_16scan_by_key_implILNS1_25lookback_scan_determinismE0ELb0ES3_N6thrust23THRUST_200600_302600_NS16reverse_iteratorIPKlEESD_NSA_IPlEElN6hipcub16HIPCUB_304000_NS3MaxENSH_8EqualityElEE10hipError_tPvRmT2_T3_T4_T5_mT6_T7_P12ihipStream_tbENKUlT_T0_E_clISt17integral_constantIbLb1EESZ_IbLb0EEEEDaSV_SW_EUlSV_E_NS1_11comp_targetILNS1_3genE8ELNS1_11target_archE1030ELNS1_3gpuE2ELNS1_3repE0EEENS1_30default_config_static_selectorELNS0_4arch9wavefront6targetE1EEEvT1_: ; @_ZN7rocprim17ROCPRIM_400000_NS6detail17trampoline_kernelINS0_14default_configENS1_27scan_by_key_config_selectorIllEEZZNS1_16scan_by_key_implILNS1_25lookback_scan_determinismE0ELb0ES3_N6thrust23THRUST_200600_302600_NS16reverse_iteratorIPKlEESD_NSA_IPlEElN6hipcub16HIPCUB_304000_NS3MaxENSH_8EqualityElEE10hipError_tPvRmT2_T3_T4_T5_mT6_T7_P12ihipStream_tbENKUlT_T0_E_clISt17integral_constantIbLb1EESZ_IbLb0EEEEDaSV_SW_EUlSV_E_NS1_11comp_targetILNS1_3genE8ELNS1_11target_archE1030ELNS1_3gpuE2ELNS1_3repE0EEENS1_30default_config_static_selectorELNS0_4arch9wavefront6targetE1EEEvT1_
; %bb.0:
	.section	.rodata,"a",@progbits
	.p2align	6, 0x0
	.amdhsa_kernel _ZN7rocprim17ROCPRIM_400000_NS6detail17trampoline_kernelINS0_14default_configENS1_27scan_by_key_config_selectorIllEEZZNS1_16scan_by_key_implILNS1_25lookback_scan_determinismE0ELb0ES3_N6thrust23THRUST_200600_302600_NS16reverse_iteratorIPKlEESD_NSA_IPlEElN6hipcub16HIPCUB_304000_NS3MaxENSH_8EqualityElEE10hipError_tPvRmT2_T3_T4_T5_mT6_T7_P12ihipStream_tbENKUlT_T0_E_clISt17integral_constantIbLb1EESZ_IbLb0EEEEDaSV_SW_EUlSV_E_NS1_11comp_targetILNS1_3genE8ELNS1_11target_archE1030ELNS1_3gpuE2ELNS1_3repE0EEENS1_30default_config_static_selectorELNS0_4arch9wavefront6targetE1EEEvT1_
		.amdhsa_group_segment_fixed_size 0
		.amdhsa_private_segment_fixed_size 0
		.amdhsa_kernarg_size 136
		.amdhsa_user_sgpr_count 2
		.amdhsa_user_sgpr_dispatch_ptr 0
		.amdhsa_user_sgpr_queue_ptr 0
		.amdhsa_user_sgpr_kernarg_segment_ptr 1
		.amdhsa_user_sgpr_dispatch_id 0
		.amdhsa_user_sgpr_kernarg_preload_length 0
		.amdhsa_user_sgpr_kernarg_preload_offset 0
		.amdhsa_user_sgpr_private_segment_size 0
		.amdhsa_uses_dynamic_stack 0
		.amdhsa_enable_private_segment 0
		.amdhsa_system_sgpr_workgroup_id_x 1
		.amdhsa_system_sgpr_workgroup_id_y 0
		.amdhsa_system_sgpr_workgroup_id_z 0
		.amdhsa_system_sgpr_workgroup_info 0
		.amdhsa_system_vgpr_workitem_id 0
		.amdhsa_next_free_vgpr 1
		.amdhsa_next_free_sgpr 0
		.amdhsa_accum_offset 4
		.amdhsa_reserve_vcc 0
		.amdhsa_float_round_mode_32 0
		.amdhsa_float_round_mode_16_64 0
		.amdhsa_float_denorm_mode_32 3
		.amdhsa_float_denorm_mode_16_64 3
		.amdhsa_dx10_clamp 1
		.amdhsa_ieee_mode 1
		.amdhsa_fp16_overflow 0
		.amdhsa_tg_split 0
		.amdhsa_exception_fp_ieee_invalid_op 0
		.amdhsa_exception_fp_denorm_src 0
		.amdhsa_exception_fp_ieee_div_zero 0
		.amdhsa_exception_fp_ieee_overflow 0
		.amdhsa_exception_fp_ieee_underflow 0
		.amdhsa_exception_fp_ieee_inexact 0
		.amdhsa_exception_int_div_zero 0
	.end_amdhsa_kernel
	.section	.text._ZN7rocprim17ROCPRIM_400000_NS6detail17trampoline_kernelINS0_14default_configENS1_27scan_by_key_config_selectorIllEEZZNS1_16scan_by_key_implILNS1_25lookback_scan_determinismE0ELb0ES3_N6thrust23THRUST_200600_302600_NS16reverse_iteratorIPKlEESD_NSA_IPlEElN6hipcub16HIPCUB_304000_NS3MaxENSH_8EqualityElEE10hipError_tPvRmT2_T3_T4_T5_mT6_T7_P12ihipStream_tbENKUlT_T0_E_clISt17integral_constantIbLb1EESZ_IbLb0EEEEDaSV_SW_EUlSV_E_NS1_11comp_targetILNS1_3genE8ELNS1_11target_archE1030ELNS1_3gpuE2ELNS1_3repE0EEENS1_30default_config_static_selectorELNS0_4arch9wavefront6targetE1EEEvT1_,"axG",@progbits,_ZN7rocprim17ROCPRIM_400000_NS6detail17trampoline_kernelINS0_14default_configENS1_27scan_by_key_config_selectorIllEEZZNS1_16scan_by_key_implILNS1_25lookback_scan_determinismE0ELb0ES3_N6thrust23THRUST_200600_302600_NS16reverse_iteratorIPKlEESD_NSA_IPlEElN6hipcub16HIPCUB_304000_NS3MaxENSH_8EqualityElEE10hipError_tPvRmT2_T3_T4_T5_mT6_T7_P12ihipStream_tbENKUlT_T0_E_clISt17integral_constantIbLb1EESZ_IbLb0EEEEDaSV_SW_EUlSV_E_NS1_11comp_targetILNS1_3genE8ELNS1_11target_archE1030ELNS1_3gpuE2ELNS1_3repE0EEENS1_30default_config_static_selectorELNS0_4arch9wavefront6targetE1EEEvT1_,comdat
.Lfunc_end165:
	.size	_ZN7rocprim17ROCPRIM_400000_NS6detail17trampoline_kernelINS0_14default_configENS1_27scan_by_key_config_selectorIllEEZZNS1_16scan_by_key_implILNS1_25lookback_scan_determinismE0ELb0ES3_N6thrust23THRUST_200600_302600_NS16reverse_iteratorIPKlEESD_NSA_IPlEElN6hipcub16HIPCUB_304000_NS3MaxENSH_8EqualityElEE10hipError_tPvRmT2_T3_T4_T5_mT6_T7_P12ihipStream_tbENKUlT_T0_E_clISt17integral_constantIbLb1EESZ_IbLb0EEEEDaSV_SW_EUlSV_E_NS1_11comp_targetILNS1_3genE8ELNS1_11target_archE1030ELNS1_3gpuE2ELNS1_3repE0EEENS1_30default_config_static_selectorELNS0_4arch9wavefront6targetE1EEEvT1_, .Lfunc_end165-_ZN7rocprim17ROCPRIM_400000_NS6detail17trampoline_kernelINS0_14default_configENS1_27scan_by_key_config_selectorIllEEZZNS1_16scan_by_key_implILNS1_25lookback_scan_determinismE0ELb0ES3_N6thrust23THRUST_200600_302600_NS16reverse_iteratorIPKlEESD_NSA_IPlEElN6hipcub16HIPCUB_304000_NS3MaxENSH_8EqualityElEE10hipError_tPvRmT2_T3_T4_T5_mT6_T7_P12ihipStream_tbENKUlT_T0_E_clISt17integral_constantIbLb1EESZ_IbLb0EEEEDaSV_SW_EUlSV_E_NS1_11comp_targetILNS1_3genE8ELNS1_11target_archE1030ELNS1_3gpuE2ELNS1_3repE0EEENS1_30default_config_static_selectorELNS0_4arch9wavefront6targetE1EEEvT1_
                                        ; -- End function
	.set _ZN7rocprim17ROCPRIM_400000_NS6detail17trampoline_kernelINS0_14default_configENS1_27scan_by_key_config_selectorIllEEZZNS1_16scan_by_key_implILNS1_25lookback_scan_determinismE0ELb0ES3_N6thrust23THRUST_200600_302600_NS16reverse_iteratorIPKlEESD_NSA_IPlEElN6hipcub16HIPCUB_304000_NS3MaxENSH_8EqualityElEE10hipError_tPvRmT2_T3_T4_T5_mT6_T7_P12ihipStream_tbENKUlT_T0_E_clISt17integral_constantIbLb1EESZ_IbLb0EEEEDaSV_SW_EUlSV_E_NS1_11comp_targetILNS1_3genE8ELNS1_11target_archE1030ELNS1_3gpuE2ELNS1_3repE0EEENS1_30default_config_static_selectorELNS0_4arch9wavefront6targetE1EEEvT1_.num_vgpr, 0
	.set _ZN7rocprim17ROCPRIM_400000_NS6detail17trampoline_kernelINS0_14default_configENS1_27scan_by_key_config_selectorIllEEZZNS1_16scan_by_key_implILNS1_25lookback_scan_determinismE0ELb0ES3_N6thrust23THRUST_200600_302600_NS16reverse_iteratorIPKlEESD_NSA_IPlEElN6hipcub16HIPCUB_304000_NS3MaxENSH_8EqualityElEE10hipError_tPvRmT2_T3_T4_T5_mT6_T7_P12ihipStream_tbENKUlT_T0_E_clISt17integral_constantIbLb1EESZ_IbLb0EEEEDaSV_SW_EUlSV_E_NS1_11comp_targetILNS1_3genE8ELNS1_11target_archE1030ELNS1_3gpuE2ELNS1_3repE0EEENS1_30default_config_static_selectorELNS0_4arch9wavefront6targetE1EEEvT1_.num_agpr, 0
	.set _ZN7rocprim17ROCPRIM_400000_NS6detail17trampoline_kernelINS0_14default_configENS1_27scan_by_key_config_selectorIllEEZZNS1_16scan_by_key_implILNS1_25lookback_scan_determinismE0ELb0ES3_N6thrust23THRUST_200600_302600_NS16reverse_iteratorIPKlEESD_NSA_IPlEElN6hipcub16HIPCUB_304000_NS3MaxENSH_8EqualityElEE10hipError_tPvRmT2_T3_T4_T5_mT6_T7_P12ihipStream_tbENKUlT_T0_E_clISt17integral_constantIbLb1EESZ_IbLb0EEEEDaSV_SW_EUlSV_E_NS1_11comp_targetILNS1_3genE8ELNS1_11target_archE1030ELNS1_3gpuE2ELNS1_3repE0EEENS1_30default_config_static_selectorELNS0_4arch9wavefront6targetE1EEEvT1_.numbered_sgpr, 0
	.set _ZN7rocprim17ROCPRIM_400000_NS6detail17trampoline_kernelINS0_14default_configENS1_27scan_by_key_config_selectorIllEEZZNS1_16scan_by_key_implILNS1_25lookback_scan_determinismE0ELb0ES3_N6thrust23THRUST_200600_302600_NS16reverse_iteratorIPKlEESD_NSA_IPlEElN6hipcub16HIPCUB_304000_NS3MaxENSH_8EqualityElEE10hipError_tPvRmT2_T3_T4_T5_mT6_T7_P12ihipStream_tbENKUlT_T0_E_clISt17integral_constantIbLb1EESZ_IbLb0EEEEDaSV_SW_EUlSV_E_NS1_11comp_targetILNS1_3genE8ELNS1_11target_archE1030ELNS1_3gpuE2ELNS1_3repE0EEENS1_30default_config_static_selectorELNS0_4arch9wavefront6targetE1EEEvT1_.num_named_barrier, 0
	.set _ZN7rocprim17ROCPRIM_400000_NS6detail17trampoline_kernelINS0_14default_configENS1_27scan_by_key_config_selectorIllEEZZNS1_16scan_by_key_implILNS1_25lookback_scan_determinismE0ELb0ES3_N6thrust23THRUST_200600_302600_NS16reverse_iteratorIPKlEESD_NSA_IPlEElN6hipcub16HIPCUB_304000_NS3MaxENSH_8EqualityElEE10hipError_tPvRmT2_T3_T4_T5_mT6_T7_P12ihipStream_tbENKUlT_T0_E_clISt17integral_constantIbLb1EESZ_IbLb0EEEEDaSV_SW_EUlSV_E_NS1_11comp_targetILNS1_3genE8ELNS1_11target_archE1030ELNS1_3gpuE2ELNS1_3repE0EEENS1_30default_config_static_selectorELNS0_4arch9wavefront6targetE1EEEvT1_.private_seg_size, 0
	.set _ZN7rocprim17ROCPRIM_400000_NS6detail17trampoline_kernelINS0_14default_configENS1_27scan_by_key_config_selectorIllEEZZNS1_16scan_by_key_implILNS1_25lookback_scan_determinismE0ELb0ES3_N6thrust23THRUST_200600_302600_NS16reverse_iteratorIPKlEESD_NSA_IPlEElN6hipcub16HIPCUB_304000_NS3MaxENSH_8EqualityElEE10hipError_tPvRmT2_T3_T4_T5_mT6_T7_P12ihipStream_tbENKUlT_T0_E_clISt17integral_constantIbLb1EESZ_IbLb0EEEEDaSV_SW_EUlSV_E_NS1_11comp_targetILNS1_3genE8ELNS1_11target_archE1030ELNS1_3gpuE2ELNS1_3repE0EEENS1_30default_config_static_selectorELNS0_4arch9wavefront6targetE1EEEvT1_.uses_vcc, 0
	.set _ZN7rocprim17ROCPRIM_400000_NS6detail17trampoline_kernelINS0_14default_configENS1_27scan_by_key_config_selectorIllEEZZNS1_16scan_by_key_implILNS1_25lookback_scan_determinismE0ELb0ES3_N6thrust23THRUST_200600_302600_NS16reverse_iteratorIPKlEESD_NSA_IPlEElN6hipcub16HIPCUB_304000_NS3MaxENSH_8EqualityElEE10hipError_tPvRmT2_T3_T4_T5_mT6_T7_P12ihipStream_tbENKUlT_T0_E_clISt17integral_constantIbLb1EESZ_IbLb0EEEEDaSV_SW_EUlSV_E_NS1_11comp_targetILNS1_3genE8ELNS1_11target_archE1030ELNS1_3gpuE2ELNS1_3repE0EEENS1_30default_config_static_selectorELNS0_4arch9wavefront6targetE1EEEvT1_.uses_flat_scratch, 0
	.set _ZN7rocprim17ROCPRIM_400000_NS6detail17trampoline_kernelINS0_14default_configENS1_27scan_by_key_config_selectorIllEEZZNS1_16scan_by_key_implILNS1_25lookback_scan_determinismE0ELb0ES3_N6thrust23THRUST_200600_302600_NS16reverse_iteratorIPKlEESD_NSA_IPlEElN6hipcub16HIPCUB_304000_NS3MaxENSH_8EqualityElEE10hipError_tPvRmT2_T3_T4_T5_mT6_T7_P12ihipStream_tbENKUlT_T0_E_clISt17integral_constantIbLb1EESZ_IbLb0EEEEDaSV_SW_EUlSV_E_NS1_11comp_targetILNS1_3genE8ELNS1_11target_archE1030ELNS1_3gpuE2ELNS1_3repE0EEENS1_30default_config_static_selectorELNS0_4arch9wavefront6targetE1EEEvT1_.has_dyn_sized_stack, 0
	.set _ZN7rocprim17ROCPRIM_400000_NS6detail17trampoline_kernelINS0_14default_configENS1_27scan_by_key_config_selectorIllEEZZNS1_16scan_by_key_implILNS1_25lookback_scan_determinismE0ELb0ES3_N6thrust23THRUST_200600_302600_NS16reverse_iteratorIPKlEESD_NSA_IPlEElN6hipcub16HIPCUB_304000_NS3MaxENSH_8EqualityElEE10hipError_tPvRmT2_T3_T4_T5_mT6_T7_P12ihipStream_tbENKUlT_T0_E_clISt17integral_constantIbLb1EESZ_IbLb0EEEEDaSV_SW_EUlSV_E_NS1_11comp_targetILNS1_3genE8ELNS1_11target_archE1030ELNS1_3gpuE2ELNS1_3repE0EEENS1_30default_config_static_selectorELNS0_4arch9wavefront6targetE1EEEvT1_.has_recursion, 0
	.set _ZN7rocprim17ROCPRIM_400000_NS6detail17trampoline_kernelINS0_14default_configENS1_27scan_by_key_config_selectorIllEEZZNS1_16scan_by_key_implILNS1_25lookback_scan_determinismE0ELb0ES3_N6thrust23THRUST_200600_302600_NS16reverse_iteratorIPKlEESD_NSA_IPlEElN6hipcub16HIPCUB_304000_NS3MaxENSH_8EqualityElEE10hipError_tPvRmT2_T3_T4_T5_mT6_T7_P12ihipStream_tbENKUlT_T0_E_clISt17integral_constantIbLb1EESZ_IbLb0EEEEDaSV_SW_EUlSV_E_NS1_11comp_targetILNS1_3genE8ELNS1_11target_archE1030ELNS1_3gpuE2ELNS1_3repE0EEENS1_30default_config_static_selectorELNS0_4arch9wavefront6targetE1EEEvT1_.has_indirect_call, 0
	.section	.AMDGPU.csdata,"",@progbits
; Kernel info:
; codeLenInByte = 0
; TotalNumSgprs: 6
; NumVgprs: 0
; NumAgprs: 0
; TotalNumVgprs: 0
; ScratchSize: 0
; MemoryBound: 0
; FloatMode: 240
; IeeeMode: 1
; LDSByteSize: 0 bytes/workgroup (compile time only)
; SGPRBlocks: 0
; VGPRBlocks: 0
; NumSGPRsForWavesPerEU: 6
; NumVGPRsForWavesPerEU: 1
; AccumOffset: 4
; Occupancy: 8
; WaveLimiterHint : 0
; COMPUTE_PGM_RSRC2:SCRATCH_EN: 0
; COMPUTE_PGM_RSRC2:USER_SGPR: 2
; COMPUTE_PGM_RSRC2:TRAP_HANDLER: 0
; COMPUTE_PGM_RSRC2:TGID_X_EN: 1
; COMPUTE_PGM_RSRC2:TGID_Y_EN: 0
; COMPUTE_PGM_RSRC2:TGID_Z_EN: 0
; COMPUTE_PGM_RSRC2:TIDIG_COMP_CNT: 0
; COMPUTE_PGM_RSRC3_GFX90A:ACCUM_OFFSET: 0
; COMPUTE_PGM_RSRC3_GFX90A:TG_SPLIT: 0
	.section	.text._ZN7rocprim17ROCPRIM_400000_NS6detail30init_device_scan_by_key_kernelINS1_19lookback_scan_stateINS0_5tupleIJlbEEELb0ELb0EEEN6thrust23THRUST_200600_302600_NS16reverse_iteratorIPKlEEjNS1_16block_id_wrapperIjLb1EEEEEvT_jjPNSF_10value_typeET0_PNSt15iterator_traitsISI_E10value_typeEmT1_T2_,"axG",@progbits,_ZN7rocprim17ROCPRIM_400000_NS6detail30init_device_scan_by_key_kernelINS1_19lookback_scan_stateINS0_5tupleIJlbEEELb0ELb0EEEN6thrust23THRUST_200600_302600_NS16reverse_iteratorIPKlEEjNS1_16block_id_wrapperIjLb1EEEEEvT_jjPNSF_10value_typeET0_PNSt15iterator_traitsISI_E10value_typeEmT1_T2_,comdat
	.protected	_ZN7rocprim17ROCPRIM_400000_NS6detail30init_device_scan_by_key_kernelINS1_19lookback_scan_stateINS0_5tupleIJlbEEELb0ELb0EEEN6thrust23THRUST_200600_302600_NS16reverse_iteratorIPKlEEjNS1_16block_id_wrapperIjLb1EEEEEvT_jjPNSF_10value_typeET0_PNSt15iterator_traitsISI_E10value_typeEmT1_T2_ ; -- Begin function _ZN7rocprim17ROCPRIM_400000_NS6detail30init_device_scan_by_key_kernelINS1_19lookback_scan_stateINS0_5tupleIJlbEEELb0ELb0EEEN6thrust23THRUST_200600_302600_NS16reverse_iteratorIPKlEEjNS1_16block_id_wrapperIjLb1EEEEEvT_jjPNSF_10value_typeET0_PNSt15iterator_traitsISI_E10value_typeEmT1_T2_
	.globl	_ZN7rocprim17ROCPRIM_400000_NS6detail30init_device_scan_by_key_kernelINS1_19lookback_scan_stateINS0_5tupleIJlbEEELb0ELb0EEEN6thrust23THRUST_200600_302600_NS16reverse_iteratorIPKlEEjNS1_16block_id_wrapperIjLb1EEEEEvT_jjPNSF_10value_typeET0_PNSt15iterator_traitsISI_E10value_typeEmT1_T2_
	.p2align	8
	.type	_ZN7rocprim17ROCPRIM_400000_NS6detail30init_device_scan_by_key_kernelINS1_19lookback_scan_stateINS0_5tupleIJlbEEELb0ELb0EEEN6thrust23THRUST_200600_302600_NS16reverse_iteratorIPKlEEjNS1_16block_id_wrapperIjLb1EEEEEvT_jjPNSF_10value_typeET0_PNSt15iterator_traitsISI_E10value_typeEmT1_T2_,@function
_ZN7rocprim17ROCPRIM_400000_NS6detail30init_device_scan_by_key_kernelINS1_19lookback_scan_stateINS0_5tupleIJlbEEELb0ELb0EEEN6thrust23THRUST_200600_302600_NS16reverse_iteratorIPKlEEjNS1_16block_id_wrapperIjLb1EEEEEvT_jjPNSF_10value_typeET0_PNSt15iterator_traitsISI_E10value_typeEmT1_T2_: ; @_ZN7rocprim17ROCPRIM_400000_NS6detail30init_device_scan_by_key_kernelINS1_19lookback_scan_stateINS0_5tupleIJlbEEELb0ELb0EEEN6thrust23THRUST_200600_302600_NS16reverse_iteratorIPKlEEjNS1_16block_id_wrapperIjLb1EEEEEvT_jjPNSF_10value_typeET0_PNSt15iterator_traitsISI_E10value_typeEmT1_T2_
; %bb.0:
	s_load_dword s3, s[0:1], 0x5c
	s_load_dwordx8 s[4:11], s[0:1], 0x10
	s_load_dword s20, s[0:1], 0x50
	s_waitcnt lgkmcnt(0)
	s_and_b32 s21, s3, 0xffff
	s_mul_i32 s2, s2, s21
	s_cmp_eq_u64 s[8:9], 0
	v_add_u32_e32 v0, s2, v0
	s_cbranch_scc1 .LBB166_6
; %bb.1:
	s_cmp_lt_u32 s7, s6
	s_cselect_b32 s2, s7, 0
	s_mov_b32 s17, 0
	v_cmp_eq_u32_e32 vcc, s2, v0
	s_and_saveexec_b64 s[2:3], vcc
	s_cbranch_execz .LBB166_5
; %bb.2:
	s_add_i32 s16, s7, 64
	v_mov_b32_e32 v1, s16
	global_load_ubyte v2, v1, s[4:5] sc1
	s_load_dwordx4 s[12:15], s[0:1], 0x0
	v_mov_b32_e32 v1, 0
	s_add_u32 s18, s4, s16
	s_addc_u32 s19, s5, 0
	s_waitcnt vmcnt(0)
	v_cmp_ne_u32_sdwa s[22:23], v2, v1 src0_sel:WORD_0 src1_sel:DWORD
	s_and_b64 vcc, exec, s[22:23]
	v_readfirstlane_b32 s7, v2
	s_cbranch_vccnz .LBB166_4
.LBB166_3:                              ; =>This Inner Loop Header: Depth=1
	global_load_ubyte v2, v1, s[18:19] sc1
	s_waitcnt vmcnt(0)
	v_cmp_eq_u32_sdwa s[22:23], v2, v1 src0_sel:WORD_0 src1_sel:DWORD
	s_and_b64 vcc, exec, s[22:23]
	v_readfirstlane_b32 s7, v2
	s_cbranch_vccnz .LBB166_3
.LBB166_4:
	s_and_b32 s7, 0xffff, s7
	s_cmp_eq_u32 s7, 1
	s_waitcnt lgkmcnt(0)
	s_cselect_b32 s7, s13, s15
	s_cselect_b32 s14, s12, s14
	s_lshl_b64 s[12:13], s[16:17], 4
	s_add_u32 s12, s14, s12
	s_addc_u32 s13, s7, s13
	v_mov_b32_e32 v1, 0
	s_waitcnt vmcnt(0)
	global_load_dword v4, v1, s[12:13] sc1
	global_load_dword v5, v1, s[12:13] offset:4 sc1
	global_load_dword v2, v1, s[12:13] offset:8 sc1
	;; [unrolled: 1-line block ×3, first 2 shown]
	s_waitcnt vmcnt(2)
	global_store_dwordx2 v1, v[4:5], s[8:9]
	s_waitcnt vmcnt(2)
	global_store_byte v1, v2, s[8:9] offset:8
.LBB166_5:
	s_or_b64 exec, exec, s[2:3]
.LBB166_6:
	v_cmp_eq_u32_e32 vcc, 0, v0
	s_and_saveexec_b64 s[2:3], vcc
	s_cbranch_execz .LBB166_8
; %bb.7:
	s_load_dwordx2 s[8:9], s[0:1], 0x48
	v_mov_b32_e32 v1, 0
	s_waitcnt lgkmcnt(0)
	global_store_dword v1, v1, s[8:9]
.LBB166_8:
	s_or_b64 exec, exec, s[2:3]
	v_cmp_gt_u32_e32 vcc, s6, v0
	s_and_saveexec_b64 s[2:3], vcc
	s_cbranch_execz .LBB166_10
; %bb.9:
	v_add_u32_e32 v1, 64, v0
	v_mov_b32_e32 v2, 0
	global_store_byte v1, v2, s[4:5]
.LBB166_10:
	s_or_b64 exec, exec, s[2:3]
	v_cmp_gt_u32_e32 vcc, 64, v0
	v_mov_b32_e32 v1, 0
	s_and_saveexec_b64 s[2:3], vcc
	s_cbranch_execz .LBB166_12
; %bb.11:
	s_waitcnt vmcnt(2)
	v_lshl_add_u64 v[2:3], s[4:5], 0, v[0:1]
	v_mov_b32_e32 v4, 0xff
	global_store_byte v[2:3], v4, off
.LBB166_12:
	s_or_b64 exec, exec, s[2:3]
	s_load_dwordx2 s[2:3], s[0:1], 0x38
	s_waitcnt lgkmcnt(0)
	v_cmp_gt_u64_e32 vcc, s[2:3], v[0:1]
	s_and_saveexec_b64 s[4:5], vcc
	s_cbranch_execz .LBB166_15
; %bb.13:
	s_load_dword s6, s[0:1], 0x40
	s_load_dwordx2 s[8:9], s[0:1], 0x30
	v_mov_b32_e32 v5, 0
	s_mul_i32 s0, s20, s21
	v_mov_b32_e32 v2, s10
	s_waitcnt lgkmcnt(0)
	s_add_i32 s4, s6, -1
	v_mov_b32_e32 v4, s4
	v_mad_u64_u32 v[4:5], s[4:5], s6, v0, v[4:5]
	s_mul_hi_u32 s5, s6, s0
	s_mul_i32 s4, s6, s0
	s_lshl_b64 s[6:7], s[4:5], 3
	s_waitcnt vmcnt(2)
	v_mov_b32_e32 v3, s11
	s_mov_b32 s1, 0
	v_not_b32_e32 v5, v5
	v_not_b32_e32 v4, v4
	s_sub_u32 s6, 0, s6
	v_lshl_add_u64 v[2:3], v[4:5], 3, v[2:3]
	s_mov_b64 s[4:5], 0
	s_subb_u32 s7, 0, s7
	v_lshl_add_u64 v[4:5], v[0:1], 3, s[8:9]
	s_lshl_b64 s[8:9], s[0:1], 3
.LBB166_14:                             ; =>This Inner Loop Header: Depth=1
	global_load_dwordx2 v[6:7], v[2:3], off
	v_lshl_add_u64 v[0:1], v[0:1], 0, s[0:1]
	v_cmp_le_u64_e32 vcc, s[2:3], v[0:1]
	v_lshl_add_u64 v[2:3], v[2:3], 0, s[6:7]
	s_or_b64 s[4:5], vcc, s[4:5]
	s_waitcnt vmcnt(0)
	global_store_dwordx2 v[4:5], v[6:7], off
	v_lshl_add_u64 v[4:5], v[4:5], 0, s[8:9]
	s_andn2_b64 exec, exec, s[4:5]
	s_cbranch_execnz .LBB166_14
.LBB166_15:
	s_endpgm
	.section	.rodata,"a",@progbits
	.p2align	6, 0x0
	.amdhsa_kernel _ZN7rocprim17ROCPRIM_400000_NS6detail30init_device_scan_by_key_kernelINS1_19lookback_scan_stateINS0_5tupleIJlbEEELb0ELb0EEEN6thrust23THRUST_200600_302600_NS16reverse_iteratorIPKlEEjNS1_16block_id_wrapperIjLb1EEEEEvT_jjPNSF_10value_typeET0_PNSt15iterator_traitsISI_E10value_typeEmT1_T2_
		.amdhsa_group_segment_fixed_size 0
		.amdhsa_private_segment_fixed_size 0
		.amdhsa_kernarg_size 336
		.amdhsa_user_sgpr_count 2
		.amdhsa_user_sgpr_dispatch_ptr 0
		.amdhsa_user_sgpr_queue_ptr 0
		.amdhsa_user_sgpr_kernarg_segment_ptr 1
		.amdhsa_user_sgpr_dispatch_id 0
		.amdhsa_user_sgpr_kernarg_preload_length 0
		.amdhsa_user_sgpr_kernarg_preload_offset 0
		.amdhsa_user_sgpr_private_segment_size 0
		.amdhsa_uses_dynamic_stack 0
		.amdhsa_enable_private_segment 0
		.amdhsa_system_sgpr_workgroup_id_x 1
		.amdhsa_system_sgpr_workgroup_id_y 0
		.amdhsa_system_sgpr_workgroup_id_z 0
		.amdhsa_system_sgpr_workgroup_info 0
		.amdhsa_system_vgpr_workitem_id 0
		.amdhsa_next_free_vgpr 8
		.amdhsa_next_free_sgpr 24
		.amdhsa_accum_offset 8
		.amdhsa_reserve_vcc 1
		.amdhsa_float_round_mode_32 0
		.amdhsa_float_round_mode_16_64 0
		.amdhsa_float_denorm_mode_32 3
		.amdhsa_float_denorm_mode_16_64 3
		.amdhsa_dx10_clamp 1
		.amdhsa_ieee_mode 1
		.amdhsa_fp16_overflow 0
		.amdhsa_tg_split 0
		.amdhsa_exception_fp_ieee_invalid_op 0
		.amdhsa_exception_fp_denorm_src 0
		.amdhsa_exception_fp_ieee_div_zero 0
		.amdhsa_exception_fp_ieee_overflow 0
		.amdhsa_exception_fp_ieee_underflow 0
		.amdhsa_exception_fp_ieee_inexact 0
		.amdhsa_exception_int_div_zero 0
	.end_amdhsa_kernel
	.section	.text._ZN7rocprim17ROCPRIM_400000_NS6detail30init_device_scan_by_key_kernelINS1_19lookback_scan_stateINS0_5tupleIJlbEEELb0ELb0EEEN6thrust23THRUST_200600_302600_NS16reverse_iteratorIPKlEEjNS1_16block_id_wrapperIjLb1EEEEEvT_jjPNSF_10value_typeET0_PNSt15iterator_traitsISI_E10value_typeEmT1_T2_,"axG",@progbits,_ZN7rocprim17ROCPRIM_400000_NS6detail30init_device_scan_by_key_kernelINS1_19lookback_scan_stateINS0_5tupleIJlbEEELb0ELb0EEEN6thrust23THRUST_200600_302600_NS16reverse_iteratorIPKlEEjNS1_16block_id_wrapperIjLb1EEEEEvT_jjPNSF_10value_typeET0_PNSt15iterator_traitsISI_E10value_typeEmT1_T2_,comdat
.Lfunc_end166:
	.size	_ZN7rocprim17ROCPRIM_400000_NS6detail30init_device_scan_by_key_kernelINS1_19lookback_scan_stateINS0_5tupleIJlbEEELb0ELb0EEEN6thrust23THRUST_200600_302600_NS16reverse_iteratorIPKlEEjNS1_16block_id_wrapperIjLb1EEEEEvT_jjPNSF_10value_typeET0_PNSt15iterator_traitsISI_E10value_typeEmT1_T2_, .Lfunc_end166-_ZN7rocprim17ROCPRIM_400000_NS6detail30init_device_scan_by_key_kernelINS1_19lookback_scan_stateINS0_5tupleIJlbEEELb0ELb0EEEN6thrust23THRUST_200600_302600_NS16reverse_iteratorIPKlEEjNS1_16block_id_wrapperIjLb1EEEEEvT_jjPNSF_10value_typeET0_PNSt15iterator_traitsISI_E10value_typeEmT1_T2_
                                        ; -- End function
	.set _ZN7rocprim17ROCPRIM_400000_NS6detail30init_device_scan_by_key_kernelINS1_19lookback_scan_stateINS0_5tupleIJlbEEELb0ELb0EEEN6thrust23THRUST_200600_302600_NS16reverse_iteratorIPKlEEjNS1_16block_id_wrapperIjLb1EEEEEvT_jjPNSF_10value_typeET0_PNSt15iterator_traitsISI_E10value_typeEmT1_T2_.num_vgpr, 8
	.set _ZN7rocprim17ROCPRIM_400000_NS6detail30init_device_scan_by_key_kernelINS1_19lookback_scan_stateINS0_5tupleIJlbEEELb0ELb0EEEN6thrust23THRUST_200600_302600_NS16reverse_iteratorIPKlEEjNS1_16block_id_wrapperIjLb1EEEEEvT_jjPNSF_10value_typeET0_PNSt15iterator_traitsISI_E10value_typeEmT1_T2_.num_agpr, 0
	.set _ZN7rocprim17ROCPRIM_400000_NS6detail30init_device_scan_by_key_kernelINS1_19lookback_scan_stateINS0_5tupleIJlbEEELb0ELb0EEEN6thrust23THRUST_200600_302600_NS16reverse_iteratorIPKlEEjNS1_16block_id_wrapperIjLb1EEEEEvT_jjPNSF_10value_typeET0_PNSt15iterator_traitsISI_E10value_typeEmT1_T2_.numbered_sgpr, 24
	.set _ZN7rocprim17ROCPRIM_400000_NS6detail30init_device_scan_by_key_kernelINS1_19lookback_scan_stateINS0_5tupleIJlbEEELb0ELb0EEEN6thrust23THRUST_200600_302600_NS16reverse_iteratorIPKlEEjNS1_16block_id_wrapperIjLb1EEEEEvT_jjPNSF_10value_typeET0_PNSt15iterator_traitsISI_E10value_typeEmT1_T2_.num_named_barrier, 0
	.set _ZN7rocprim17ROCPRIM_400000_NS6detail30init_device_scan_by_key_kernelINS1_19lookback_scan_stateINS0_5tupleIJlbEEELb0ELb0EEEN6thrust23THRUST_200600_302600_NS16reverse_iteratorIPKlEEjNS1_16block_id_wrapperIjLb1EEEEEvT_jjPNSF_10value_typeET0_PNSt15iterator_traitsISI_E10value_typeEmT1_T2_.private_seg_size, 0
	.set _ZN7rocprim17ROCPRIM_400000_NS6detail30init_device_scan_by_key_kernelINS1_19lookback_scan_stateINS0_5tupleIJlbEEELb0ELb0EEEN6thrust23THRUST_200600_302600_NS16reverse_iteratorIPKlEEjNS1_16block_id_wrapperIjLb1EEEEEvT_jjPNSF_10value_typeET0_PNSt15iterator_traitsISI_E10value_typeEmT1_T2_.uses_vcc, 1
	.set _ZN7rocprim17ROCPRIM_400000_NS6detail30init_device_scan_by_key_kernelINS1_19lookback_scan_stateINS0_5tupleIJlbEEELb0ELb0EEEN6thrust23THRUST_200600_302600_NS16reverse_iteratorIPKlEEjNS1_16block_id_wrapperIjLb1EEEEEvT_jjPNSF_10value_typeET0_PNSt15iterator_traitsISI_E10value_typeEmT1_T2_.uses_flat_scratch, 0
	.set _ZN7rocprim17ROCPRIM_400000_NS6detail30init_device_scan_by_key_kernelINS1_19lookback_scan_stateINS0_5tupleIJlbEEELb0ELb0EEEN6thrust23THRUST_200600_302600_NS16reverse_iteratorIPKlEEjNS1_16block_id_wrapperIjLb1EEEEEvT_jjPNSF_10value_typeET0_PNSt15iterator_traitsISI_E10value_typeEmT1_T2_.has_dyn_sized_stack, 0
	.set _ZN7rocprim17ROCPRIM_400000_NS6detail30init_device_scan_by_key_kernelINS1_19lookback_scan_stateINS0_5tupleIJlbEEELb0ELb0EEEN6thrust23THRUST_200600_302600_NS16reverse_iteratorIPKlEEjNS1_16block_id_wrapperIjLb1EEEEEvT_jjPNSF_10value_typeET0_PNSt15iterator_traitsISI_E10value_typeEmT1_T2_.has_recursion, 0
	.set _ZN7rocprim17ROCPRIM_400000_NS6detail30init_device_scan_by_key_kernelINS1_19lookback_scan_stateINS0_5tupleIJlbEEELb0ELb0EEEN6thrust23THRUST_200600_302600_NS16reverse_iteratorIPKlEEjNS1_16block_id_wrapperIjLb1EEEEEvT_jjPNSF_10value_typeET0_PNSt15iterator_traitsISI_E10value_typeEmT1_T2_.has_indirect_call, 0
	.section	.AMDGPU.csdata,"",@progbits
; Kernel info:
; codeLenInByte = 592
; TotalNumSgprs: 30
; NumVgprs: 8
; NumAgprs: 0
; TotalNumVgprs: 8
; ScratchSize: 0
; MemoryBound: 0
; FloatMode: 240
; IeeeMode: 1
; LDSByteSize: 0 bytes/workgroup (compile time only)
; SGPRBlocks: 3
; VGPRBlocks: 0
; NumSGPRsForWavesPerEU: 30
; NumVGPRsForWavesPerEU: 8
; AccumOffset: 8
; Occupancy: 8
; WaveLimiterHint : 0
; COMPUTE_PGM_RSRC2:SCRATCH_EN: 0
; COMPUTE_PGM_RSRC2:USER_SGPR: 2
; COMPUTE_PGM_RSRC2:TRAP_HANDLER: 0
; COMPUTE_PGM_RSRC2:TGID_X_EN: 1
; COMPUTE_PGM_RSRC2:TGID_Y_EN: 0
; COMPUTE_PGM_RSRC2:TGID_Z_EN: 0
; COMPUTE_PGM_RSRC2:TIDIG_COMP_CNT: 0
; COMPUTE_PGM_RSRC3_GFX90A:ACCUM_OFFSET: 1
; COMPUTE_PGM_RSRC3_GFX90A:TG_SPLIT: 0
	.section	.text._ZN7rocprim17ROCPRIM_400000_NS6detail17trampoline_kernelINS0_14default_configENS1_27scan_by_key_config_selectorIllEEZZNS1_16scan_by_key_implILNS1_25lookback_scan_determinismE0ELb0ES3_N6thrust23THRUST_200600_302600_NS16reverse_iteratorIPKlEESD_NSA_IPlEElN6hipcub16HIPCUB_304000_NS3MaxENSH_8EqualityElEE10hipError_tPvRmT2_T3_T4_T5_mT6_T7_P12ihipStream_tbENKUlT_T0_E_clISt17integral_constantIbLb0EESZ_IbLb1EEEEDaSV_SW_EUlSV_E_NS1_11comp_targetILNS1_3genE0ELNS1_11target_archE4294967295ELNS1_3gpuE0ELNS1_3repE0EEENS1_30default_config_static_selectorELNS0_4arch9wavefront6targetE1EEEvT1_,"axG",@progbits,_ZN7rocprim17ROCPRIM_400000_NS6detail17trampoline_kernelINS0_14default_configENS1_27scan_by_key_config_selectorIllEEZZNS1_16scan_by_key_implILNS1_25lookback_scan_determinismE0ELb0ES3_N6thrust23THRUST_200600_302600_NS16reverse_iteratorIPKlEESD_NSA_IPlEElN6hipcub16HIPCUB_304000_NS3MaxENSH_8EqualityElEE10hipError_tPvRmT2_T3_T4_T5_mT6_T7_P12ihipStream_tbENKUlT_T0_E_clISt17integral_constantIbLb0EESZ_IbLb1EEEEDaSV_SW_EUlSV_E_NS1_11comp_targetILNS1_3genE0ELNS1_11target_archE4294967295ELNS1_3gpuE0ELNS1_3repE0EEENS1_30default_config_static_selectorELNS0_4arch9wavefront6targetE1EEEvT1_,comdat
	.protected	_ZN7rocprim17ROCPRIM_400000_NS6detail17trampoline_kernelINS0_14default_configENS1_27scan_by_key_config_selectorIllEEZZNS1_16scan_by_key_implILNS1_25lookback_scan_determinismE0ELb0ES3_N6thrust23THRUST_200600_302600_NS16reverse_iteratorIPKlEESD_NSA_IPlEElN6hipcub16HIPCUB_304000_NS3MaxENSH_8EqualityElEE10hipError_tPvRmT2_T3_T4_T5_mT6_T7_P12ihipStream_tbENKUlT_T0_E_clISt17integral_constantIbLb0EESZ_IbLb1EEEEDaSV_SW_EUlSV_E_NS1_11comp_targetILNS1_3genE0ELNS1_11target_archE4294967295ELNS1_3gpuE0ELNS1_3repE0EEENS1_30default_config_static_selectorELNS0_4arch9wavefront6targetE1EEEvT1_ ; -- Begin function _ZN7rocprim17ROCPRIM_400000_NS6detail17trampoline_kernelINS0_14default_configENS1_27scan_by_key_config_selectorIllEEZZNS1_16scan_by_key_implILNS1_25lookback_scan_determinismE0ELb0ES3_N6thrust23THRUST_200600_302600_NS16reverse_iteratorIPKlEESD_NSA_IPlEElN6hipcub16HIPCUB_304000_NS3MaxENSH_8EqualityElEE10hipError_tPvRmT2_T3_T4_T5_mT6_T7_P12ihipStream_tbENKUlT_T0_E_clISt17integral_constantIbLb0EESZ_IbLb1EEEEDaSV_SW_EUlSV_E_NS1_11comp_targetILNS1_3genE0ELNS1_11target_archE4294967295ELNS1_3gpuE0ELNS1_3repE0EEENS1_30default_config_static_selectorELNS0_4arch9wavefront6targetE1EEEvT1_
	.globl	_ZN7rocprim17ROCPRIM_400000_NS6detail17trampoline_kernelINS0_14default_configENS1_27scan_by_key_config_selectorIllEEZZNS1_16scan_by_key_implILNS1_25lookback_scan_determinismE0ELb0ES3_N6thrust23THRUST_200600_302600_NS16reverse_iteratorIPKlEESD_NSA_IPlEElN6hipcub16HIPCUB_304000_NS3MaxENSH_8EqualityElEE10hipError_tPvRmT2_T3_T4_T5_mT6_T7_P12ihipStream_tbENKUlT_T0_E_clISt17integral_constantIbLb0EESZ_IbLb1EEEEDaSV_SW_EUlSV_E_NS1_11comp_targetILNS1_3genE0ELNS1_11target_archE4294967295ELNS1_3gpuE0ELNS1_3repE0EEENS1_30default_config_static_selectorELNS0_4arch9wavefront6targetE1EEEvT1_
	.p2align	8
	.type	_ZN7rocprim17ROCPRIM_400000_NS6detail17trampoline_kernelINS0_14default_configENS1_27scan_by_key_config_selectorIllEEZZNS1_16scan_by_key_implILNS1_25lookback_scan_determinismE0ELb0ES3_N6thrust23THRUST_200600_302600_NS16reverse_iteratorIPKlEESD_NSA_IPlEElN6hipcub16HIPCUB_304000_NS3MaxENSH_8EqualityElEE10hipError_tPvRmT2_T3_T4_T5_mT6_T7_P12ihipStream_tbENKUlT_T0_E_clISt17integral_constantIbLb0EESZ_IbLb1EEEEDaSV_SW_EUlSV_E_NS1_11comp_targetILNS1_3genE0ELNS1_11target_archE4294967295ELNS1_3gpuE0ELNS1_3repE0EEENS1_30default_config_static_selectorELNS0_4arch9wavefront6targetE1EEEvT1_,@function
_ZN7rocprim17ROCPRIM_400000_NS6detail17trampoline_kernelINS0_14default_configENS1_27scan_by_key_config_selectorIllEEZZNS1_16scan_by_key_implILNS1_25lookback_scan_determinismE0ELb0ES3_N6thrust23THRUST_200600_302600_NS16reverse_iteratorIPKlEESD_NSA_IPlEElN6hipcub16HIPCUB_304000_NS3MaxENSH_8EqualityElEE10hipError_tPvRmT2_T3_T4_T5_mT6_T7_P12ihipStream_tbENKUlT_T0_E_clISt17integral_constantIbLb0EESZ_IbLb1EEEEDaSV_SW_EUlSV_E_NS1_11comp_targetILNS1_3genE0ELNS1_11target_archE4294967295ELNS1_3gpuE0ELNS1_3repE0EEENS1_30default_config_static_selectorELNS0_4arch9wavefront6targetE1EEEvT1_: ; @_ZN7rocprim17ROCPRIM_400000_NS6detail17trampoline_kernelINS0_14default_configENS1_27scan_by_key_config_selectorIllEEZZNS1_16scan_by_key_implILNS1_25lookback_scan_determinismE0ELb0ES3_N6thrust23THRUST_200600_302600_NS16reverse_iteratorIPKlEESD_NSA_IPlEElN6hipcub16HIPCUB_304000_NS3MaxENSH_8EqualityElEE10hipError_tPvRmT2_T3_T4_T5_mT6_T7_P12ihipStream_tbENKUlT_T0_E_clISt17integral_constantIbLb0EESZ_IbLb1EEEEDaSV_SW_EUlSV_E_NS1_11comp_targetILNS1_3genE0ELNS1_11target_archE4294967295ELNS1_3gpuE0ELNS1_3repE0EEENS1_30default_config_static_selectorELNS0_4arch9wavefront6targetE1EEEvT1_
; %bb.0:
	s_load_dwordx8 s[40:47], s[0:1], 0x30
	s_load_dwordx2 s[64:65], s[0:1], 0x50
	v_cmp_ne_u32_e64 s[4:5], 0, v0
	v_cmp_eq_u32_e64 s[36:37], 0, v0
	s_and_saveexec_b64 s[2:3], s[36:37]
	s_cbranch_execz .LBB167_4
; %bb.1:
	s_mov_b64 s[8:9], exec
	v_mbcnt_lo_u32_b32 v1, s8, 0
	v_mbcnt_hi_u32_b32 v1, s9, v1
	v_cmp_eq_u32_e32 vcc, 0, v1
                                        ; implicit-def: $vgpr2
	s_and_saveexec_b64 s[6:7], vcc
	s_cbranch_execz .LBB167_3
; %bb.2:
	s_load_dwordx2 s[10:11], s[0:1], 0x80
	s_bcnt1_i32_b64 s8, s[8:9]
	v_mov_b32_e32 v2, 0
	v_mov_b32_e32 v3, s8
	s_waitcnt lgkmcnt(0)
	global_atomic_add v2, v2, v3, s[10:11] sc0
.LBB167_3:
	s_or_b64 exec, exec, s[6:7]
	s_waitcnt vmcnt(0)
	v_readfirstlane_b32 s6, v2
	v_mov_b32_e32 v2, 0
	s_nop 0
	v_add_u32_e32 v1, s6, v1
	ds_write_b32 v2, v1
.LBB167_4:
	s_or_b64 exec, exec, s[2:3]
	s_load_dwordx8 s[48:55], s[0:1], 0x0
	s_load_dword s2, s[0:1], 0x58
	s_load_dwordx8 s[56:63], s[0:1], 0x60
	v_mov_b32_e32 v1, 0
	s_waitcnt lgkmcnt(0)
	s_sub_u32 s38, 0, s50
	s_barrier
	ds_read_b32 v1, v1
	s_subb_u32 s39, 0, s51
	s_lshl_b64 s[6:7], s[50:51], 3
	s_sub_u32 s8, s48, s6
	s_subb_u32 s9, s49, s7
	s_sub_u32 s6, s52, s6
	s_mul_i32 s3, s65, s2
	s_mul_hi_u32 s10, s64, s2
	s_subb_u32 s7, s53, s7
	s_add_i32 s10, s10, s3
	s_waitcnt lgkmcnt(0)
	v_readfirstlane_b32 s47, v1
	s_mul_i32 s11, s64, s2
	s_cmp_eq_u64 s[60:61], 0
	s_mul_i32 s2, s47, 0xe00
	s_cselect_b64 s[50:51], -1, 0
	s_mov_b32 s3, 0
	s_sub_u32 s48, 0, s2
	s_subb_u32 s49, 0, 0
	s_lshl_b64 s[2:3], s[2:3], 3
	s_sub_u32 s90, s8, s2
	s_subb_u32 s91, s9, s3
	s_sub_u32 s34, s6, s2
	s_subb_u32 s35, s7, s3
	s_add_u32 s52, s11, s47
	s_addc_u32 s53, s10, 0
	s_add_u32 s6, s56, -1
	s_addc_u32 s7, s57, -1
	v_mov_b64_e32 v[2:3], s[6:7]
	v_cmp_ge_u64_e64 s[2:3], s[52:53], v[2:3]
	s_mov_b64 s[0:1], 0
	s_mov_b64 s[30:31], -1
	s_and_b64 vcc, exec, s[2:3]
	s_mul_i32 s33, s6, 0xfffff200
	s_barrier
	s_barrier
	s_cbranch_vccz .LBB167_78
; %bb.5:
	v_mov_b32_e32 v1, s91
	v_add_co_u32_e64 v2, vcc, -8, s90
	s_add_i32 s92, s33, s46
	s_nop 0
	v_addc_co_u32_e32 v3, vcc, -1, v1, vcc
	flat_load_dwordx2 v[2:3], v[2:3]
	s_add_u32 s60, s90, -8
	s_addc_u32 s61, s91, -1
	v_cmp_gt_u32_e32 vcc, s92, v0
	s_waitcnt vmcnt(0) lgkmcnt(0)
	v_mov_b64_e32 v[4:5], v[2:3]
	s_and_saveexec_b64 s[6:7], vcc
	s_cbranch_execz .LBB167_7
; %bb.6:
	v_lshlrev_b32_e32 v1, 3, v0
	v_mov_b32_e32 v4, s91
	v_sub_co_u32_e64 v1, s[0:1], s90, v1
	s_nop 1
	v_subbrev_co_u32_e64 v5, s[0:1], 0, v4, s[0:1]
	v_add_co_u32_e64 v4, s[0:1], -8, v1
	s_nop 1
	v_addc_co_u32_e64 v5, s[0:1], -1, v5, s[0:1]
	flat_load_dwordx2 v[4:5], v[4:5]
.LBB167_7:
	s_or_b64 exec, exec, s[6:7]
	v_or_b32_e32 v1, 0x100, v0
	v_cmp_gt_u32_e64 s[6:7], s92, v1
	v_lshlrev_b32_e32 v30, 3, v1
	v_mov_b64_e32 v[6:7], v[2:3]
	s_and_saveexec_b64 s[8:9], s[6:7]
	s_cbranch_execz .LBB167_9
; %bb.8:
	v_mov_b32_e32 v1, s91
	v_sub_co_u32_e64 v6, s[0:1], s90, v30
	s_nop 1
	v_subbrev_co_u32_e64 v1, s[0:1], 0, v1, s[0:1]
	v_add_co_u32_e64 v6, s[0:1], -8, v6
	s_nop 1
	v_addc_co_u32_e64 v7, s[0:1], -1, v1, s[0:1]
	flat_load_dwordx2 v[6:7], v[6:7]
.LBB167_9:
	s_or_b64 exec, exec, s[8:9]
	v_or_b32_e32 v1, 0x200, v0
	v_cmp_gt_u32_e64 s[8:9], s92, v1
	v_lshlrev_b32_e32 v31, 3, v1
	v_mov_b64_e32 v[8:9], v[2:3]
	s_and_saveexec_b64 s[10:11], s[8:9]
	s_cbranch_execz .LBB167_11
; %bb.10:
	v_mov_b32_e32 v1, s91
	v_sub_co_u32_e64 v8, s[0:1], s90, v31
	s_nop 1
	v_subbrev_co_u32_e64 v1, s[0:1], 0, v1, s[0:1]
	v_add_co_u32_e64 v8, s[0:1], -8, v8
	s_nop 1
	v_addc_co_u32_e64 v9, s[0:1], -1, v1, s[0:1]
	flat_load_dwordx2 v[8:9], v[8:9]
.LBB167_11:
	;; [unrolled: 17-line block ×12, first 2 shown]
	s_or_b64 exec, exec, s[30:31]
	v_or_b32_e32 v1, 0xd00, v0
	v_cmp_gt_u32_e64 s[30:31], s92, v1
	v_lshlrev_b32_e32 v70, 3, v1
	s_and_saveexec_b64 s[56:57], s[30:31]
	s_cbranch_execz .LBB167_33
; %bb.32:
	v_mov_b32_e32 v1, s91
	v_sub_co_u32_e64 v2, s[0:1], s90, v70
	s_nop 1
	v_subbrev_co_u32_e64 v1, s[0:1], 0, v1, s[0:1]
	v_add_co_u32_e64 v2, s[0:1], -8, v2
	s_nop 1
	v_addc_co_u32_e64 v3, s[0:1], -1, v1, s[0:1]
	flat_load_dwordx2 v[2:3], v[2:3]
.LBB167_33:
	s_or_b64 exec, exec, s[56:57]
	s_lshl_b64 s[0:1], s[52:53], 3
	s_add_u32 s0, s62, s0
	s_addc_u32 s1, s63, s1
	s_add_u32 s56, s0, -8
	s_addc_u32 s57, s1, -1
	s_and_b64 s[0:1], s[50:51], exec
	s_cselect_b32 s0, s90, s56
	s_cselect_b32 s1, s91, s57
	s_cmp_eq_u64 s[52:53], 0
	v_lshlrev_b32_e32 v71, 3, v0
	s_cselect_b32 s1, s61, s1
	s_cselect_b32 s0, s60, s0
	s_waitcnt vmcnt(0) lgkmcnt(0)
	ds_write2st64_b64 v71, v[4:5], v[6:7] offset1:4
	ds_write2st64_b64 v71, v[8:9], v[10:11] offset0:8 offset1:12
	ds_write2st64_b64 v71, v[12:13], v[14:15] offset0:16 offset1:20
	;; [unrolled: 1-line block ×6, first 2 shown]
	v_mov_b32_e32 v2, s0
	v_mov_b32_e32 v3, s1
	s_waitcnt lgkmcnt(0)
	s_barrier
	flat_load_dwordx2 v[8:9], v[2:3]
	s_movk_i32 s0, 0x68
	v_mad_u32_u24 v1, v0, s0, v71
	ds_read_b128 v[58:61], v1
	ds_read_b128 v[54:57], v1 offset:16
	ds_read_b128 v[50:53], v1 offset:32
	;; [unrolled: 1-line block ×6, first 2 shown]
	s_movk_i32 s0, 0xff98
	v_mad_i32_i24 v2, v0, s0, v1
	s_waitcnt lgkmcnt(0)
	ds_write_b64 v2, v[36:37] offset:28672
	s_waitcnt lgkmcnt(0)
	s_barrier
	s_and_saveexec_b64 s[0:1], s[4:5]
	s_cbranch_execz .LBB167_35
; %bb.34:
	v_mul_i32_i24_e32 v2, 0xffffff98, v0
	v_add_u32_e32 v2, v1, v2
	s_waitcnt vmcnt(0)
	ds_read_b64 v[8:9], v2 offset:28664
.LBB167_35:
	s_or_b64 exec, exec, s[0:1]
	s_waitcnt lgkmcnt(0)
	s_barrier
                                        ; implicit-def: $vgpr2_vgpr3
	s_and_saveexec_b64 s[0:1], vcc
	s_cbranch_execz .LBB167_140
; %bb.36:
	v_mov_b32_e32 v2, s35
	v_sub_co_u32_e32 v3, vcc, s34, v71
	s_nop 1
	v_subbrev_co_u32_e32 v4, vcc, 0, v2, vcc
	v_add_co_u32_e32 v2, vcc, -8, v3
	s_nop 1
	v_addc_co_u32_e32 v3, vcc, -1, v4, vcc
	flat_load_dwordx2 v[2:3], v[2:3]
	s_or_b64 exec, exec, s[0:1]
                                        ; implicit-def: $vgpr4_vgpr5
	s_and_saveexec_b64 s[0:1], s[6:7]
	s_cbranch_execnz .LBB167_141
.LBB167_37:
	s_or_b64 exec, exec, s[0:1]
                                        ; implicit-def: $vgpr6_vgpr7
	s_and_saveexec_b64 s[0:1], s[8:9]
	s_cbranch_execz .LBB167_142
.LBB167_38:
	v_mov_b32_e32 v6, s35
	v_sub_co_u32_e32 v7, vcc, s34, v31
	s_nop 1
	v_subbrev_co_u32_e32 v10, vcc, 0, v6, vcc
	v_add_co_u32_e32 v6, vcc, -8, v7
	s_nop 1
	v_addc_co_u32_e32 v7, vcc, -1, v10, vcc
	flat_load_dwordx2 v[6:7], v[6:7]
	s_or_b64 exec, exec, s[0:1]
                                        ; implicit-def: $vgpr10_vgpr11
	s_and_saveexec_b64 s[0:1], s[10:11]
	s_cbranch_execnz .LBB167_143
.LBB167_39:
	s_or_b64 exec, exec, s[0:1]
                                        ; implicit-def: $vgpr12_vgpr13
	s_and_saveexec_b64 s[0:1], s[12:13]
	s_cbranch_execz .LBB167_144
.LBB167_40:
	v_mov_b32_e32 v12, s35
	v_sub_co_u32_e32 v13, vcc, s34, v33
	s_nop 1
	v_subbrev_co_u32_e32 v14, vcc, 0, v12, vcc
	v_add_co_u32_e32 v12, vcc, -8, v13
	s_nop 1
	v_addc_co_u32_e32 v13, vcc, -1, v14, vcc
	flat_load_dwordx2 v[12:13], v[12:13]
	s_or_b64 exec, exec, s[0:1]
                                        ; implicit-def: $vgpr14_vgpr15
	s_and_saveexec_b64 s[0:1], s[14:15]
	s_cbranch_execnz .LBB167_145
.LBB167_41:
	s_or_b64 exec, exec, s[0:1]
                                        ; implicit-def: $vgpr16_vgpr17
	s_and_saveexec_b64 s[0:1], s[16:17]
	s_cbranch_execz .LBB167_146
.LBB167_42:
	v_mov_b32_e32 v16, s35
	v_sub_co_u32_e32 v17, vcc, s34, v63
	s_nop 1
	v_subbrev_co_u32_e32 v18, vcc, 0, v16, vcc
	v_add_co_u32_e32 v16, vcc, -8, v17
	s_nop 1
	v_addc_co_u32_e32 v17, vcc, -1, v18, vcc
	flat_load_dwordx2 v[16:17], v[16:17]
	s_or_b64 exec, exec, s[0:1]
                                        ; implicit-def: $vgpr18_vgpr19
	s_and_saveexec_b64 s[0:1], s[18:19]
	s_cbranch_execnz .LBB167_147
.LBB167_43:
	s_or_b64 exec, exec, s[0:1]
                                        ; implicit-def: $vgpr20_vgpr21
	s_and_saveexec_b64 s[0:1], s[20:21]
	s_cbranch_execz .LBB167_148
.LBB167_44:
	v_mov_b32_e32 v20, s35
	v_sub_co_u32_e32 v21, vcc, s34, v65
	s_nop 1
	v_subbrev_co_u32_e32 v22, vcc, 0, v20, vcc
	v_add_co_u32_e32 v20, vcc, -8, v21
	s_nop 1
	v_addc_co_u32_e32 v21, vcc, -1, v22, vcc
	flat_load_dwordx2 v[20:21], v[20:21]
	s_or_b64 exec, exec, s[0:1]
                                        ; implicit-def: $vgpr22_vgpr23
	s_and_saveexec_b64 s[0:1], s[22:23]
	s_cbranch_execnz .LBB167_149
.LBB167_45:
	s_or_b64 exec, exec, s[0:1]
                                        ; implicit-def: $vgpr24_vgpr25
	s_and_saveexec_b64 s[0:1], s[24:25]
	s_cbranch_execz .LBB167_150
.LBB167_46:
	v_mov_b32_e32 v24, s35
	v_sub_co_u32_e32 v25, vcc, s34, v67
	s_nop 1
	v_subbrev_co_u32_e32 v26, vcc, 0, v24, vcc
	v_add_co_u32_e32 v24, vcc, -8, v25
	s_nop 1
	v_addc_co_u32_e32 v25, vcc, -1, v26, vcc
	flat_load_dwordx2 v[24:25], v[24:25]
	s_or_b64 exec, exec, s[0:1]
                                        ; implicit-def: $vgpr26_vgpr27
	s_and_saveexec_b64 s[0:1], s[26:27]
	s_cbranch_execnz .LBB167_151
.LBB167_47:
	s_or_b64 exec, exec, s[0:1]
                                        ; implicit-def: $vgpr28_vgpr29
	s_and_saveexec_b64 s[0:1], s[28:29]
	s_cbranch_execz .LBB167_49
.LBB167_48:
	v_mov_b32_e32 v28, s35
	v_sub_co_u32_e32 v29, vcc, s34, v69
	s_nop 1
	v_subbrev_co_u32_e32 v30, vcc, 0, v28, vcc
	v_add_co_u32_e32 v28, vcc, -8, v29
	s_nop 1
	v_addc_co_u32_e32 v29, vcc, -1, v30, vcc
	flat_load_dwordx2 v[28:29], v[28:29]
.LBB167_49:
	s_or_b64 exec, exec, s[0:1]
	v_mul_u32_u24_e32 v86, 14, v0
                                        ; implicit-def: $vgpr30_vgpr31
	s_and_saveexec_b64 s[0:1], s[30:31]
	s_cbranch_execz .LBB167_51
; %bb.50:
	v_mov_b32_e32 v30, s35
	v_sub_co_u32_e32 v31, vcc, s34, v70
	s_nop 1
	v_subbrev_co_u32_e32 v32, vcc, 0, v30, vcc
	v_add_co_u32_e32 v30, vcc, -8, v31
	s_nop 1
	v_addc_co_u32_e32 v31, vcc, -1, v32, vcc
	flat_load_dwordx2 v[30:31], v[30:31]
.LBB167_51:
	s_or_b64 exec, exec, s[0:1]
	s_waitcnt vmcnt(0) lgkmcnt(0)
	ds_write2st64_b64 v71, v[2:3], v[4:5] offset1:4
	ds_write2st64_b64 v71, v[6:7], v[10:11] offset0:8 offset1:12
	ds_write2st64_b64 v71, v[12:13], v[14:15] offset0:16 offset1:20
	;; [unrolled: 1-line block ×6, first 2 shown]
	v_cmp_gt_u32_e32 vcc, s92, v86
	s_mov_b64 s[30:31], 0
	v_mov_b64_e32 v[90:91], 0
	v_mov_b32_e32 v77, 0
	s_mov_b64 s[0:1], 0
	v_mov_b32_e32 v78, 0
	v_mov_b64_e32 v[88:89], 0
	v_mov_b32_e32 v32, 0
	v_mov_b64_e32 v[94:95], 0
	v_mov_b32_e32 v33, 0
	v_mov_b64_e32 v[92:93], 0
	v_mov_b32_e32 v79, 0
	v_mov_b64_e32 v[98:99], 0
	v_mov_b32_e32 v80, 0
	v_mov_b64_e32 v[96:97], 0
	v_mov_b32_e32 v81, 0
	v_mov_b64_e32 v[102:103], 0
	v_mov_b32_e32 v82, 0
	v_mov_b64_e32 v[100:101], 0
	v_mov_b32_e32 v83, 0
	v_mov_b64_e32 v[106:107], 0
	v_mov_b32_e32 v84, 0
	v_mov_b64_e32 v[104:105], 0
	v_mov_b32_e32 v85, 0
	v_mov_b64_e32 v[4:5], 0
	v_mov_b32_e32 v87, 0
	v_mov_b64_e32 v[2:3], 0
	v_mov_b32_e32 v64, 0
	v_mov_b64_e32 v[10:11], 0
	v_mov_b32_e32 v66, 0
	v_mov_b64_e32 v[18:19], 0
	v_mov_b32_e32 v65, 0
	v_mov_b64_e32 v[20:21], 0
	v_mov_b32_e32 v67, 0
	v_mov_b64_e32 v[30:31], 0
	v_mov_b32_e32 v68, 0
	v_mov_b64_e32 v[62:63], 0
	v_mov_b32_e32 v69, 0
	v_mov_b64_e32 v[26:27], 0
	v_mov_b32_e32 v70, 0
	v_mov_b64_e32 v[28:29], 0
	v_mov_b32_e32 v72, 0
	v_mov_b64_e32 v[22:23], 0
	v_mov_b32_e32 v73, 0
	v_mov_b64_e32 v[24:25], 0
	v_mov_b32_e32 v74, 0
	v_mov_b64_e32 v[14:15], 0
	v_mov_b32_e32 v75, 0
	v_mov_b64_e32 v[16:17], 0
	v_mov_b32_e32 v76, 0
	v_mov_b64_e32 v[6:7], 0
	v_mov_b32_e32 v71, 0
	s_waitcnt lgkmcnt(0)
	s_barrier
                                        ; implicit-def: $sgpr28_sgpr29
	s_and_saveexec_b64 s[56:57], vcc
	s_cbranch_execz .LBB167_77
; %bb.52:
	ds_read_b64 v[2:3], v1
	v_or_b32_e32 v4, 1, v86
	v_cmp_ne_u64_e32 vcc, v[8:9], v[58:59]
	v_cmp_gt_u32_e64 s[0:1], s92, v4
	s_mov_b64 s[6:7], 0
	v_mov_b64_e32 v[90:91], 0
	v_mov_b32_e32 v77, 0
	v_mov_b32_e32 v78, 0
	v_mov_b64_e32 v[88:89], 0
	v_mov_b32_e32 v32, 0
	v_mov_b64_e32 v[94:95], 0
	;; [unrolled: 2-line block ×22, first 2 shown]
                                        ; implicit-def: $sgpr28_sgpr29
	s_and_saveexec_b64 s[60:61], s[0:1]
	s_cbranch_execz .LBB167_76
; %bb.53:
	ds_read2_b64 v[6:9], v1 offset0:1 offset1:2
	v_add_u32_e32 v4, 2, v86
	v_cmp_ne_u64_e64 s[6:7], v[58:59], v[60:61]
	v_cmp_gt_u32_e64 s[0:1], s92, v4
	s_mov_b64 s[8:9], 0
	v_mov_b64_e32 v[90:91], 0
	v_mov_b32_e32 v77, 0
	v_mov_b32_e32 v78, 0
	v_mov_b64_e32 v[88:89], 0
	v_mov_b32_e32 v32, 0
	v_mov_b64_e32 v[94:95], 0
	;; [unrolled: 2-line block ×20, first 2 shown]
                                        ; implicit-def: $sgpr28_sgpr29
	s_and_saveexec_b64 s[66:67], s[0:1]
	s_cbranch_execz .LBB167_75
; %bb.54:
	v_add_u32_e32 v4, 3, v86
	v_cmp_ne_u64_e64 s[8:9], v[60:61], v[54:55]
	v_cmp_gt_u32_e64 s[0:1], s92, v4
	s_mov_b64 s[10:11], 0
	v_mov_b64_e32 v[90:91], 0
	v_mov_b32_e32 v77, 0
	v_mov_b32_e32 v78, 0
	v_mov_b64_e32 v[88:89], 0
	v_mov_b32_e32 v32, 0
	v_mov_b64_e32 v[94:95], 0
	;; [unrolled: 2-line block ×18, first 2 shown]
                                        ; implicit-def: $sgpr28_sgpr29
	s_and_saveexec_b64 s[68:69], s[0:1]
	s_cbranch_execz .LBB167_74
; %bb.55:
	ds_read2_b64 v[14:17], v1 offset0:3 offset1:4
	v_add_u32_e32 v4, 4, v86
	v_cmp_ne_u64_e64 s[10:11], v[54:55], v[56:57]
	v_cmp_gt_u32_e64 s[0:1], s92, v4
	s_mov_b64 s[12:13], 0
	v_mov_b64_e32 v[90:91], 0
	v_mov_b32_e32 v77, 0
	v_mov_b32_e32 v78, 0
	v_mov_b64_e32 v[88:89], 0
	v_mov_b32_e32 v32, 0
	v_mov_b64_e32 v[94:95], 0
	;; [unrolled: 2-line block ×16, first 2 shown]
                                        ; implicit-def: $sgpr28_sgpr29
	s_and_saveexec_b64 s[70:71], s[0:1]
	s_cbranch_execz .LBB167_73
; %bb.56:
	v_add_u32_e32 v4, 5, v86
	v_cmp_ne_u64_e64 s[12:13], v[56:57], v[50:51]
	v_cmp_gt_u32_e64 s[0:1], s92, v4
	s_mov_b64 s[14:15], 0
	v_mov_b64_e32 v[90:91], 0
	v_mov_b32_e32 v77, 0
	v_mov_b32_e32 v78, 0
	v_mov_b64_e32 v[88:89], 0
	v_mov_b32_e32 v32, 0
	v_mov_b64_e32 v[94:95], 0
	;; [unrolled: 2-line block ×14, first 2 shown]
                                        ; implicit-def: $sgpr28_sgpr29
	s_and_saveexec_b64 s[72:73], s[0:1]
	s_cbranch_execz .LBB167_72
; %bb.57:
	ds_read2_b64 v[22:25], v1 offset0:5 offset1:6
	v_add_u32_e32 v4, 6, v86
	v_cmp_ne_u64_e64 s[14:15], v[50:51], v[52:53]
	v_cmp_gt_u32_e64 s[0:1], s92, v4
	s_mov_b64 s[16:17], 0
	v_mov_b64_e32 v[90:91], 0
	v_mov_b32_e32 v77, 0
	v_mov_b32_e32 v78, 0
	v_mov_b64_e32 v[88:89], 0
	v_mov_b32_e32 v32, 0
	v_mov_b64_e32 v[94:95], 0
	;; [unrolled: 2-line block ×12, first 2 shown]
                                        ; implicit-def: $sgpr28_sgpr29
	s_and_saveexec_b64 s[74:75], s[0:1]
	s_cbranch_execz .LBB167_71
; %bb.58:
	v_add_u32_e32 v4, 7, v86
	v_cmp_ne_u64_e64 s[16:17], v[52:53], v[46:47]
	v_cmp_gt_u32_e64 s[0:1], s92, v4
	s_mov_b64 s[18:19], 0
	v_mov_b64_e32 v[90:91], 0
	v_mov_b32_e32 v77, 0
	v_mov_b32_e32 v78, 0
	v_mov_b64_e32 v[88:89], 0
	v_mov_b32_e32 v32, 0
	v_mov_b64_e32 v[94:95], 0
	;; [unrolled: 2-line block ×10, first 2 shown]
                                        ; implicit-def: $sgpr28_sgpr29
	s_and_saveexec_b64 s[76:77], s[0:1]
	s_cbranch_execz .LBB167_70
; %bb.59:
	ds_read2_b64 v[26:29], v1 offset0:7 offset1:8
	v_add_u32_e32 v4, 8, v86
	v_cmp_ne_u64_e64 s[18:19], v[46:47], v[48:49]
	v_cmp_gt_u32_e64 s[0:1], s92, v4
	s_mov_b64 s[20:21], 0
	v_mov_b64_e32 v[90:91], 0
	v_mov_b32_e32 v77, 0
	v_mov_b32_e32 v78, 0
	v_mov_b64_e32 v[88:89], 0
	v_mov_b32_e32 v32, 0
	v_mov_b64_e32 v[94:95], 0
	;; [unrolled: 2-line block ×8, first 2 shown]
                                        ; implicit-def: $sgpr28_sgpr29
	s_and_saveexec_b64 s[78:79], s[0:1]
	s_cbranch_execz .LBB167_69
; %bb.60:
	v_add_u32_e32 v4, 9, v86
	v_cmp_ne_u64_e64 s[20:21], v[48:49], v[42:43]
	v_cmp_gt_u32_e64 s[0:1], s92, v4
	s_mov_b64 s[22:23], 0
	v_mov_b64_e32 v[90:91], 0
	v_mov_b32_e32 v77, 0
	v_mov_b32_e32 v78, 0
	v_mov_b64_e32 v[88:89], 0
	v_mov_b32_e32 v32, 0
	v_mov_b64_e32 v[94:95], 0
	;; [unrolled: 2-line block ×6, first 2 shown]
                                        ; implicit-def: $sgpr28_sgpr29
	s_and_saveexec_b64 s[80:81], s[0:1]
	s_cbranch_execz .LBB167_68
; %bb.61:
	ds_read2_b64 v[30:33], v1 offset0:9 offset1:10
	v_add_u32_e32 v4, 10, v86
	v_cmp_ne_u64_e64 s[22:23], v[42:43], v[44:45]
	v_cmp_gt_u32_e64 s[0:1], s92, v4
	s_mov_b64 s[24:25], 0
	v_mov_b64_e32 v[90:91], 0
	v_mov_b32_e32 v77, 0
	v_mov_b32_e32 v78, 0
	v_mov_b64_e32 v[88:89], 0
	v_mov_b32_e32 v64, 0
	v_mov_b64_e32 v[10:11], 0
	v_mov_b64_e32 v[18:19], 0
	v_mov_b32_e32 v65, 0
	v_mov_b64_e32 v[20:21], 0
                                        ; implicit-def: $sgpr28_sgpr29
	s_and_saveexec_b64 s[82:83], s[0:1]
	s_cbranch_execz .LBB167_67
; %bb.62:
	v_add_u32_e32 v4, 11, v86
	v_cmp_ne_u64_e64 s[24:25], v[44:45], v[38:39]
	v_cmp_gt_u32_e64 s[0:1], s92, v4
	s_mov_b64 s[26:27], 0
	v_mov_b64_e32 v[18:19], 0
	v_mov_b32_e32 v77, 0
	v_mov_b32_e32 v64, 0
	v_mov_b64_e32 v[10:11], 0
                                        ; implicit-def: $sgpr28_sgpr29
	s_and_saveexec_b64 s[84:85], s[0:1]
	s_cbranch_execz .LBB167_66
; %bb.63:
	ds_read2_b64 v[18:21], v1 offset0:11 offset1:12
	v_add_u32_e32 v4, 12, v86
	v_cmp_ne_u64_e64 s[26:27], v[38:39], v[40:41]
	v_cmp_gt_u32_e64 s[0:1], s92, v4
	s_mov_b64 s[86:87], 0
	v_mov_b64_e32 v[10:11], 0
	v_mov_b32_e32 v64, 0
                                        ; implicit-def: $sgpr28_sgpr29
	s_and_saveexec_b64 s[88:89], s[0:1]
	s_xor_b64 s[88:89], exec, s[88:89]
	s_cbranch_execz .LBB167_65
; %bb.64:
	ds_read_b64 v[12:13], v1 offset:104
	v_cmp_ne_u64_e64 s[0:1], v[40:41], v[34:35]
	v_add_u32_e32 v1, 13, v86
	v_cmp_ne_u64_e64 s[28:29], v[34:35], v[36:37]
	v_cndmask_b32_e64 v64, 0, 1, s[0:1]
	v_cmp_gt_u32_e64 s[0:1], s92, v1
	s_and_b64 s[86:87], s[0:1], exec
	s_waitcnt lgkmcnt(1)
	v_mov_b64_e32 v[10:11], v[20:21]
.LBB167_65:
	s_or_b64 exec, exec, s[88:89]
	v_cndmask_b32_e64 v77, 0, 1, s[26:27]
	s_and_b64 s[26:27], s[86:87], exec
.LBB167_66:
	s_or_b64 exec, exec, s[84:85]
	v_cndmask_b32_e64 v78, 0, 1, s[24:25]
	s_and_b64 s[24:25], s[26:27], exec
	s_waitcnt lgkmcnt(0)
	v_mov_b64_e32 v[90:91], v[18:19]
	v_mov_b64_e32 v[88:89], v[32:33]
	v_mov_b32_e32 v65, v78
	v_mov_b64_e32 v[20:21], v[32:33]
.LBB167_67:
	s_or_b64 exec, exec, s[82:83]
	s_waitcnt lgkmcnt(0)
	v_cndmask_b32_e64 v32, 0, 1, s[22:23]
	s_and_b64 s[22:23], s[24:25], exec
	v_mov_b64_e32 v[94:95], v[30:31]
	v_mov_b32_e32 v66, v77
	v_mov_b32_e32 v67, v32
.LBB167_68:
	s_or_b64 exec, exec, s[80:81]
	v_cndmask_b32_e64 v33, 0, 1, s[20:21]
	s_and_b64 s[20:21], s[22:23], exec
	s_waitcnt lgkmcnt(0)
	v_mov_b64_e32 v[92:93], v[28:29]
	v_mov_b32_e32 v68, v33
	v_mov_b64_e32 v[62:63], v[28:29]
.LBB167_69:
	s_or_b64 exec, exec, s[78:79]
	v_cndmask_b32_e64 v79, 0, 1, s[18:19]
	s_and_b64 s[18:19], s[20:21], exec
	s_waitcnt lgkmcnt(0)
	v_mov_b64_e32 v[98:99], v[26:27]
	v_mov_b32_e32 v69, v79
.LBB167_70:
	s_or_b64 exec, exec, s[76:77]
	v_cndmask_b32_e64 v80, 0, 1, s[16:17]
	s_and_b64 s[16:17], s[18:19], exec
	s_waitcnt lgkmcnt(0)
	v_mov_b64_e32 v[96:97], v[24:25]
	v_mov_b32_e32 v70, v80
	v_mov_b64_e32 v[28:29], v[24:25]
.LBB167_71:
	s_or_b64 exec, exec, s[74:75]
	v_cndmask_b32_e64 v81, 0, 1, s[14:15]
	s_and_b64 s[14:15], s[16:17], exec
	s_waitcnt lgkmcnt(0)
	v_mov_b64_e32 v[102:103], v[22:23]
	v_mov_b32_e32 v72, v81
.LBB167_72:
	s_or_b64 exec, exec, s[72:73]
	v_cndmask_b32_e64 v82, 0, 1, s[12:13]
	s_and_b64 s[12:13], s[14:15], exec
	s_waitcnt lgkmcnt(0)
	v_mov_b64_e32 v[100:101], v[16:17]
	v_mov_b32_e32 v73, v82
	v_mov_b64_e32 v[24:25], v[16:17]
.LBB167_73:
	s_or_b64 exec, exec, s[70:71]
	v_cndmask_b32_e64 v83, 0, 1, s[10:11]
	s_and_b64 s[10:11], s[12:13], exec
	s_waitcnt lgkmcnt(0)
	v_mov_b64_e32 v[106:107], v[14:15]
	v_mov_b32_e32 v74, v83
.LBB167_74:
	s_or_b64 exec, exec, s[68:69]
	v_cndmask_b32_e64 v84, 0, 1, s[8:9]
	s_and_b64 s[8:9], s[10:11], exec
	s_waitcnt lgkmcnt(0)
	v_mov_b64_e32 v[104:105], v[8:9]
	v_mov_b32_e32 v75, v84
	v_mov_b64_e32 v[16:17], v[8:9]
.LBB167_75:
	s_or_b64 exec, exec, s[66:67]
	v_cndmask_b32_e64 v85, 0, 1, s[6:7]
	s_and_b64 s[6:7], s[8:9], exec
	s_waitcnt lgkmcnt(0)
	v_mov_b64_e32 v[4:5], v[6:7]
	v_mov_b32_e32 v76, v85
.LBB167_76:
	s_or_b64 exec, exec, s[60:61]
	v_cndmask_b32_e64 v87, 0, 1, vcc
	s_and_b64 s[0:1], s[6:7], exec
	v_mov_b32_e32 v71, v87
.LBB167_77:
	s_or_b64 exec, exec, s[56:57]
	s_and_b64 vcc, exec, s[30:31]
	v_lshlrev_b32_e32 v1, 3, v0
	s_cbranch_vccnz .LBB167_79
	s_branch .LBB167_82
.LBB167_78:
                                        ; implicit-def: $sgpr28_sgpr29
                                        ; implicit-def: $vgpr12_vgpr13
                                        ; implicit-def: $vgpr77
                                        ; implicit-def: $vgpr90_vgpr91
                                        ; implicit-def: $vgpr78
                                        ; implicit-def: $vgpr32
                                        ; implicit-def: $vgpr94_vgpr95
                                        ; implicit-def: $vgpr33
                                        ; implicit-def: $vgpr79
                                        ; implicit-def: $vgpr98_vgpr99
                                        ; implicit-def: $vgpr80
                                        ; implicit-def: $vgpr81
                                        ; implicit-def: $vgpr102_vgpr103
                                        ; implicit-def: $vgpr82
                                        ; implicit-def: $vgpr83
                                        ; implicit-def: $vgpr106_vgpr107
                                        ; implicit-def: $vgpr84
                                        ; implicit-def: $vgpr85
                                        ; implicit-def: $vgpr4_vgpr5
                                        ; implicit-def: $vgpr87
                                        ; implicit-def: $vgpr64
                                        ; implicit-def: $vgpr66
                                        ; implicit-def: $vgpr18_vgpr19
                                        ; implicit-def: $vgpr65
                                        ; implicit-def: $vgpr20_vgpr21
                                        ; implicit-def: $vgpr67
                                        ; implicit-def: $vgpr30_vgpr31
                                        ; implicit-def: $vgpr68
                                        ; implicit-def: $vgpr62_vgpr63
                                        ; implicit-def: $vgpr69
                                        ; implicit-def: $vgpr26_vgpr27
                                        ; implicit-def: $vgpr70
                                        ; implicit-def: $vgpr28_vgpr29
                                        ; implicit-def: $vgpr72
                                        ; implicit-def: $vgpr22_vgpr23
                                        ; implicit-def: $vgpr73
                                        ; implicit-def: $vgpr24_vgpr25
                                        ; implicit-def: $vgpr74
                                        ; implicit-def: $vgpr14_vgpr15
                                        ; implicit-def: $vgpr75
                                        ; implicit-def: $vgpr16_vgpr17
                                        ; implicit-def: $vgpr76
                                        ; implicit-def: $vgpr6_vgpr7
                                        ; implicit-def: $vgpr71
	s_and_b64 vcc, exec, s[30:31]
	v_lshlrev_b32_e32 v1, 3, v0
	s_cbranch_vccz .LBB167_82
.LBB167_79:
	s_waitcnt lgkmcnt(0)
	v_mov_b32_e32 v2, s91
	v_sub_co_u32_e32 v34, vcc, s90, v1
	s_add_u32 s6, s90, -8
	s_nop 0
	v_subbrev_co_u32_e32 v35, vcc, 0, v2, vcc
	v_add_co_u32_e32 v2, vcc, -8, v34
	s_addc_u32 s7, s91, -1
	s_nop 0
	v_addc_co_u32_e32 v3, vcc, -1, v35, vcc
	v_add_co_u32_e32 v4, vcc, 0xfffff7f8, v34
	s_lshl_b64 s[0:1], s[52:53], 3
	s_nop 0
	v_addc_co_u32_e32 v5, vcc, -1, v35, vcc
	v_add_co_u32_e32 v6, vcc, 0xffffeff8, v34
	s_add_u32 s0, s62, s0
	s_nop 0
	v_addc_co_u32_e32 v7, vcc, -1, v35, vcc
	v_add_co_u32_e32 v8, vcc, 0xffffe7f8, v34
	s_addc_u32 s1, s63, s1
	s_nop 0
	v_addc_co_u32_e32 v9, vcc, -1, v35, vcc
	flat_load_dwordx2 v[10:11], v[2:3]
	flat_load_dwordx2 v[12:13], v[4:5]
	;; [unrolled: 1-line block ×4, first 2 shown]
	v_add_co_u32_e32 v2, vcc, 0xffffdff8, v34
	s_add_u32 s8, s0, -8
	s_nop 0
	v_addc_co_u32_e32 v3, vcc, -1, v35, vcc
	v_add_co_u32_e32 v4, vcc, 0xffffd7f8, v34
	s_addc_u32 s9, s1, -1
	s_nop 0
	v_addc_co_u32_e32 v5, vcc, -1, v35, vcc
	v_add_co_u32_e32 v6, vcc, 0xffffcff8, v34
	s_and_b64 s[0:1], s[50:51], exec
	s_nop 0
	v_addc_co_u32_e32 v7, vcc, -1, v35, vcc
	v_add_co_u32_e32 v8, vcc, 0xffffc7f8, v34
	s_cselect_b32 s0, s90, s8
	s_nop 0
	v_addc_co_u32_e32 v9, vcc, -1, v35, vcc
	flat_load_dwordx2 v[18:19], v[2:3]
	flat_load_dwordx2 v[20:21], v[4:5]
	;; [unrolled: 1-line block ×4, first 2 shown]
	v_add_co_u32_e32 v2, vcc, 0xffffbff8, v34
	s_cselect_b32 s1, s91, s9
	s_nop 0
	v_addc_co_u32_e32 v3, vcc, -1, v35, vcc
	v_add_co_u32_e32 v4, vcc, 0xffffb7f8, v34
	s_cmp_eq_u64 s[52:53], 0
	s_nop 0
	v_addc_co_u32_e32 v5, vcc, -1, v35, vcc
	v_add_co_u32_e32 v6, vcc, 0xffffaff8, v34
	s_cselect_b32 s1, s7, s1
	s_nop 0
	v_addc_co_u32_e32 v7, vcc, -1, v35, vcc
	v_add_co_u32_e32 v8, vcc, 0xffffa7f8, v34
	s_cselect_b32 s0, s6, s0
	s_nop 0
	v_addc_co_u32_e32 v9, vcc, -1, v35, vcc
	flat_load_dwordx2 v[26:27], v[2:3]
	flat_load_dwordx2 v[28:29], v[4:5]
	;; [unrolled: 1-line block ×4, first 2 shown]
	v_add_co_u32_e32 v2, vcc, 0xffff9ff8, v34
	s_movk_i32 s12, 0xf7f8
	s_nop 0
	v_addc_co_u32_e32 v3, vcc, -1, v35, vcc
	v_add_co_u32_e32 v4, vcc, 0xffff97f8, v34
	s_movk_i32 s11, 0xe7f8
	s_nop 0
	v_addc_co_u32_e32 v5, vcc, -1, v35, vcc
	flat_load_dwordx2 v[6:7], v[2:3]
	flat_load_dwordx2 v[8:9], v[4:5]
	v_mov_b32_e32 v2, s0
	v_mov_b32_e32 v3, s1
	s_movk_i32 s10, 0xd7f8
	s_movk_i32 s9, 0xc7f8
	s_movk_i32 s8, 0xb7f8
	s_movk_i32 s7, 0xa7f8
	s_movk_i32 s6, 0x97f8
	s_waitcnt vmcnt(0) lgkmcnt(0)
	ds_write2st64_b64 v1, v[10:11], v[12:13] offset1:4
	ds_write2st64_b64 v1, v[14:15], v[16:17] offset0:8 offset1:12
	ds_write2st64_b64 v1, v[18:19], v[20:21] offset0:16 offset1:20
	;; [unrolled: 1-line block ×6, first 2 shown]
	s_waitcnt lgkmcnt(0)
	s_barrier
	flat_load_dwordx2 v[30:31], v[2:3]
	v_sub_co_u32_e32 v32, vcc, 0, v0
	s_nop 1
	v_subb_co_u32_e64 v33, s[0:1], 0, 0, vcc
	s_movk_i32 s0, 0x68
	s_nop 0
	v_mad_u32_u24 v34, v0, s0, v1
	ds_read_b128 v[2:5], v34
	ds_read_b128 v[6:9], v34 offset:16
	ds_read_b128 v[10:13], v34 offset:32
	;; [unrolled: 1-line block ×6, first 2 shown]
	s_movk_i32 s0, 0xff98
	v_mad_i32_i24 v35, v0, s0, v34
	s_waitcnt lgkmcnt(0)
	ds_write_b64 v35, v[28:29] offset:28672
	s_waitcnt lgkmcnt(0)
	s_barrier
	s_and_saveexec_b64 s[0:1], s[4:5]
	s_cbranch_execz .LBB167_81
; %bb.80:
	s_waitcnt vmcnt(0)
	v_mul_i32_i24_e32 v30, 0xffffff98, v0
	v_add_u32_e32 v30, v34, v30
	ds_read_b64 v[30:31], v30 offset:28664
.LBB167_81:
	s_or_b64 exec, exec, s[0:1]
	v_lshl_add_u64 v[32:33], v[32:33], 3, s[34:35]
	v_add_co_u32_e32 v36, vcc, s12, v32
	s_waitcnt lgkmcnt(0)
	s_nop 0
	v_addc_co_u32_e32 v37, vcc, -1, v33, vcc
	v_add_co_u32_e32 v38, vcc, s11, v32
	s_barrier
	s_nop 0
	v_addc_co_u32_e32 v39, vcc, -1, v33, vcc
	flat_load_dwordx2 v[40:41], v[36:37] offset:2048
	flat_load_dwordx2 v[42:43], v[38:39] offset:2048
	flat_load_dwordx2 v[44:45], v[38:39]
	flat_load_dwordx2 v[46:47], v[36:37]
	v_add_co_u32_e32 v36, vcc, s10, v32
	v_cmp_ne_u64_e64 s[28:29], v[26:27], v[28:29]
	s_nop 0
	v_addc_co_u32_e32 v37, vcc, -1, v33, vcc
	v_add_co_u32_e32 v38, vcc, s9, v32
	s_mov_b64 s[0:1], -1
	s_nop 0
	v_addc_co_u32_e32 v39, vcc, -1, v33, vcc
	flat_load_dwordx2 v[48:49], v[36:37] offset:2048
	flat_load_dwordx2 v[50:51], v[38:39] offset:2048
	flat_load_dwordx2 v[52:53], v[38:39]
	flat_load_dwordx2 v[54:55], v[36:37]
	v_add_co_u32_e32 v36, vcc, s8, v32
	s_nop 1
	v_addc_co_u32_e32 v37, vcc, -1, v33, vcc
	v_add_co_u32_e32 v38, vcc, s7, v32
	s_nop 1
	v_addc_co_u32_e32 v39, vcc, -1, v33, vcc
	v_add_co_u32_e32 v32, vcc, s6, v32
	flat_load_dwordx2 v[56:57], v[36:37] offset:2048
	flat_load_dwordx2 v[58:59], v[38:39] offset:2048
	flat_load_dwordx2 v[60:61], v[38:39]
	flat_load_dwordx2 v[62:63], v[36:37]
	v_addc_co_u32_e32 v33, vcc, -1, v33, vcc
	flat_load_dwordx2 v[36:37], v[32:33] offset:2048
	flat_load_dwordx2 v[38:39], v[32:33]
	v_cmp_ne_u64_e32 vcc, v[24:25], v[26:27]
	s_waitcnt vmcnt(0) lgkmcnt(0)
	ds_write2st64_b64 v1, v[40:41], v[46:47] offset1:4
	ds_write2st64_b64 v1, v[42:43], v[44:45] offset0:8 offset1:12
	ds_write2st64_b64 v1, v[48:49], v[54:55] offset0:16 offset1:20
	;; [unrolled: 1-line block ×6, first 2 shown]
	v_cndmask_b32_e64 v64, 0, 1, vcc
	v_cmp_ne_u64_e32 vcc, v[22:23], v[24:25]
	s_waitcnt lgkmcnt(0)
	s_barrier
	v_cndmask_b32_e64 v77, 0, 1, vcc
	v_cmp_ne_u64_e32 vcc, v[20:21], v[22:23]
	v_mov_b32_e32 v66, v77
	s_nop 0
	v_cndmask_b32_e64 v78, 0, 1, vcc
	v_cmp_ne_u64_e32 vcc, v[18:19], v[20:21]
	v_mov_b32_e32 v65, v78
	s_nop 0
	;; [unrolled: 4-line block ×10, first 2 shown]
	v_cndmask_b32_e64 v85, 0, 1, vcc
	v_cmp_ne_u64_e32 vcc, v[30:31], v[2:3]
	ds_read_b128 v[2:5], v34
	ds_read_b128 v[104:107], v34 offset:16
	ds_read_b128 v[92:95], v34 offset:64
	;; [unrolled: 1-line block ×6, first 2 shown]
	v_cndmask_b32_e64 v87, 0, 1, vcc
	s_waitcnt lgkmcnt(3)
	v_mov_b64_e32 v[18:19], v[90:91]
	v_mov_b64_e32 v[20:21], v[88:89]
	v_mov_b64_e32 v[30:31], v[94:95]
	v_mov_b64_e32 v[62:63], v[92:93]
	s_waitcnt lgkmcnt(1)
	v_mov_b64_e32 v[26:27], v[98:99]
	v_mov_b64_e32 v[28:29], v[96:97]
	;; [unrolled: 1-line block ×6, first 2 shown]
	v_mov_b32_e32 v76, v85
	v_mov_b64_e32 v[6:7], v[4:5]
	v_mov_b32_e32 v71, v87
.LBB167_82:
	v_mov_b32_e32 v60, 0
	v_mov_b64_e32 v[8:9], 0
	s_and_saveexec_b64 s[6:7], s[0:1]
	s_cbranch_execz .LBB167_84
; %bb.83:
	v_cndmask_b32_e64 v60, 0, 1, s[28:29]
	v_mov_b32_e32 v71, v87
	v_mov_b64_e32 v[6:7], v[4:5]
	v_mov_b32_e32 v76, v85
	v_mov_b64_e32 v[16:17], v[104:105]
	;; [unrolled: 2-line block ×11, first 2 shown]
	v_mov_b32_e32 v66, v77
	s_waitcnt lgkmcnt(0)
	v_mov_b64_e32 v[8:9], v[12:13]
.LBB167_84:
	s_or_b64 exec, exec, s[6:7]
	v_and_b32_e32 v80, 1, v75
	v_and_b32_e32 v79, 1, v72
	;; [unrolled: 1-line block ×4, first 2 shown]
	s_cmp_lg_u32 s47, 0
	v_cmp_eq_u32_e64 s[0:1], 1, v80
	v_cmp_eq_u32_e64 s[18:19], 1, v79
	;; [unrolled: 1-line block ×4, first 2 shown]
	v_cmp_eq_u16_e64 s[6:7], 0, v60
	v_lshrrev_b32_e32 v61, 1, v0
	v_cmp_gt_u32_e32 vcc, 64, v0
	s_waitcnt lgkmcnt(0)
	s_barrier
	s_cbranch_scc0 .LBB167_152
; %bb.85:
	v_mov_b32_e32 v12, 0
	v_cmp_gt_i64_e64 s[8:9], v[6:7], v[2:3]
	s_movk_i32 s60, 0xff
	v_bitop3_b16 v13, v76, s60, v71 bitop3:0xc8
	v_cndmask_b32_e64 v4, v2, v6, s[8:9]
	v_cndmask_b32_e64 v5, v3, v7, s[8:9]
	v_cmp_eq_u16_sdwa s[8:9], v76, v12 src0_sel:BYTE_0 src1_sel:DWORD
	v_cmp_ne_u16_e64 s[12:13], 0, v13
	s_or_b64 s[34:35], s[12:13], s[0:1]
	v_cndmask_b32_e64 v5, v7, v5, s[8:9]
	v_cndmask_b32_e64 v4, v6, v4, s[8:9]
	v_cmp_gt_i64_e64 s[10:11], v[16:17], v[4:5]
	v_cmp_eq_u16_sdwa s[12:13], v74, v12 src0_sel:BYTE_0 src1_sel:DWORD
	v_cmp_eq_u16_sdwa s[14:15], v73, v12 src0_sel:BYTE_0 src1_sel:DWORD
	v_cndmask_b32_e64 v4, v4, v16, s[10:11]
	v_cndmask_b32_e64 v5, v5, v17, s[10:11]
	v_cmp_eq_u16_sdwa s[10:11], v75, v12 src0_sel:BYTE_0 src1_sel:DWORD
	v_bitop3_b16 v13, v73, s60, v74 bitop3:0xc8
	v_cmp_eq_u16_sdwa s[20:21], v69, v12 src0_sel:BYTE_0 src1_sel:DWORD
	v_cndmask_b32_e64 v5, v17, v5, s[10:11]
	v_cndmask_b32_e64 v4, v16, v4, s[10:11]
	v_cmp_gt_i64_e64 s[0:1], v[14:15], v[4:5]
	v_cmp_eq_u16_sdwa s[26:27], v65, v12 src0_sel:BYTE_0 src1_sel:DWORD
	s_nop 0
	v_cndmask_b32_e64 v4, v4, v14, s[0:1]
	v_cndmask_b32_e64 v5, v5, v15, s[0:1]
	v_cndmask_b32_e64 v5, v15, v5, s[12:13]
	v_cndmask_b32_e64 v4, v14, v4, s[12:13]
	v_cmp_gt_i64_e64 s[0:1], v[24:25], v[4:5]
	s_nop 1
	v_cndmask_b32_e64 v4, v4, v24, s[0:1]
	v_cndmask_b32_e64 v5, v5, v25, s[0:1]
	v_cndmask_b32_e64 v5, v25, v5, s[14:15]
	v_cndmask_b32_e64 v4, v24, v4, s[14:15]
	v_cmp_gt_i64_e64 s[16:17], v[22:23], v[4:5]
	v_cmp_ne_u16_e64 s[0:1], 0, v13
	s_or_b64 s[50:51], s[0:1], s[18:19]
	v_cndmask_b32_e64 v4, v4, v22, s[16:17]
	v_cndmask_b32_e64 v5, v5, v23, s[16:17]
	v_cmp_eq_u16_sdwa s[16:17], v72, v12 src0_sel:BYTE_0 src1_sel:DWORD
	v_cmp_eq_u16_sdwa s[18:19], v70, v12 src0_sel:BYTE_0 src1_sel:DWORD
	v_bitop3_b16 v13, v69, s60, v70 bitop3:0xc8
	v_cndmask_b32_e64 v5, v23, v5, s[16:17]
	v_cndmask_b32_e64 v4, v22, v4, s[16:17]
	v_cmp_gt_i64_e64 s[0:1], v[28:29], v[4:5]
	s_nop 1
	v_cndmask_b32_e64 v4, v4, v28, s[0:1]
	v_cndmask_b32_e64 v5, v5, v29, s[0:1]
	v_cndmask_b32_e64 v5, v29, v5, s[18:19]
	v_cndmask_b32_e64 v4, v28, v4, s[18:19]
	v_cmp_gt_i64_e64 s[0:1], v[26:27], v[4:5]
	s_nop 1
	v_cndmask_b32_e64 v4, v4, v26, s[0:1]
	v_cndmask_b32_e64 v5, v5, v27, s[0:1]
	v_cndmask_b32_e64 v5, v27, v5, s[20:21]
	v_cndmask_b32_e64 v4, v26, v4, s[20:21]
	v_cmp_gt_i64_e64 s[22:23], v[62:63], v[4:5]
	v_cmp_ne_u16_e64 s[0:1], 0, v13
	s_or_b64 s[52:53], s[0:1], s[24:25]
	v_cndmask_b32_e64 v4, v4, v62, s[22:23]
	v_cndmask_b32_e64 v5, v5, v63, s[22:23]
	v_cmp_eq_u16_sdwa s[22:23], v68, v12 src0_sel:BYTE_0 src1_sel:DWORD
	v_cmp_eq_u16_sdwa s[24:25], v67, v12 src0_sel:BYTE_0 src1_sel:DWORD
	v_bitop3_b16 v13, v65, s60, v67 bitop3:0xc8
	v_cndmask_b32_e64 v5, v63, v5, s[22:23]
	v_cndmask_b32_e64 v4, v62, v4, s[22:23]
	v_cmp_gt_i64_e64 s[0:1], v[30:31], v[4:5]
	;; [unrolled: 22-line block ×3, first 2 shown]
	s_nop 1
	v_cndmask_b32_e64 v4, v4, v10, s[0:1]
	v_cndmask_b32_e64 v5, v5, v11, s[0:1]
	;; [unrolled: 1-line block ×4, first 2 shown]
	v_cmp_gt_i64_e64 s[0:1], v[8:9], v[4:5]
	s_nop 1
	v_cndmask_b32_e64 v4, v4, v8, s[0:1]
	v_cndmask_b32_e64 v5, v5, v9, s[0:1]
	v_cmp_ne_u16_e64 s[0:1], 0, v12
	s_or_b64 s[0:1], s[0:1], s[56:57]
	s_or_b64 s[0:1], s[0:1], s[52:53]
	;; [unrolled: 1-line block ×4, first 2 shown]
	v_and_b32_e32 v12, 0x70, v61
	v_cndmask_b32_e64 v5, v9, v5, s[6:7]
	v_cndmask_b32_e64 v4, v8, v4, s[6:7]
	;; [unrolled: 1-line block ×3, first 2 shown]
	v_lshl_add_u32 v12, v0, 4, v12
	ds_write_b64 v12, v[4:5]
	ds_write_b8 v12, v38 offset:8
	s_waitcnt lgkmcnt(0)
	s_barrier
	s_and_saveexec_b64 s[52:53], vcc
	s_cbranch_execz .LBB167_99
; %bb.86:
	v_lshlrev_b32_e32 v12, 1, v0
	v_and_b32_e32 v12, 0x1f0, v12
	v_lshlrev_b32_e32 v13, 6, v0
	v_add_u32_e32 v37, v12, v13
	ds_read2_b64 v[32:35], v37 offset0:2 offset1:4
	ds_read_b64 v[12:13], v37
	ds_read_b32 v39, v37 offset:8
	ds_read_u8 v36, v37 offset:24
	ds_read_u8 v42, v37 offset:40
	ds_read_b64 v[40:41], v37 offset:48
	ds_read_u8 v43, v37 offset:56
	s_waitcnt lgkmcnt(4)
	v_and_b32_e32 v44, 1, v39
	v_cmp_gt_i64_e64 s[34:35], v[32:33], v[12:13]
	v_cmp_eq_u32_e64 s[0:1], 1, v44
	s_nop 0
	v_cndmask_b32_e64 v44, v12, v32, s[34:35]
	v_cndmask_b32_e64 v45, v13, v33, s[34:35]
	s_waitcnt lgkmcnt(3)
	v_cmp_eq_u16_e64 s[34:35], 0, v36
	s_nop 1
	v_cndmask_b32_e64 v33, v33, v45, s[34:35]
	v_cndmask_b32_e64 v32, v32, v44, s[34:35]
	v_cmp_gt_i64_e64 s[34:35], v[34:35], v[32:33]
	s_nop 1
	v_cndmask_b32_e64 v32, v32, v34, s[34:35]
	v_cndmask_b32_e64 v33, v33, v35, s[34:35]
	s_waitcnt lgkmcnt(2)
	v_cmp_eq_u16_e64 s[34:35], 0, v42
	s_nop 1
	v_cndmask_b32_e64 v33, v35, v33, s[34:35]
	v_cndmask_b32_e64 v32, v34, v32, s[34:35]
	s_waitcnt lgkmcnt(1)
	v_cmp_gt_i64_e64 s[34:35], v[40:41], v[32:33]
	s_waitcnt lgkmcnt(0)
	v_bitop3_b16 v34, v42, v43, v36 bitop3:0xfe
	v_and_b32_e32 v34, 1, v34
	v_cndmask_b32_e64 v32, v32, v40, s[34:35]
	v_cndmask_b32_e64 v33, v33, v41, s[34:35]
	v_cmp_eq_u16_e64 s[34:35], 0, v43
	s_nop 1
	v_cndmask_b32_e64 v33, v41, v33, s[34:35]
	v_cndmask_b32_e64 v32, v40, v32, s[34:35]
	v_cmp_eq_u32_e64 s[34:35], 1, v34
	s_or_b64 s[34:35], s[34:35], s[0:1]
	v_mbcnt_lo_u32_b32 v34, -1, 0
	v_mbcnt_hi_u32_b32 v41, -1, v34
	v_and_b32_e32 v40, 0xffffff00, v39
	v_cndmask_b32_e64 v35, 0, 1, s[34:35]
	v_and_b32_e32 v43, 15, v41
	v_or_b32_e32 v35, v40, v35
	v_cndmask_b32_e64 v42, 0, 1, s[34:35]
	v_mov_b32_dpp v34, v32 row_shr:1 row_mask:0xf bank_mask:0xf
	v_mov_b32_dpp v36, v33 row_shr:1 row_mask:0xf bank_mask:0xf
	;; [unrolled: 1-line block ×3, first 2 shown]
	v_cmp_ne_u32_e64 s[0:1], 0, v43
	s_and_saveexec_b64 s[56:57], s[0:1]
; %bb.87:
	v_mov_b32_e32 v35, v36
	v_cmp_gt_i64_e64 s[0:1], v[32:33], v[34:35]
	s_or_b64 s[0:1], s[34:35], s[0:1]
	v_bitop3_b16 v42, v44, v42, 1 bitop3:0xec
	v_cndmask_b32_e64 v33, v36, v33, s[0:1]
	v_cndmask_b32_e64 v32, v34, v32, s[0:1]
	v_or_b32_sdwa v35, v40, v42 dst_sel:DWORD dst_unused:UNUSED_PAD src0_sel:DWORD src1_sel:WORD_0
; %bb.88:
	s_or_b64 exec, exec, s[56:57]
	v_mov_b32_dpp v34, v32 row_shr:2 row_mask:0xf bank_mask:0xf
	v_mov_b32_dpp v36, v33 row_shr:2 row_mask:0xf bank_mask:0xf
	v_mov_b32_dpp v44, v35 row_shr:2 row_mask:0xf bank_mask:0xf
	v_cmp_lt_u32_e64 s[0:1], 1, v43
	s_and_saveexec_b64 s[56:57], s[0:1]
	s_cbranch_execz .LBB167_90
; %bb.89:
	v_mov_b32_e32 v35, v36
	v_cmp_gt_i64_e64 s[0:1], v[32:33], v[34:35]
	s_nop 1
	v_cndmask_b32_e64 v35, v36, v33, s[0:1]
	v_cndmask_b32_e64 v34, v34, v32, s[0:1]
	v_cmp_eq_u16_e64 s[0:1], 0, v42
	s_nop 1
	v_cndmask_b32_e64 v32, v32, v34, s[0:1]
	v_and_b32_e32 v34, 1, v42
	v_cndmask_b32_e64 v33, v33, v35, s[0:1]
	v_cmp_eq_u32_e64 s[0:1], 1, v34
	v_and_b32_e32 v34, 1, v44
	v_cmp_eq_u32_e64 s[34:35], 1, v34
	s_or_b64 s[0:1], s[0:1], s[34:35]
	v_cndmask_b32_e64 v34, 0, 1, s[0:1]
	v_cndmask_b32_e64 v42, 0, 1, s[0:1]
	v_or_b32_e32 v35, v40, v34
.LBB167_90:
	s_or_b64 exec, exec, s[56:57]
	v_mov_b32_dpp v34, v32 row_shr:4 row_mask:0xf bank_mask:0xf
	v_mov_b32_dpp v36, v33 row_shr:4 row_mask:0xf bank_mask:0xf
	v_mov_b32_dpp v44, v35 row_shr:4 row_mask:0xf bank_mask:0xf
	v_cmp_lt_u32_e64 s[0:1], 3, v43
	s_and_saveexec_b64 s[56:57], s[0:1]
	s_cbranch_execz .LBB167_92
; %bb.91:
	v_mov_b32_e32 v35, v36
	v_cmp_gt_i64_e64 s[0:1], v[32:33], v[34:35]
	s_nop 1
	v_cndmask_b32_e64 v35, v36, v33, s[0:1]
	v_cndmask_b32_e64 v34, v34, v32, s[0:1]
	v_cmp_eq_u16_e64 s[0:1], 0, v42
	s_nop 1
	v_cndmask_b32_e64 v32, v32, v34, s[0:1]
	v_and_b32_e32 v34, 1, v42
	v_cndmask_b32_e64 v33, v33, v35, s[0:1]
	v_cmp_eq_u32_e64 s[0:1], 1, v34
	v_and_b32_e32 v34, 1, v44
	v_cmp_eq_u32_e64 s[34:35], 1, v34
	s_or_b64 s[0:1], s[0:1], s[34:35]
	v_cndmask_b32_e64 v34, 0, 1, s[0:1]
	v_cndmask_b32_e64 v42, 0, 1, s[0:1]
	v_or_b32_e32 v35, v40, v34
.LBB167_92:
	;; [unrolled: 26-line block ×3, first 2 shown]
	s_or_b64 exec, exec, s[56:57]
	v_and_b32_e32 v44, 16, v41
	v_mov_b32_dpp v34, v32 row_bcast:15 row_mask:0xf bank_mask:0xf
	v_mov_b32_dpp v36, v33 row_bcast:15 row_mask:0xf bank_mask:0xf
	;; [unrolled: 1-line block ×3, first 2 shown]
	v_cmp_ne_u32_e64 s[0:1], 0, v44
	s_and_saveexec_b64 s[56:57], s[0:1]
	s_cbranch_execz .LBB167_96
; %bb.95:
	v_mov_b32_e32 v35, v36
	v_cmp_gt_i64_e64 s[0:1], v[32:33], v[34:35]
	s_nop 1
	v_cndmask_b32_e64 v35, v36, v33, s[0:1]
	v_cndmask_b32_e64 v34, v34, v32, s[0:1]
	v_cmp_eq_u16_e64 s[0:1], 0, v42
	s_nop 1
	v_cndmask_b32_e64 v32, v32, v34, s[0:1]
	v_and_b32_e32 v34, 1, v42
	v_cndmask_b32_e64 v33, v33, v35, s[0:1]
	v_cmp_eq_u32_e64 s[0:1], 1, v34
	v_and_b32_e32 v34, 1, v43
	v_cmp_eq_u32_e64 s[34:35], 1, v34
	s_or_b64 s[0:1], s[0:1], s[34:35]
	v_cndmask_b32_e64 v34, 0, 1, s[0:1]
	v_cndmask_b32_e64 v42, 0, 1, s[0:1]
	v_or_b32_e32 v35, v40, v34
.LBB167_96:
	s_or_b64 exec, exec, s[56:57]
	v_mov_b32_dpp v34, v32 row_bcast:31 row_mask:0xf bank_mask:0xf
	v_mov_b32_dpp v36, v33 row_bcast:31 row_mask:0xf bank_mask:0xf
	;; [unrolled: 1-line block ×3, first 2 shown]
	v_cmp_lt_u32_e64 s[0:1], 31, v41
	s_and_saveexec_b64 s[56:57], s[0:1]
	s_cbranch_execz .LBB167_98
; %bb.97:
	v_mov_b32_e32 v35, v36
	v_cmp_gt_i64_e64 s[0:1], v[32:33], v[34:35]
	s_nop 1
	v_cndmask_b32_e64 v35, v36, v33, s[0:1]
	v_cndmask_b32_e64 v34, v34, v32, s[0:1]
	v_cmp_eq_u16_e64 s[0:1], 0, v42
	s_nop 1
	v_cndmask_b32_e64 v32, v32, v34, s[0:1]
	v_and_b32_e32 v34, 1, v42
	v_cndmask_b32_e64 v33, v33, v35, s[0:1]
	v_cmp_eq_u32_e64 s[0:1], 1, v34
	v_and_b32_e32 v34, 1, v43
	v_cmp_eq_u32_e64 s[34:35], 1, v34
	s_or_b64 s[0:1], s[0:1], s[34:35]
	v_cndmask_b32_e64 v42, 0, 1, s[0:1]
.LBB167_98:
	s_or_b64 exec, exec, s[56:57]
	v_add_u32_e32 v34, -1, v41
	v_and_b32_e32 v35, 64, v41
	v_cmp_lt_i32_e64 s[0:1], v34, v35
	v_mov_b32_e32 v36, 0
	s_nop 0
	v_cndmask_b32_e64 v34, v34, v41, s[0:1]
	v_lshlrev_b32_e32 v35, 2, v34
	ds_bpermute_b32 v34, v35, v33
	ds_bpermute_b32 v32, v35, v32
	v_or_b32_sdwa v33, v40, v42 dst_sel:DWORD dst_unused:UNUSED_PAD src0_sel:DWORD src1_sel:WORD_0
	ds_bpermute_b32 v35, v35, v33
	; wave barrier
	s_waitcnt lgkmcnt(2)
	v_mov_b32_e32 v33, v34
	s_waitcnt lgkmcnt(1)
	v_cmp_gt_i64_e64 s[0:1], v[12:13], v[32:33]
	s_nop 1
	v_cndmask_b32_e64 v33, v34, v13, s[0:1]
	v_cndmask_b32_e64 v32, v32, v12, s[0:1]
	v_cmp_eq_u32_sdwa s[0:1], v39, v36 src0_sel:BYTE_0 src1_sel:DWORD
	s_nop 1
	v_cndmask_b32_e64 v12, v12, v32, s[0:1]
	v_cndmask_b32_e64 v13, v13, v33, s[0:1]
	s_waitcnt lgkmcnt(0)
	v_or_b32_e32 v32, v35, v39
	v_and_b32_e32 v32, 1, v32
	v_cndmask_b32_e64 v13, v13, v5, s[36:37]
	v_cndmask_b32_e64 v12, v12, v4, s[36:37]
	;; [unrolled: 1-line block ×3, first 2 shown]
	ds_write_b64 v37, v[12:13]
	ds_write_b8 v37, v40 offset:8
	; wave barrier
	ds_read2_b64 v[32:35], v37 offset0:2 offset1:4
	ds_read_u8 v41, v37 offset:24
	ds_read_u8 v42, v37 offset:40
	ds_read_b64 v[38:39], v37 offset:48
	ds_read_u8 v43, v37 offset:56
	s_waitcnt lgkmcnt(4)
	v_cmp_gt_i64_e64 s[0:1], v[32:33], v[12:13]
	s_waitcnt lgkmcnt(3)
	v_or_b32_e32 v44, v41, v40
	v_cndmask_b32_e64 v12, v12, v32, s[0:1]
	v_cndmask_b32_e64 v13, v13, v33, s[0:1]
	v_cmp_eq_u16_sdwa s[0:1], v41, v36 src0_sel:BYTE_0 src1_sel:DWORD
	s_nop 1
	v_cndmask_b32_e64 v13, v33, v13, s[0:1]
	v_cndmask_b32_e64 v12, v32, v12, s[0:1]
	v_bitop3_b16 v32, v41, 1, v40 bitop3:0xc8
	v_cmp_gt_i64_e64 s[0:1], v[34:35], v[12:13]
	ds_write_b8 v37, v32 offset:24
	s_nop 0
	v_cndmask_b32_e64 v32, v12, v34, s[0:1]
	v_cndmask_b32_e64 v33, v13, v35, s[0:1]
	s_waitcnt lgkmcnt(3)
	v_cmp_eq_u16_sdwa s[0:1], v42, v36 src0_sel:BYTE_0 src1_sel:DWORD
	s_nop 1
	v_cndmask_b32_e64 v33, v35, v33, s[0:1]
	v_cndmask_b32_e64 v32, v34, v32, s[0:1]
	s_waitcnt lgkmcnt(2)
	v_cmp_gt_i64_e64 s[0:1], v[38:39], v[32:33]
	v_bitop3_b16 v35, v42, 1, v44 bitop3:0xc8
	ds_write2_b64 v37, v[12:13], v[32:33] offset0:2 offset1:4
	ds_write_b8 v37, v35 offset:40
	v_cndmask_b32_e64 v12, v32, v38, s[0:1]
	v_cndmask_b32_e64 v13, v33, v39, s[0:1]
	s_waitcnt lgkmcnt(3)
	v_cmp_eq_u16_e64 s[0:1], 0, v43
	v_bitop3_b16 v34, v42, v41, v40 bitop3:0xfe
	v_bitop3_b16 v32, v43, 1, v34 bitop3:0xc8
	v_cndmask_b32_e64 v13, v39, v13, s[0:1]
	v_cndmask_b32_e64 v12, v38, v12, s[0:1]
	ds_write_b64 v37, v[12:13] offset:48
	ds_write_b8 v37, v32 offset:56
.LBB167_99:
	s_or_b64 exec, exec, s[52:53]
	s_waitcnt lgkmcnt(0)
	s_barrier
	s_and_saveexec_b64 s[34:35], s[4:5]
	s_cbranch_execz .LBB167_101
; %bb.100:
	v_add_u32_e32 v4, -1, v0
	v_lshrrev_b32_e32 v5, 1, v4
	v_and_b32_e32 v5, 0x7ffffff0, v5
	v_lshl_add_u32 v4, v4, 4, v5
	ds_read_u8 v12, v4 offset:8
	ds_read_b64 v[4:5], v4
	s_andn2_b64 s[50:51], s[50:51], exec
	s_waitcnt lgkmcnt(1)
	v_and_b32_e32 v12, 1, v12
	v_cmp_eq_u32_e64 s[0:1], 1, v12
	s_and_b64 s[0:1], s[0:1], exec
	s_or_b64 s[50:51], s[50:51], s[0:1]
.LBB167_101:
	s_or_b64 exec, exec, s[34:35]
	s_and_saveexec_b64 s[52:53], vcc
	s_cbranch_execz .LBB167_157
; %bb.102:
	s_movk_i32 s0, 0x1000
	v_add_u32_e64 v12, s0, 0
	ds_read2_b64 v[32:35], v12 offset0:12 offset1:13
	v_mbcnt_lo_u32_b32 v12, -1, 0
	v_mbcnt_hi_u32_b32 v13, -1, v12
	v_mov_b32_e32 v37, 0
	s_mov_b32 s57, 0
	v_cmp_eq_u32_e64 s[34:35], 0, v13
	s_and_saveexec_b64 s[0:1], s[34:35]
	s_cbranch_execz .LBB167_104
; %bb.103:
	s_add_i32 s56, s47, 64
	s_lshl_b64 s[60:61], s[56:57], 4
	s_add_u32 s60, s40, s60
	s_addc_u32 s61, s41, s61
	s_waitcnt lgkmcnt(0)
	global_store_dword v37, v32, s[60:61] sc1
	global_store_dword v37, v33, s[60:61] offset:4 sc1
	global_store_dword v37, v34, s[60:61] offset:8 sc1
	;; [unrolled: 1-line block ×3, first 2 shown]
	v_mov_b32_e32 v12, 1
	v_mov_b32_e32 v35, s56
	s_waitcnt vmcnt(0)
	global_store_byte v35, v12, s[44:45] sc1
.LBB167_104:
	s_or_b64 exec, exec, s[0:1]
	v_xad_u32 v12, v13, -1, s47
	v_add_u32_e32 v36, 64, v12
	s_waitcnt lgkmcnt(0)
	global_load_ubyte v35, v36, s[44:45] sc1
	s_waitcnt vmcnt(0)
	v_cmp_eq_u16_e32 vcc, 0, v35
	s_and_saveexec_b64 s[0:1], vcc
	s_cbranch_execz .LBB167_108
; %bb.105:
	v_lshl_add_u64 v[38:39], s[44:45], 0, v[36:37]
	s_mov_b64 s[56:57], 0
.LBB167_106:                            ; =>This Inner Loop Header: Depth=1
	global_load_ubyte v35, v[38:39], off sc1
	s_waitcnt vmcnt(0)
	v_cmp_ne_u16_e32 vcc, 0, v35
	s_or_b64 s[56:57], vcc, s[56:57]
	s_andn2_b64 exec, exec, s[56:57]
	s_cbranch_execnz .LBB167_106
; %bb.107:
	s_or_b64 exec, exec, s[56:57]
.LBB167_108:
	s_or_b64 exec, exec, s[0:1]
	v_mov_b32_e32 v38, s43
	v_mov_b32_e32 v39, s41
	v_cmp_eq_u16_e32 vcc, 1, v35
	v_mov_b32_e32 v40, s40
	s_waitcnt vmcnt(0)
	v_cndmask_b32_e32 v39, v38, v39, vcc
	v_mov_b32_e32 v38, s42
	v_cndmask_b32_e32 v38, v38, v40, vcc
	v_lshl_add_u64 v[36:37], v[36:37], 4, v[38:39]
	global_load_dword v40, v[36:37], off sc1
	global_load_dword v41, v[36:37], off offset:4 sc1
	global_load_dword v43, v[36:37], off offset:8 sc1
	s_nop 0
	global_load_dword v36, v[36:37], off offset:12 sc1
	v_cmp_eq_u16_e32 vcc, 2, v35
	s_waitcnt vmcnt(0)
	v_lshlrev_b64 v[36:37], v13, -1
	v_and_b32_e32 v45, 63, v13
	v_and_b32_e32 v38, vcc_hi, v37
	v_and_b32_e32 v44, vcc_lo, v36
	v_cmp_ne_u32_e32 vcc, 63, v45
	v_or_b32_e32 v38, 0x80000000, v38
	v_ffbl_b32_e32 v48, v38
	v_addc_co_u32_e32 v39, vcc, 0, v13, vcc
	v_lshlrev_b32_e32 v46, 2, v39
	v_add_u32_e32 v48, 32, v48
	v_ffbl_b32_e32 v44, v44
	v_min_u32_e32 v44, v44, v48
	v_cmp_lt_u32_e32 vcc, v45, v44
	ds_bpermute_b32 v38, v46, v40
	ds_bpermute_b32 v42, v46, v41
	v_and_b32_e32 v39, 0xff, v43
	ds_bpermute_b32 v47, v46, v39
	s_and_saveexec_b64 s[0:1], vcc
	s_cbranch_execz .LBB167_110
; %bb.109:
	s_waitcnt lgkmcnt(1)
	v_mov_b32_e32 v39, v42
	v_mov_b32_e32 v48, 0
	v_cmp_gt_i64_e32 vcc, v[40:41], v[38:39]
	s_nop 1
	v_cndmask_b32_e32 v39, v42, v41, vcc
	v_cndmask_b32_e32 v38, v38, v40, vcc
	v_cmp_eq_u16_sdwa vcc, v43, v48 src0_sel:BYTE_0 src1_sel:DWORD
	s_nop 1
	v_cndmask_b32_e32 v40, v40, v38, vcc
	s_waitcnt lgkmcnt(0)
	v_or_b32_e32 v38, v47, v43
	v_and_b32_e32 v38, 1, v38
	v_cndmask_b32_e32 v41, v41, v39, vcc
	v_bitop3_b32 v39, v47, 1, v43 bitop3:0xc8
	v_mov_b32_e32 v43, v38
.LBB167_110:
	s_or_b64 exec, exec, s[0:1]
	v_cmp_gt_u32_e32 vcc, 62, v45
	v_add_u32_e32 v48, 2, v45
	s_waitcnt lgkmcnt(2)
	v_cndmask_b32_e64 v38, 0, 2, vcc
	s_waitcnt lgkmcnt(0)
	v_add_lshl_u32 v47, v38, v13, 2
	ds_bpermute_b32 v38, v47, v40
	ds_bpermute_b32 v42, v47, v41
	ds_bpermute_b32 v49, v47, v39
	v_cmp_le_u32_e32 vcc, v48, v44
	s_and_saveexec_b64 s[56:57], vcc
	s_cbranch_execz .LBB167_112
; %bb.111:
	s_waitcnt lgkmcnt(1)
	v_mov_b32_e32 v39, v42
	v_mov_b32_e32 v50, 0
	v_cmp_gt_i64_e32 vcc, v[40:41], v[38:39]
	s_nop 1
	v_cndmask_b32_e32 v39, v42, v41, vcc
	v_cndmask_b32_e32 v38, v38, v40, vcc
	v_cmp_eq_u16_sdwa vcc, v43, v50 src0_sel:BYTE_0 src1_sel:DWORD
	s_nop 1
	v_cndmask_b32_e32 v40, v40, v38, vcc
	v_and_b32_e32 v38, 1, v43
	v_cndmask_b32_e32 v41, v41, v39, vcc
	v_cmp_eq_u32_e32 vcc, 1, v38
	s_waitcnt lgkmcnt(0)
	v_and_b32_e32 v38, 1, v49
	v_cmp_eq_u32_e64 s[0:1], 1, v38
	s_or_b64 s[0:1], vcc, s[0:1]
	s_nop 0
	v_cndmask_b32_e64 v43, 0, 1, s[0:1]
	v_cndmask_b32_e64 v39, 0, 1, s[0:1]
.LBB167_112:
	s_or_b64 exec, exec, s[56:57]
	v_cmp_gt_u32_e32 vcc, 60, v45
	v_add_u32_e32 v50, 4, v45
	s_waitcnt lgkmcnt(2)
	v_cndmask_b32_e64 v38, 0, 4, vcc
	s_waitcnt lgkmcnt(0)
	v_add_lshl_u32 v49, v38, v13, 2
	ds_bpermute_b32 v38, v49, v40
	ds_bpermute_b32 v42, v49, v41
	ds_bpermute_b32 v51, v49, v39
	v_cmp_le_u32_e32 vcc, v50, v44
	s_and_saveexec_b64 s[56:57], vcc
	s_cbranch_execz .LBB167_114
; %bb.113:
	s_waitcnt lgkmcnt(1)
	v_mov_b32_e32 v39, v42
	v_mov_b32_e32 v52, 0
	v_cmp_gt_i64_e32 vcc, v[40:41], v[38:39]
	s_nop 1
	v_cndmask_b32_e32 v39, v42, v41, vcc
	v_cndmask_b32_e32 v38, v38, v40, vcc
	v_cmp_eq_u16_sdwa vcc, v43, v52 src0_sel:BYTE_0 src1_sel:DWORD
	s_nop 1
	v_cndmask_b32_e32 v40, v40, v38, vcc
	v_and_b32_e32 v38, 1, v43
	v_cndmask_b32_e32 v41, v41, v39, vcc
	v_cmp_eq_u32_e32 vcc, 1, v38
	s_waitcnt lgkmcnt(0)
	v_and_b32_e32 v38, 1, v51
	v_cmp_eq_u32_e64 s[0:1], 1, v38
	s_or_b64 s[0:1], vcc, s[0:1]
	s_nop 0
	v_cndmask_b32_e64 v43, 0, 1, s[0:1]
	v_cndmask_b32_e64 v39, 0, 1, s[0:1]
.LBB167_114:
	;; [unrolled: 35-line block ×4, first 2 shown]
	s_or_b64 exec, exec, s[56:57]
	s_waitcnt lgkmcnt(2)
	v_mov_b32_e32 v38, 0x80
	v_lshl_or_b32 v56, v13, 2, v38
	ds_bpermute_b32 v38, v56, v40
	s_waitcnt lgkmcnt(2)
	ds_bpermute_b32 v42, v56, v41
	ds_bpermute_b32 v13, v56, v39
	v_add_u32_e32 v57, 32, v45
	v_cmp_le_u32_e32 vcc, v57, v44
	s_and_saveexec_b64 s[56:57], vcc
	s_cbranch_execz .LBB167_120
; %bb.119:
	s_waitcnt lgkmcnt(1)
	v_mov_b32_e32 v39, v42
	v_mov_b32_e32 v44, 0
	v_cmp_gt_i64_e32 vcc, v[40:41], v[38:39]
	s_waitcnt lgkmcnt(0)
	v_and_b32_e32 v13, 1, v13
	v_cmp_eq_u32_e64 s[0:1], 1, v13
	v_cndmask_b32_e32 v39, v42, v41, vcc
	v_cndmask_b32_e32 v38, v38, v40, vcc
	v_cmp_eq_u16_sdwa vcc, v43, v44 src0_sel:BYTE_0 src1_sel:DWORD
	s_nop 1
	v_cndmask_b32_e32 v40, v40, v38, vcc
	v_and_b32_e32 v38, 1, v43
	v_cndmask_b32_e32 v41, v41, v39, vcc
	v_cmp_eq_u32_e32 vcc, 1, v38
	s_or_b64 s[0:1], vcc, s[0:1]
	v_cndmask_b32_e64 v43, 0, 1, s[0:1]
.LBB167_120:
	s_or_b64 exec, exec, s[56:57]
	s_waitcnt lgkmcnt(0)
	v_mov_b32_e32 v13, 0
	v_mov_b32_e32 v58, 2
	s_branch .LBB167_123
.LBB167_121:                            ;   in Loop: Header=BB167_123 Depth=1
	s_or_b64 exec, exec, s[60:61]
	v_cmp_gt_i64_e32 vcc, v[38:39], v[40:41]
	s_waitcnt lgkmcnt(2)
	v_and_b32_e32 v42, 1, v55
	v_subrev_u32_e32 v12, 64, v12
	v_cndmask_b32_e32 v40, v40, v38, vcc
	v_cndmask_b32_e32 v41, v41, v39, vcc
	v_cmp_eq_u16_sdwa vcc, v55, v13 src0_sel:BYTE_0 src1_sel:DWORD
	s_nop 1
	v_cndmask_b32_e32 v41, v39, v41, vcc
	v_cndmask_b32_e32 v40, v38, v40, vcc
	v_cmp_eq_u32_e32 vcc, 1, v42
	s_or_b64 s[0:1], vcc, s[56:57]
	v_cndmask_b32_e64 v43, 0, 1, s[0:1]
	s_mov_b64 s[0:1], 0
.LBB167_122:                            ;   in Loop: Header=BB167_123 Depth=1
	s_and_b64 vcc, exec, s[0:1]
	s_cbranch_vccnz .LBB167_153
.LBB167_123:                            ; =>This Loop Header: Depth=1
                                        ;     Child Loop BB167_126 Depth 2
	v_cmp_ne_u16_sdwa s[0:1], v35, v58 src0_sel:BYTE_0 src1_sel:DWORD
	v_mov_b32_e32 v55, v43
	v_mov_b64_e32 v[38:39], v[40:41]
	s_cmp_lg_u64 s[0:1], exec
	s_mov_b64 s[0:1], -1
                                        ; implicit-def: $vgpr43
                                        ; implicit-def: $vgpr40_vgpr41
                                        ; implicit-def: $vgpr35
	s_cbranch_scc1 .LBB167_122
; %bb.124:                              ;   in Loop: Header=BB167_123 Depth=1
	global_load_ubyte v35, v12, s[44:45] sc1
	s_waitcnt vmcnt(0)
	v_cmp_eq_u16_e32 vcc, 0, v35
	s_and_saveexec_b64 s[0:1], vcc
	s_cbranch_execz .LBB167_128
; %bb.125:                              ;   in Loop: Header=BB167_123 Depth=1
	v_lshl_add_u64 v[40:41], s[44:45], 0, v[12:13]
	s_mov_b64 s[56:57], 0
.LBB167_126:                            ;   Parent Loop BB167_123 Depth=1
                                        ; =>  This Inner Loop Header: Depth=2
	global_load_ubyte v35, v[40:41], off sc1
	s_waitcnt vmcnt(0)
	v_cmp_ne_u16_e32 vcc, 0, v35
	s_or_b64 s[56:57], vcc, s[56:57]
	s_andn2_b64 exec, exec, s[56:57]
	s_cbranch_execnz .LBB167_126
; %bb.127:                              ;   in Loop: Header=BB167_123 Depth=1
	s_or_b64 exec, exec, s[56:57]
.LBB167_128:                            ;   in Loop: Header=BB167_123 Depth=1
	s_or_b64 exec, exec, s[0:1]
	v_mov_b32_e32 v40, s43
	v_mov_b32_e32 v41, s41
	v_cmp_eq_u16_e32 vcc, 1, v35
	v_mov_b32_e32 v42, s40
	s_waitcnt vmcnt(0)
	v_cndmask_b32_e32 v41, v40, v41, vcc
	v_mov_b32_e32 v40, s42
	v_cndmask_b32_e32 v40, v40, v42, vcc
	v_lshl_add_u64 v[42:43], v[12:13], 4, v[40:41]
	global_load_dword v40, v[42:43], off sc1
	global_load_dword v41, v[42:43], off offset:4 sc1
	global_load_dword v59, v[42:43], off offset:8 sc1
	s_nop 0
	global_load_dword v42, v[42:43], off offset:12 sc1
	v_cmp_eq_u16_e32 vcc, 2, v35
	s_waitcnt vmcnt(2) lgkmcnt(1)
	ds_bpermute_b32 v44, v46, v41
	s_waitcnt vmcnt(0)
	v_and_b32_e32 v42, vcc_hi, v37
	v_or_b32_e32 v42, 0x80000000, v42
	v_and_b32_e32 v43, 0xff, v59
	v_ffbl_b32_e32 v83, v42
	ds_bpermute_b32 v42, v46, v40
	s_waitcnt lgkmcnt(2)
	ds_bpermute_b32 v82, v46, v43
	v_and_b32_e32 v81, vcc_lo, v36
	v_add_u32_e32 v83, 32, v83
	v_ffbl_b32_e32 v81, v81
	v_min_u32_e32 v81, v81, v83
	v_cmp_lt_u32_e32 vcc, v45, v81
	s_and_saveexec_b64 s[0:1], vcc
	s_cbranch_execz .LBB167_130
; %bb.129:                              ;   in Loop: Header=BB167_123 Depth=1
	s_waitcnt lgkmcnt(2)
	v_mov_b32_e32 v43, v44
	s_waitcnt lgkmcnt(1)
	v_cmp_gt_i64_e32 vcc, v[40:41], v[42:43]
	s_nop 1
	v_cndmask_b32_e32 v43, v44, v41, vcc
	v_cndmask_b32_e32 v42, v42, v40, vcc
	v_cmp_eq_u16_sdwa vcc, v59, v13 src0_sel:BYTE_0 src1_sel:DWORD
	s_nop 1
	v_cndmask_b32_e32 v40, v40, v42, vcc
	s_waitcnt lgkmcnt(0)
	v_or_b32_e32 v42, v82, v59
	v_and_b32_e32 v42, 1, v42
	v_cndmask_b32_e32 v41, v41, v43, vcc
	v_bitop3_b32 v43, v82, 1, v59 bitop3:0xc8
	v_mov_b32_e32 v59, v42
.LBB167_130:                            ;   in Loop: Header=BB167_123 Depth=1
	s_or_b64 exec, exec, s[0:1]
	s_waitcnt lgkmcnt(1)
	ds_bpermute_b32 v42, v47, v40
	ds_bpermute_b32 v44, v47, v41
	s_waitcnt lgkmcnt(2)
	ds_bpermute_b32 v82, v47, v43
	v_and_b32_e32 v83, 1, v59
	v_cmp_le_u32_e32 vcc, v48, v81
	v_cmp_eq_u32_e64 s[56:57], 1, v83
	s_and_saveexec_b64 s[0:1], vcc
	s_cbranch_execz .LBB167_132
; %bb.131:                              ;   in Loop: Header=BB167_123 Depth=1
	s_waitcnt lgkmcnt(1)
	v_mov_b32_e32 v43, v44
	v_cmp_gt_i64_e32 vcc, v[40:41], v[42:43]
	s_nop 1
	v_cndmask_b32_e32 v43, v44, v41, vcc
	v_cndmask_b32_e32 v42, v42, v40, vcc
	v_cmp_eq_u16_sdwa vcc, v59, v13 src0_sel:BYTE_0 src1_sel:DWORD
	s_nop 1
	v_cndmask_b32_e32 v40, v40, v42, vcc
	s_waitcnt lgkmcnt(0)
	v_and_b32_e32 v42, 1, v82
	v_cndmask_b32_e32 v41, v41, v43, vcc
	v_cmp_eq_u32_e32 vcc, 1, v42
	s_or_b64 s[60:61], s[56:57], vcc
	v_cndmask_b32_e64 v59, 0, 1, s[60:61]
	v_cndmask_b32_e64 v43, 0, 1, s[60:61]
	s_andn2_b64 s[56:57], s[56:57], exec
	s_and_b64 s[60:61], s[60:61], exec
	s_or_b64 s[56:57], s[56:57], s[60:61]
.LBB167_132:                            ;   in Loop: Header=BB167_123 Depth=1
	s_or_b64 exec, exec, s[0:1]
	s_waitcnt lgkmcnt(2)
	ds_bpermute_b32 v42, v49, v40
	s_waitcnt lgkmcnt(2)
	ds_bpermute_b32 v44, v49, v41
	s_waitcnt lgkmcnt(2)
	ds_bpermute_b32 v82, v49, v43
	v_cmp_le_u32_e32 vcc, v50, v81
	s_and_saveexec_b64 s[60:61], vcc
	s_cbranch_execz .LBB167_134
; %bb.133:                              ;   in Loop: Header=BB167_123 Depth=1
	s_waitcnt lgkmcnt(1)
	v_mov_b32_e32 v43, v44
	v_cmp_gt_i64_e32 vcc, v[40:41], v[42:43]
	s_andn2_b64 s[56:57], s[56:57], exec
	s_nop 0
	v_cndmask_b32_e32 v43, v44, v41, vcc
	v_cndmask_b32_e32 v42, v42, v40, vcc
	v_cmp_eq_u16_sdwa vcc, v59, v13 src0_sel:BYTE_0 src1_sel:DWORD
	s_nop 1
	v_cndmask_b32_e32 v40, v40, v42, vcc
	v_and_b32_e32 v42, 1, v59
	v_cndmask_b32_e32 v41, v41, v43, vcc
	v_cmp_eq_u32_e32 vcc, 1, v42
	s_waitcnt lgkmcnt(0)
	v_and_b32_e32 v42, 1, v82
	v_cmp_eq_u32_e64 s[0:1], 1, v42
	s_or_b64 s[0:1], vcc, s[0:1]
	s_nop 0
	v_cndmask_b32_e64 v59, 0, 1, s[0:1]
	v_cndmask_b32_e64 v43, 0, 1, s[0:1]
	s_and_b64 s[0:1], s[0:1], exec
	s_or_b64 s[56:57], s[56:57], s[0:1]
.LBB167_134:                            ;   in Loop: Header=BB167_123 Depth=1
	s_or_b64 exec, exec, s[60:61]
	s_waitcnt lgkmcnt(2)
	ds_bpermute_b32 v42, v51, v40
	s_waitcnt lgkmcnt(2)
	ds_bpermute_b32 v44, v51, v41
	s_waitcnt lgkmcnt(2)
	ds_bpermute_b32 v82, v51, v43
	v_cmp_le_u32_e32 vcc, v52, v81
	s_and_saveexec_b64 s[60:61], vcc
	s_cbranch_execz .LBB167_136
; %bb.135:                              ;   in Loop: Header=BB167_123 Depth=1
	s_waitcnt lgkmcnt(1)
	v_mov_b32_e32 v43, v44
	v_cmp_gt_i64_e32 vcc, v[40:41], v[42:43]
	s_andn2_b64 s[56:57], s[56:57], exec
	s_nop 0
	v_cndmask_b32_e32 v43, v44, v41, vcc
	v_cndmask_b32_e32 v42, v42, v40, vcc
	v_cmp_eq_u16_sdwa vcc, v59, v13 src0_sel:BYTE_0 src1_sel:DWORD
	s_nop 1
	v_cndmask_b32_e32 v40, v40, v42, vcc
	v_and_b32_e32 v42, 1, v59
	v_cndmask_b32_e32 v41, v41, v43, vcc
	v_cmp_eq_u32_e32 vcc, 1, v42
	s_waitcnt lgkmcnt(0)
	v_and_b32_e32 v42, 1, v82
	v_cmp_eq_u32_e64 s[0:1], 1, v42
	s_or_b64 s[0:1], vcc, s[0:1]
	s_nop 0
	v_cndmask_b32_e64 v59, 0, 1, s[0:1]
	v_cndmask_b32_e64 v43, 0, 1, s[0:1]
	s_and_b64 s[0:1], s[0:1], exec
	s_or_b64 s[56:57], s[56:57], s[0:1]
.LBB167_136:                            ;   in Loop: Header=BB167_123 Depth=1
	;; [unrolled: 34-line block ×3, first 2 shown]
	s_or_b64 exec, exec, s[60:61]
	s_waitcnt lgkmcnt(2)
	ds_bpermute_b32 v42, v56, v40
	s_waitcnt lgkmcnt(2)
	ds_bpermute_b32 v44, v56, v41
	;; [unrolled: 2-line block ×3, first 2 shown]
	v_cmp_le_u32_e32 vcc, v57, v81
	s_and_saveexec_b64 s[60:61], vcc
	s_cbranch_execz .LBB167_121
; %bb.139:                              ;   in Loop: Header=BB167_123 Depth=1
	s_waitcnt lgkmcnt(1)
	v_mov_b32_e32 v43, v44
	v_cmp_gt_i64_e32 vcc, v[40:41], v[42:43]
	s_andn2_b64 s[56:57], s[56:57], exec
	s_nop 0
	v_cndmask_b32_e32 v43, v44, v41, vcc
	v_cndmask_b32_e32 v42, v42, v40, vcc
	v_cmp_eq_u16_sdwa vcc, v59, v13 src0_sel:BYTE_0 src1_sel:DWORD
	s_nop 1
	v_cndmask_b32_e32 v40, v40, v42, vcc
	v_and_b32_e32 v42, 1, v59
	v_cndmask_b32_e32 v41, v41, v43, vcc
	v_cmp_eq_u32_e32 vcc, 1, v42
	s_waitcnt lgkmcnt(0)
	v_and_b32_e32 v42, 1, v82
	v_cmp_eq_u32_e64 s[0:1], 1, v42
	s_or_b64 s[0:1], vcc, s[0:1]
	s_and_b64 s[0:1], s[0:1], exec
	s_or_b64 s[56:57], s[56:57], s[0:1]
	s_branch .LBB167_121
.LBB167_140:
	s_or_b64 exec, exec, s[0:1]
                                        ; implicit-def: $vgpr4_vgpr5
	s_and_saveexec_b64 s[0:1], s[6:7]
	s_cbranch_execz .LBB167_37
.LBB167_141:
	v_mov_b32_e32 v4, s35
	v_sub_co_u32_e32 v5, vcc, s34, v30
	s_nop 1
	v_subbrev_co_u32_e32 v6, vcc, 0, v4, vcc
	v_add_co_u32_e32 v4, vcc, -8, v5
	s_nop 1
	v_addc_co_u32_e32 v5, vcc, -1, v6, vcc
	flat_load_dwordx2 v[4:5], v[4:5]
	s_or_b64 exec, exec, s[0:1]
                                        ; implicit-def: $vgpr6_vgpr7
	s_and_saveexec_b64 s[0:1], s[8:9]
	s_cbranch_execnz .LBB167_38
.LBB167_142:
	s_or_b64 exec, exec, s[0:1]
                                        ; implicit-def: $vgpr10_vgpr11
	s_and_saveexec_b64 s[0:1], s[10:11]
	s_cbranch_execz .LBB167_39
.LBB167_143:
	v_mov_b32_e32 v10, s35
	v_sub_co_u32_e32 v11, vcc, s34, v32
	s_nop 1
	v_subbrev_co_u32_e32 v12, vcc, 0, v10, vcc
	v_add_co_u32_e32 v10, vcc, -8, v11
	s_nop 1
	v_addc_co_u32_e32 v11, vcc, -1, v12, vcc
	flat_load_dwordx2 v[10:11], v[10:11]
	s_or_b64 exec, exec, s[0:1]
                                        ; implicit-def: $vgpr12_vgpr13
	s_and_saveexec_b64 s[0:1], s[12:13]
	s_cbranch_execnz .LBB167_40
.LBB167_144:
	s_or_b64 exec, exec, s[0:1]
                                        ; implicit-def: $vgpr14_vgpr15
	s_and_saveexec_b64 s[0:1], s[14:15]
	s_cbranch_execz .LBB167_41
.LBB167_145:
	v_mov_b32_e32 v14, s35
	v_sub_co_u32_e32 v15, vcc, s34, v62
	s_nop 1
	v_subbrev_co_u32_e32 v16, vcc, 0, v14, vcc
	v_add_co_u32_e32 v14, vcc, -8, v15
	s_nop 1
	v_addc_co_u32_e32 v15, vcc, -1, v16, vcc
	flat_load_dwordx2 v[14:15], v[14:15]
	s_or_b64 exec, exec, s[0:1]
                                        ; implicit-def: $vgpr16_vgpr17
	s_and_saveexec_b64 s[0:1], s[16:17]
	s_cbranch_execnz .LBB167_42
.LBB167_146:
	s_or_b64 exec, exec, s[0:1]
                                        ; implicit-def: $vgpr18_vgpr19
	s_and_saveexec_b64 s[0:1], s[18:19]
	s_cbranch_execz .LBB167_43
.LBB167_147:
	v_mov_b32_e32 v18, s35
	v_sub_co_u32_e32 v19, vcc, s34, v64
	s_nop 1
	v_subbrev_co_u32_e32 v20, vcc, 0, v18, vcc
	v_add_co_u32_e32 v18, vcc, -8, v19
	s_nop 1
	v_addc_co_u32_e32 v19, vcc, -1, v20, vcc
	flat_load_dwordx2 v[18:19], v[18:19]
	s_or_b64 exec, exec, s[0:1]
                                        ; implicit-def: $vgpr20_vgpr21
	s_and_saveexec_b64 s[0:1], s[20:21]
	s_cbranch_execnz .LBB167_44
.LBB167_148:
	s_or_b64 exec, exec, s[0:1]
                                        ; implicit-def: $vgpr22_vgpr23
	s_and_saveexec_b64 s[0:1], s[22:23]
	s_cbranch_execz .LBB167_45
.LBB167_149:
	v_mov_b32_e32 v22, s35
	v_sub_co_u32_e32 v23, vcc, s34, v66
	s_nop 1
	v_subbrev_co_u32_e32 v24, vcc, 0, v22, vcc
	v_add_co_u32_e32 v22, vcc, -8, v23
	s_nop 1
	v_addc_co_u32_e32 v23, vcc, -1, v24, vcc
	flat_load_dwordx2 v[22:23], v[22:23]
	s_or_b64 exec, exec, s[0:1]
                                        ; implicit-def: $vgpr24_vgpr25
	s_and_saveexec_b64 s[0:1], s[24:25]
	s_cbranch_execnz .LBB167_46
.LBB167_150:
	s_or_b64 exec, exec, s[0:1]
                                        ; implicit-def: $vgpr26_vgpr27
	s_and_saveexec_b64 s[0:1], s[26:27]
	s_cbranch_execz .LBB167_47
.LBB167_151:
	v_mov_b32_e32 v26, s35
	v_sub_co_u32_e32 v27, vcc, s34, v68
	s_nop 1
	v_subbrev_co_u32_e32 v28, vcc, 0, v26, vcc
	v_add_co_u32_e32 v26, vcc, -8, v27
	s_nop 1
	v_addc_co_u32_e32 v27, vcc, -1, v28, vcc
	flat_load_dwordx2 v[26:27], v[26:27]
	s_or_b64 exec, exec, s[0:1]
                                        ; implicit-def: $vgpr28_vgpr29
	s_and_saveexec_b64 s[0:1], s[28:29]
	s_cbranch_execz .LBB167_49
	s_branch .LBB167_48
.LBB167_152:
                                        ; implicit-def: $vgpr58_vgpr59
                                        ; implicit-def: $vgpr54_vgpr55
                                        ; implicit-def: $vgpr50_vgpr51
                                        ; implicit-def: $vgpr46_vgpr47
                                        ; implicit-def: $vgpr42_vgpr43
                                        ; implicit-def: $vgpr38_vgpr39
                                        ; implicit-def: $vgpr34_vgpr35
	s_cbranch_execnz .LBB167_158
	s_branch .LBB167_179
.LBB167_153:
	s_and_saveexec_b64 s[0:1], s[34:35]
	s_cbranch_execz .LBB167_155
; %bb.154:
	s_mov_b32 s35, 0
	v_mov_b32_e32 v12, 0
	v_cmp_gt_i64_e32 vcc, v[32:33], v[38:39]
	s_add_i32 s34, s47, 64
	s_lshl_b64 s[40:41], s[34:35], 4
	v_cndmask_b32_e32 v13, v38, v32, vcc
	v_cndmask_b32_e32 v35, v39, v33, vcc
	v_cmp_eq_u32_sdwa vcc, v34, v12 src0_sel:BYTE_0 src1_sel:DWORD
	s_add_u32 s40, s42, s40
	s_addc_u32 s41, s43, s41
	v_cndmask_b32_e32 v13, v32, v13, vcc
	v_and_b32_e32 v32, 1, v34
	v_cndmask_b32_e32 v33, v33, v35, vcc
	v_and_b32_e32 v34, 1, v55
	v_cmp_eq_u32_e32 vcc, 1, v32
	s_nop 1
	v_cndmask_b32_e64 v32, v34, 1, vcc
	global_store_dword v12, v13, s[40:41] sc1
	global_store_dword v12, v33, s[40:41] offset:4 sc1
	global_store_dword v12, v32, s[40:41] offset:8 sc1
	;; [unrolled: 1-line block ×3, first 2 shown]
	v_mov_b32_e32 v12, 2
	v_mov_b32_e32 v13, s34
	s_waitcnt vmcnt(0) lgkmcnt(0)
	global_store_byte v13, v12, s[44:45] sc1
.LBB167_155:
	s_or_b64 exec, exec, s[0:1]
	s_and_b64 exec, exec, s[36:37]
	s_cbranch_execz .LBB167_157
; %bb.156:
	v_mov_b32_e32 v12, 0
	ds_write_b64 v12, v[38:39]
	ds_write_b8 v12, v55 offset:8
.LBB167_157:
	s_or_b64 exec, exec, s[52:53]
	v_mov_b32_e32 v32, 0
	v_and_b32_e32 v33, 1, v71
	s_waitcnt lgkmcnt(0)
	s_barrier
	ds_read_b64 v[12:13], v32
	v_cmp_eq_u32_e32 vcc, 1, v33
	s_or_b64 s[0:1], vcc, s[50:51]
	v_cmp_gt_i64_e32 vcc, v[2:3], v[4:5]
	v_cndmask_b32_e64 v33, 0, 1, s[0:1]
	v_cndmask_b32_e64 v33, v33, v71, s[36:37]
	v_cndmask_b32_e32 v5, v5, v3, vcc
	v_cndmask_b32_e32 v4, v4, v2, vcc
	v_cmp_eq_u16_sdwa vcc, v71, v32 src0_sel:BYTE_0 src1_sel:DWORD
	s_nop 1
	v_cndmask_b32_e32 v4, v2, v4, vcc
	v_cndmask_b32_e32 v5, v3, v5, vcc
	v_cndmask_b32_e64 v5, v5, v3, s[36:37]
	v_cndmask_b32_e64 v4, v4, v2, s[36:37]
	s_waitcnt lgkmcnt(0)
	v_cmp_gt_i64_e32 vcc, v[4:5], v[12:13]
	s_nop 1
	v_cndmask_b32_e32 v12, v12, v4, vcc
	v_cndmask_b32_e32 v13, v13, v5, vcc
	v_cmp_eq_u16_sdwa vcc, v33, v32 src0_sel:BYTE_0 src1_sel:DWORD
	s_nop 1
	v_cndmask_b32_e32 v33, v5, v13, vcc
	v_cndmask_b32_e32 v32, v4, v12, vcc
	v_cmp_gt_i64_e32 vcc, v[6:7], v[32:33]
	s_nop 1
	v_cndmask_b32_e32 v4, v32, v6, vcc
	v_cndmask_b32_e32 v5, v33, v7, vcc
	v_cndmask_b32_e64 v35, v7, v5, s[8:9]
	v_cndmask_b32_e64 v34, v6, v4, s[8:9]
	v_cmp_gt_i64_e32 vcc, v[16:17], v[34:35]
	s_nop 1
	v_cndmask_b32_e32 v4, v34, v16, vcc
	v_cndmask_b32_e32 v5, v35, v17, vcc
	v_cndmask_b32_e64 v37, v17, v5, s[10:11]
	v_cndmask_b32_e64 v36, v16, v4, s[10:11]
	;; [unrolled: 6-line block ×13, first 2 shown]
	s_branch .LBB167_179
.LBB167_158:
	s_cmp_lg_u64 s[64:65], 0
	s_cselect_b64 s[0:1], -1, 0
	s_cmp_lg_u64 s[58:59], 0
	s_cselect_b64 s[6:7], -1, 0
	s_and_b64 s[0:1], s[0:1], s[6:7]
	s_and_b64 s[6:7], s[36:37], s[0:1]
	s_and_saveexec_b64 s[0:1], s[6:7]
	s_cbranch_execz .LBB167_160
; %bb.159:
	v_mov_b32_e32 v12, 0
	global_load_dwordx2 v[4:5], v12, s[58:59]
	global_load_ubyte v13, v12, s[58:59] offset:8
	s_waitcnt vmcnt(1)
	v_cmp_gt_i64_e32 vcc, v[2:3], v[4:5]
	s_nop 1
	v_cndmask_b32_e32 v4, v4, v2, vcc
	v_cndmask_b32_e32 v5, v5, v3, vcc
	v_cmp_eq_u16_sdwa vcc, v71, v12 src0_sel:BYTE_0 src1_sel:DWORD
	s_waitcnt vmcnt(0)
	v_bitop3_b16 v71, v71, 1, v13 bitop3:0xc8
	v_cndmask_b32_e32 v3, v3, v5, vcc
	v_cndmask_b32_e32 v2, v2, v4, vcc
.LBB167_160:
	s_or_b64 exec, exec, s[0:1]
	v_mov_b32_e32 v4, 0
	v_cmp_gt_i64_e32 vcc, v[6:7], v[2:3]
	s_movk_i32 s47, 0xff
	v_cmp_eq_u32_e64 s[8:9], 1, v80
	v_cndmask_b32_e32 v5, v2, v6, vcc
	v_cndmask_b32_e32 v12, v3, v7, vcc
	v_cmp_eq_u16_sdwa vcc, v76, v4 src0_sel:BYTE_0 src1_sel:DWORD
	v_cmp_eq_u16_sdwa s[10:11], v73, v4 src0_sel:BYTE_0 src1_sel:DWORD
	v_cmp_eq_u32_e64 s[14:15], 1, v79
	v_cndmask_b32_e32 v35, v7, v12, vcc
	v_cndmask_b32_e32 v34, v6, v5, vcc
	v_bitop3_b16 v5, v71, s47, v76 bitop3:0xc8
	v_cmp_gt_i64_e64 s[6:7], v[16:17], v[34:35]
	v_cmp_ne_u16_e64 s[0:1], 0, v5
	s_or_b64 s[30:31], s[0:1], s[8:9]
	v_cndmask_b32_e64 v5, v34, v16, s[6:7]
	v_cndmask_b32_e64 v12, v35, v17, s[6:7]
	v_cmp_eq_u16_sdwa s[6:7], v75, v4 src0_sel:BYTE_0 src1_sel:DWORD
	v_cmp_eq_u16_sdwa s[8:9], v74, v4 src0_sel:BYTE_0 src1_sel:DWORD
	;; [unrolled: 1-line block ×3, first 2 shown]
	v_cndmask_b32_e64 v37, v17, v12, s[6:7]
	v_cndmask_b32_e64 v36, v16, v5, s[6:7]
	v_cmp_gt_i64_e64 s[0:1], v[14:15], v[36:37]
	v_cmp_eq_u32_e64 s[20:21], 1, v78
	v_cmp_eq_u16_sdwa s[22:23], v65, v4 src0_sel:BYTE_0 src1_sel:DWORD
	v_cndmask_b32_e64 v5, v36, v14, s[0:1]
	v_cndmask_b32_e64 v12, v37, v15, s[0:1]
	;; [unrolled: 1-line block ×4, first 2 shown]
	v_cmp_gt_i64_e64 s[0:1], v[24:25], v[38:39]
	v_cmp_eq_u32_e64 s[26:27], 1, v77
	v_cmp_eq_u16_e64 s[28:29], 0, v60
	v_cndmask_b32_e64 v5, v38, v24, s[0:1]
	v_cndmask_b32_e64 v12, v39, v25, s[0:1]
	v_cndmask_b32_e64 v41, v25, v12, s[10:11]
	v_cndmask_b32_e64 v40, v24, v5, s[10:11]
	v_bitop3_b16 v5, v73, s47, v74 bitop3:0xc8
	v_cmp_gt_i64_e64 s[12:13], v[22:23], v[40:41]
	v_cmp_ne_u16_e64 s[0:1], 0, v5
	s_or_b64 s[34:35], s[0:1], s[14:15]
	v_cndmask_b32_e64 v5, v40, v22, s[12:13]
	v_cndmask_b32_e64 v12, v41, v23, s[12:13]
	v_cmp_eq_u16_sdwa s[12:13], v72, v4 src0_sel:BYTE_0 src1_sel:DWORD
	v_cmp_eq_u16_sdwa s[14:15], v70, v4 src0_sel:BYTE_0 src1_sel:DWORD
	s_nop 0
	v_cndmask_b32_e64 v43, v23, v12, s[12:13]
	v_cndmask_b32_e64 v42, v22, v5, s[12:13]
	v_cmp_gt_i64_e64 s[0:1], v[28:29], v[42:43]
	s_nop 1
	v_cndmask_b32_e64 v5, v42, v28, s[0:1]
	v_cndmask_b32_e64 v12, v43, v29, s[0:1]
	v_cndmask_b32_e64 v45, v29, v12, s[14:15]
	v_cndmask_b32_e64 v44, v28, v5, s[14:15]
	v_cmp_gt_i64_e64 s[0:1], v[26:27], v[44:45]
	s_nop 1
	v_cndmask_b32_e64 v5, v44, v26, s[0:1]
	v_cndmask_b32_e64 v12, v45, v27, s[0:1]
	v_cndmask_b32_e64 v47, v27, v12, s[16:17]
	v_cndmask_b32_e64 v46, v26, v5, s[16:17]
	v_bitop3_b16 v5, v69, s47, v70 bitop3:0xc8
	v_cmp_gt_i64_e64 s[18:19], v[62:63], v[46:47]
	v_cmp_ne_u16_e64 s[0:1], 0, v5
	s_or_b64 s[40:41], s[0:1], s[20:21]
	v_cndmask_b32_e64 v5, v46, v62, s[18:19]
	v_cndmask_b32_e64 v12, v47, v63, s[18:19]
	v_cmp_eq_u16_sdwa s[18:19], v68, v4 src0_sel:BYTE_0 src1_sel:DWORD
	v_cmp_eq_u16_sdwa s[20:21], v67, v4 src0_sel:BYTE_0 src1_sel:DWORD
	s_nop 0
	v_cndmask_b32_e64 v49, v63, v12, s[18:19]
	v_cndmask_b32_e64 v48, v62, v5, s[18:19]
	v_cmp_gt_i64_e64 s[0:1], v[30:31], v[48:49]
	s_nop 1
	v_cndmask_b32_e64 v5, v48, v30, s[0:1]
	v_cndmask_b32_e64 v12, v49, v31, s[0:1]
	v_cndmask_b32_e64 v51, v31, v12, s[20:21]
	v_cndmask_b32_e64 v50, v30, v5, s[20:21]
	v_cmp_gt_i64_e64 s[0:1], v[20:21], v[50:51]
	s_nop 1
	;; [unrolled: 23-line block ×3, first 2 shown]
	v_cndmask_b32_e64 v4, v56, v8, s[0:1]
	v_cndmask_b32_e64 v58, v8, v4, s[28:29]
	v_bitop3_b16 v4, v60, s47, v64 bitop3:0xc8
	v_cndmask_b32_e64 v5, v57, v9, s[0:1]
	v_cmp_ne_u16_e64 s[0:1], 0, v4
	s_or_b64 s[0:1], s[0:1], s[50:51]
	s_or_b64 s[0:1], s[0:1], s[40:41]
	;; [unrolled: 1-line block ×4, first 2 shown]
	v_and_b32_e32 v4, 0x70, v61
	v_cndmask_b32_e64 v59, v9, v5, s[28:29]
	v_cndmask_b32_e64 v64, 0, 1, s[0:1]
	v_lshl_add_u32 v4, v0, 4, v4
	v_cmp_gt_u32_e64 s[0:1], 64, v0
	ds_write_b64 v4, v[58:59]
	ds_write_b8 v4, v64 offset:8
	s_waitcnt lgkmcnt(0)
	s_barrier
	s_and_saveexec_b64 s[34:35], s[0:1]
	s_cbranch_execz .LBB167_174
; %bb.161:
	v_lshlrev_b32_e32 v4, 1, v0
	v_and_b32_e32 v4, 0x1f0, v4
	v_lshlrev_b32_e32 v5, 6, v0
	v_add_u32_e32 v61, v4, v5
	ds_read2_b64 v[66:69], v61 offset0:2 offset1:4
	ds_read_b64 v[4:5], v61
	ds_read_b32 v65, v61 offset:8
	ds_read_u8 v60, v61 offset:24
	ds_read_u8 v70, v61 offset:40
	ds_read_b64 v[12:13], v61 offset:48
	ds_read_u8 v72, v61 offset:56
	s_waitcnt lgkmcnt(4)
	v_and_b32_e32 v32, 1, v65
	v_cmp_gt_i64_e64 s[30:31], v[66:67], v[4:5]
	v_cmp_eq_u32_e64 s[0:1], 1, v32
	s_nop 0
	v_cndmask_b32_e64 v32, v4, v66, s[30:31]
	v_cndmask_b32_e64 v33, v5, v67, s[30:31]
	s_waitcnt lgkmcnt(3)
	v_cmp_eq_u16_e64 s[30:31], 0, v60
	s_nop 1
	v_cndmask_b32_e64 v33, v67, v33, s[30:31]
	v_cndmask_b32_e64 v32, v66, v32, s[30:31]
	v_cmp_gt_i64_e64 s[30:31], v[68:69], v[32:33]
	v_and_b32_e32 v66, 0xffffff00, v65
	s_nop 0
	v_cndmask_b32_e64 v32, v32, v68, s[30:31]
	v_cndmask_b32_e64 v33, v33, v69, s[30:31]
	s_waitcnt lgkmcnt(2)
	v_cmp_eq_u16_e64 s[30:31], 0, v70
	s_nop 1
	v_cndmask_b32_e64 v33, v69, v33, s[30:31]
	v_cndmask_b32_e64 v32, v68, v32, s[30:31]
	s_waitcnt lgkmcnt(1)
	v_cmp_gt_i64_e64 s[30:31], v[12:13], v[32:33]
	s_nop 1
	v_cndmask_b32_e64 v32, v32, v12, s[30:31]
	v_cndmask_b32_e64 v33, v33, v13, s[30:31]
	s_waitcnt lgkmcnt(0)
	v_cmp_eq_u16_e64 s[30:31], 0, v72
	s_nop 1
	v_cndmask_b32_e64 v12, v12, v32, s[30:31]
	v_bitop3_b16 v32, v70, v72, v60 bitop3:0xfe
	v_and_b32_e32 v32, 1, v32
	v_cndmask_b32_e64 v13, v13, v33, s[30:31]
	v_cmp_eq_u32_e64 s[30:31], 1, v32
	s_or_b64 s[30:31], s[30:31], s[0:1]
	v_mbcnt_lo_u32_b32 v32, -1, 0
	v_mbcnt_hi_u32_b32 v67, -1, v32
	v_cndmask_b32_e64 v33, 0, 1, s[30:31]
	v_and_b32_e32 v69, 15, v67
	v_or_b32_e32 v33, v66, v33
	v_cndmask_b32_e64 v68, 0, 1, s[30:31]
	v_mov_b32_dpp v32, v12 row_shr:1 row_mask:0xf bank_mask:0xf
	v_mov_b32_dpp v60, v13 row_shr:1 row_mask:0xf bank_mask:0xf
	;; [unrolled: 1-line block ×3, first 2 shown]
	v_cmp_ne_u32_e64 s[0:1], 0, v69
	s_and_saveexec_b64 s[40:41], s[0:1]
; %bb.162:
	v_mov_b32_e32 v33, v60
	v_cmp_gt_i64_e64 s[0:1], v[12:13], v[32:33]
	s_or_b64 s[0:1], s[30:31], s[0:1]
	v_bitop3_b16 v68, v70, v68, 1 bitop3:0xec
	v_cndmask_b32_e64 v13, v60, v13, s[0:1]
	v_cndmask_b32_e64 v12, v32, v12, s[0:1]
	v_or_b32_sdwa v33, v66, v68 dst_sel:DWORD dst_unused:UNUSED_PAD src0_sel:DWORD src1_sel:WORD_0
; %bb.163:
	s_or_b64 exec, exec, s[40:41]
	v_mov_b32_dpp v32, v12 row_shr:2 row_mask:0xf bank_mask:0xf
	v_mov_b32_dpp v60, v13 row_shr:2 row_mask:0xf bank_mask:0xf
	v_mov_b32_dpp v70, v33 row_shr:2 row_mask:0xf bank_mask:0xf
	v_cmp_lt_u32_e64 s[0:1], 1, v69
	s_and_saveexec_b64 s[40:41], s[0:1]
	s_cbranch_execz .LBB167_165
; %bb.164:
	v_mov_b32_e32 v33, v60
	v_cmp_gt_i64_e64 s[0:1], v[12:13], v[32:33]
	s_nop 1
	v_cndmask_b32_e64 v33, v60, v13, s[0:1]
	v_cndmask_b32_e64 v32, v32, v12, s[0:1]
	v_cmp_eq_u16_e64 s[0:1], 0, v68
	s_nop 1
	v_cndmask_b32_e64 v12, v12, v32, s[0:1]
	v_and_b32_e32 v32, 1, v68
	v_cndmask_b32_e64 v13, v13, v33, s[0:1]
	v_cmp_eq_u32_e64 s[0:1], 1, v32
	v_and_b32_e32 v32, 1, v70
	v_cmp_eq_u32_e64 s[30:31], 1, v32
	s_or_b64 s[0:1], s[0:1], s[30:31]
	v_cndmask_b32_e64 v32, 0, 1, s[0:1]
	v_cndmask_b32_e64 v68, 0, 1, s[0:1]
	v_or_b32_e32 v33, v66, v32
.LBB167_165:
	s_or_b64 exec, exec, s[40:41]
	v_mov_b32_dpp v32, v12 row_shr:4 row_mask:0xf bank_mask:0xf
	v_mov_b32_dpp v60, v13 row_shr:4 row_mask:0xf bank_mask:0xf
	v_mov_b32_dpp v70, v33 row_shr:4 row_mask:0xf bank_mask:0xf
	v_cmp_lt_u32_e64 s[0:1], 3, v69
	s_and_saveexec_b64 s[40:41], s[0:1]
	s_cbranch_execz .LBB167_167
; %bb.166:
	v_mov_b32_e32 v33, v60
	v_cmp_gt_i64_e64 s[0:1], v[12:13], v[32:33]
	s_nop 1
	v_cndmask_b32_e64 v33, v60, v13, s[0:1]
	v_cndmask_b32_e64 v32, v32, v12, s[0:1]
	v_cmp_eq_u16_e64 s[0:1], 0, v68
	s_nop 1
	v_cndmask_b32_e64 v12, v12, v32, s[0:1]
	v_and_b32_e32 v32, 1, v68
	v_cndmask_b32_e64 v13, v13, v33, s[0:1]
	v_cmp_eq_u32_e64 s[0:1], 1, v32
	v_and_b32_e32 v32, 1, v70
	v_cmp_eq_u32_e64 s[30:31], 1, v32
	s_or_b64 s[0:1], s[0:1], s[30:31]
	v_cndmask_b32_e64 v32, 0, 1, s[0:1]
	v_cndmask_b32_e64 v68, 0, 1, s[0:1]
	v_or_b32_e32 v33, v66, v32
.LBB167_167:
	;; [unrolled: 26-line block ×3, first 2 shown]
	s_or_b64 exec, exec, s[40:41]
	v_and_b32_e32 v70, 16, v67
	v_mov_b32_dpp v32, v12 row_bcast:15 row_mask:0xf bank_mask:0xf
	v_mov_b32_dpp v60, v13 row_bcast:15 row_mask:0xf bank_mask:0xf
	;; [unrolled: 1-line block ×3, first 2 shown]
	v_cmp_ne_u32_e64 s[0:1], 0, v70
	s_and_saveexec_b64 s[40:41], s[0:1]
	s_cbranch_execz .LBB167_171
; %bb.170:
	v_mov_b32_e32 v33, v60
	v_cmp_gt_i64_e64 s[0:1], v[12:13], v[32:33]
	s_nop 1
	v_cndmask_b32_e64 v33, v60, v13, s[0:1]
	v_cndmask_b32_e64 v32, v32, v12, s[0:1]
	v_cmp_eq_u16_e64 s[0:1], 0, v68
	s_nop 1
	v_cndmask_b32_e64 v12, v12, v32, s[0:1]
	v_and_b32_e32 v32, 1, v68
	v_cndmask_b32_e64 v13, v13, v33, s[0:1]
	v_cmp_eq_u32_e64 s[0:1], 1, v32
	v_and_b32_e32 v32, 1, v69
	v_cmp_eq_u32_e64 s[30:31], 1, v32
	s_or_b64 s[0:1], s[0:1], s[30:31]
	v_cndmask_b32_e64 v32, 0, 1, s[0:1]
	v_cndmask_b32_e64 v68, 0, 1, s[0:1]
	v_or_b32_e32 v33, v66, v32
.LBB167_171:
	s_or_b64 exec, exec, s[40:41]
	v_mov_b32_dpp v32, v12 row_bcast:31 row_mask:0xf bank_mask:0xf
	v_mov_b32_dpp v60, v13 row_bcast:31 row_mask:0xf bank_mask:0xf
	;; [unrolled: 1-line block ×3, first 2 shown]
	v_cmp_lt_u32_e64 s[0:1], 31, v67
	s_and_saveexec_b64 s[40:41], s[0:1]
	s_cbranch_execz .LBB167_173
; %bb.172:
	v_mov_b32_e32 v33, v60
	v_cmp_gt_i64_e64 s[0:1], v[12:13], v[32:33]
	s_nop 1
	v_cndmask_b32_e64 v33, v60, v13, s[0:1]
	v_cndmask_b32_e64 v32, v32, v12, s[0:1]
	v_cmp_eq_u16_e64 s[0:1], 0, v68
	s_nop 1
	v_cndmask_b32_e64 v12, v12, v32, s[0:1]
	v_and_b32_e32 v32, 1, v68
	v_cndmask_b32_e64 v13, v13, v33, s[0:1]
	v_cmp_eq_u32_e64 s[0:1], 1, v32
	v_and_b32_e32 v32, 1, v69
	v_cmp_eq_u32_e64 s[30:31], 1, v32
	s_or_b64 s[0:1], s[0:1], s[30:31]
	v_cndmask_b32_e64 v68, 0, 1, s[0:1]
.LBB167_173:
	s_or_b64 exec, exec, s[40:41]
	v_add_u32_e32 v32, -1, v67
	v_and_b32_e32 v33, 64, v67
	v_cmp_lt_i32_e64 s[0:1], v32, v33
	v_mov_b32_e32 v60, 0
	s_nop 0
	v_cndmask_b32_e64 v32, v32, v67, s[0:1]
	v_lshlrev_b32_e32 v33, 2, v32
	ds_bpermute_b32 v32, v33, v13
	ds_bpermute_b32 v12, v33, v12
	v_or_b32_sdwa v13, v66, v68 dst_sel:DWORD dst_unused:UNUSED_PAD src0_sel:DWORD src1_sel:WORD_0
	ds_bpermute_b32 v33, v33, v13
	; wave barrier
	s_waitcnt lgkmcnt(2)
	v_mov_b32_e32 v13, v32
	s_waitcnt lgkmcnt(1)
	v_cmp_gt_i64_e64 s[0:1], v[4:5], v[12:13]
	s_nop 1
	v_cndmask_b32_e64 v13, v32, v5, s[0:1]
	v_cndmask_b32_e64 v12, v12, v4, s[0:1]
	v_cmp_eq_u32_sdwa s[0:1], v65, v60 src0_sel:BYTE_0 src1_sel:DWORD
	s_nop 1
	v_cndmask_b32_e64 v4, v4, v12, s[0:1]
	v_cndmask_b32_e64 v5, v5, v13, s[0:1]
	s_waitcnt lgkmcnt(0)
	v_or_b32_e32 v12, v33, v65
	v_and_b32_e32 v12, 1, v12
	v_cndmask_b32_e64 v5, v5, v59, s[36:37]
	v_cndmask_b32_e64 v4, v4, v58, s[36:37]
	;; [unrolled: 1-line block ×3, first 2 shown]
	ds_write_b64 v61, v[4:5]
	ds_write_b8 v61, v68 offset:8
	; wave barrier
	ds_read2_b64 v[64:67], v61 offset0:2 offset1:4
	ds_read_u8 v69, v61 offset:24
	ds_read_u8 v70, v61 offset:40
	ds_read_b64 v[12:13], v61 offset:48
	ds_read_u8 v72, v61 offset:56
	s_waitcnt lgkmcnt(4)
	v_cmp_gt_i64_e64 s[0:1], v[64:65], v[4:5]
	s_waitcnt lgkmcnt(3)
	v_bitop3_b16 v32, v69, 1, v68 bitop3:0xc8
	ds_write_b8 v61, v32 offset:24
	v_cndmask_b32_e64 v4, v4, v64, s[0:1]
	v_cndmask_b32_e64 v5, v5, v65, s[0:1]
	v_cmp_eq_u16_sdwa s[0:1], v69, v60 src0_sel:BYTE_0 src1_sel:DWORD
	s_nop 1
	v_cndmask_b32_e64 v5, v65, v5, s[0:1]
	v_cndmask_b32_e64 v4, v64, v4, s[0:1]
	v_cmp_gt_i64_e64 s[0:1], v[66:67], v[4:5]
	v_or_b32_e32 v64, v69, v68
	s_waitcnt lgkmcnt(3)
	v_bitop3_b16 v64, v70, 1, v64 bitop3:0xc8
	v_cndmask_b32_e64 v32, v4, v66, s[0:1]
	v_cndmask_b32_e64 v33, v5, v67, s[0:1]
	v_cmp_eq_u16_sdwa s[0:1], v70, v60 src0_sel:BYTE_0 src1_sel:DWORD
	v_bitop3_b16 v60, v70, v69, v68 bitop3:0xfe
	s_nop 0
	v_cndmask_b32_e64 v33, v67, v33, s[0:1]
	v_cndmask_b32_e64 v32, v66, v32, s[0:1]
	s_waitcnt lgkmcnt(2)
	v_cmp_gt_i64_e64 s[0:1], v[12:13], v[32:33]
	ds_write2_b64 v61, v[4:5], v[32:33] offset0:2 offset1:4
	ds_write_b8 v61, v64 offset:40
	v_cndmask_b32_e64 v4, v32, v12, s[0:1]
	v_cndmask_b32_e64 v5, v33, v13, s[0:1]
	s_waitcnt lgkmcnt(3)
	v_cmp_eq_u16_e64 s[0:1], 0, v72
	s_nop 1
	v_cndmask_b32_e64 v5, v13, v5, s[0:1]
	v_cndmask_b32_e64 v4, v12, v4, s[0:1]
	v_bitop3_b16 v12, v72, 1, v60 bitop3:0xc8
	ds_write_b64 v61, v[4:5] offset:48
	ds_write_b8 v61, v12 offset:56
.LBB167_174:
	s_or_b64 exec, exec, s[34:35]
	s_waitcnt lgkmcnt(0)
	s_barrier
	s_and_saveexec_b64 s[30:31], s[4:5]
	s_cbranch_execz .LBB167_176
; %bb.175:
	v_add_u32_e32 v4, -1, v0
	v_lshrrev_b32_e32 v5, 1, v4
	v_and_b32_e32 v5, 0x7ffffff0, v5
	v_lshl_add_u32 v4, v4, 4, v5
	ds_read_b64 v[4:5], v4
	v_mov_b32_e32 v12, 0
	;;#ASMSTART
	;;#ASMEND
	s_waitcnt lgkmcnt(0)
	v_cmp_gt_i64_e64 s[0:1], v[2:3], v[4:5]
	s_nop 1
	v_cndmask_b32_e64 v4, v4, v2, s[0:1]
	v_cndmask_b32_e64 v5, v5, v3, s[0:1]
	v_cmp_eq_u16_sdwa s[0:1], v71, v12 src0_sel:BYTE_0 src1_sel:DWORD
	s_nop 1
	v_cndmask_b32_e64 v3, v3, v5, s[0:1]
	v_cndmask_b32_e64 v2, v2, v4, s[0:1]
	v_cmp_gt_i64_e64 s[0:1], v[6:7], v[2:3]
	s_nop 1
	v_cndmask_b32_e64 v4, v2, v6, s[0:1]
	v_cndmask_b32_e64 v5, v3, v7, s[0:1]
	v_cndmask_b32_e32 v35, v7, v5, vcc
	v_cndmask_b32_e32 v34, v6, v4, vcc
	v_cmp_gt_i64_e32 vcc, v[16:17], v[34:35]
	s_nop 1
	v_cndmask_b32_e32 v4, v34, v16, vcc
	v_cndmask_b32_e32 v5, v35, v17, vcc
	v_cndmask_b32_e64 v37, v17, v5, s[6:7]
	v_cndmask_b32_e64 v36, v16, v4, s[6:7]
	v_cmp_gt_i64_e32 vcc, v[14:15], v[36:37]
	s_nop 1
	v_cndmask_b32_e32 v4, v36, v14, vcc
	v_cndmask_b32_e32 v5, v37, v15, vcc
	v_cndmask_b32_e64 v39, v15, v5, s[8:9]
	v_cndmask_b32_e64 v38, v14, v4, s[8:9]
	;; [unrolled: 6-line block ×12, first 2 shown]
.LBB167_176:
	s_or_b64 exec, exec, s[30:31]
	s_and_saveexec_b64 s[0:1], s[36:37]
	s_cbranch_execz .LBB167_178
; %bb.177:
	v_mov_b32_e32 v6, 0
	ds_read_b64 v[4:5], v6 offset:4192
	ds_read_u8 v7, v6 offset:4200
	s_waitcnt lgkmcnt(1)
	global_store_dword v6, v4, s[42:43] offset:1024 sc1
	global_store_dword v6, v5, s[42:43] offset:1028 sc1
	s_waitcnt lgkmcnt(0)
	global_store_dword v6, v7, s[42:43] offset:1032 sc1
	global_store_dword v6, v6, s[42:43] offset:1036 sc1
	v_mov_b32_e32 v4, 2
	s_waitcnt vmcnt(0)
	global_store_byte v6, v4, s[44:45] offset:64 sc1
.LBB167_178:
	s_or_b64 exec, exec, s[0:1]
	v_mov_b64_e32 v[32:33], v[2:3]
.LBB167_179:
	s_lshl_b64 s[0:1], s[38:39], 3
	s_add_u32 s4, s54, s0
	s_addc_u32 s5, s55, s1
	s_lshl_b64 s[0:1], s[48:49], 3
	s_add_u32 s0, s4, s0
	s_addc_u32 s1, s5, s1
	s_and_b64 vcc, exec, s[2:3]
	s_cbranch_vccz .LBB167_227
; %bb.180:
	s_add_i32 s33, s33, s46
	v_mul_u32_u24_e32 v2, 14, v0
	v_cmp_gt_u32_e32 vcc, s33, v2
	s_and_saveexec_b64 s[2:3], vcc
	s_cbranch_execz .LBB167_200
; %bb.181:
	v_or_b32_e32 v3, 1, v2
	v_cmp_gt_u32_e32 vcc, s33, v3
	s_and_saveexec_b64 s[4:5], vcc
	s_cbranch_execz .LBB167_199
; %bb.182:
	v_add_u32_e32 v3, 2, v2
	v_cmp_gt_u32_e32 vcc, s33, v3
	s_and_saveexec_b64 s[6:7], vcc
	s_cbranch_execz .LBB167_198
; %bb.183:
	v_add_u32_e32 v3, 3, v2
	;; [unrolled: 5-line block ×8, first 2 shown]
	v_cmp_gt_u32_e32 vcc, s33, v3
	s_and_saveexec_b64 s[20:21], vcc
; %bb.190:
	v_add_u32_e32 v3, 10, v2
	v_cmp_gt_u32_e32 vcc, s33, v3
	s_and_saveexec_b64 s[22:23], vcc
	s_or_b64 exec, exec, s[22:23]
; %bb.191:
	s_or_b64 exec, exec, s[20:21]
.LBB167_192:
	s_or_b64 exec, exec, s[18:19]
.LBB167_193:
	s_or_b64 exec, exec, s[16:17]
.LBB167_194:
	s_or_b64 exec, exec, s[14:15]
.LBB167_195:
	s_or_b64 exec, exec, s[12:13]
.LBB167_196:
	s_or_b64 exec, exec, s[10:11]
.LBB167_197:
	s_or_b64 exec, exec, s[8:9]
.LBB167_198:
	s_or_b64 exec, exec, s[6:7]
.LBB167_199:
	s_or_b64 exec, exec, s[4:5]
.LBB167_200:
	s_or_b64 exec, exec, s[2:3]
	v_lshlrev_b32_e32 v28, 3, v2
	s_movk_i32 s2, 0xff98
	v_mad_i32_i24 v26, v0, s2, v28
	s_barrier
	ds_write_b128 v28, v[32:35]
	ds_write_b128 v28, v[36:39] offset:16
	ds_write_b128 v28, v[40:43] offset:32
	;; [unrolled: 1-line block ×6, first 2 shown]
	s_waitcnt lgkmcnt(0)
	s_barrier
	ds_read2st64_b64 v[22:25], v26 offset0:4 offset1:8
	ds_read2st64_b64 v[18:21], v26 offset0:12 offset1:16
	ds_read2st64_b64 v[14:17], v26 offset0:20 offset1:24
	ds_read2st64_b64 v[10:13], v26 offset0:28 offset1:32
	ds_read2st64_b64 v[6:9], v26 offset0:36 offset1:40
	ds_read2st64_b64 v[2:5], v26 offset0:44 offset1:48
	ds_read_b64 v[30:31], v26 offset:26624
	v_mov_b32_e32 v26, s1
	v_sub_co_u32_e32 v27, vcc, s0, v1
	s_nop 1
	v_subbrev_co_u32_e32 v26, vcc, 0, v26, vcc
	v_cmp_gt_u32_e32 vcc, s33, v0
	s_and_saveexec_b64 s[2:3], vcc
	s_cbranch_execz .LBB167_202
; %bb.201:
	v_mul_i32_i24_e32 v29, 0xffffff98, v0
	v_add_u32_e32 v28, v28, v29
	ds_read_b64 v[28:29], v28
	v_add_co_u32_e32 v60, vcc, -8, v27
	s_nop 1
	v_addc_co_u32_e32 v61, vcc, -1, v26, vcc
	s_waitcnt lgkmcnt(0)
	flat_store_dwordx2 v[60:61], v[28:29]
.LBB167_202:
	s_or_b64 exec, exec, s[2:3]
	v_or_b32_e32 v28, 0x100, v0
	v_cmp_gt_u32_e32 vcc, s33, v28
	s_and_saveexec_b64 s[2:3], vcc
	s_cbranch_execz .LBB167_204
; %bb.203:
	v_add_co_u32_e32 v28, vcc, 0xfffff7f8, v27
	s_nop 1
	v_addc_co_u32_e32 v29, vcc, -1, v26, vcc
	s_waitcnt lgkmcnt(0)
	flat_store_dwordx2 v[28:29], v[22:23]
.LBB167_204:
	s_or_b64 exec, exec, s[2:3]
	s_waitcnt lgkmcnt(0)
	v_or_b32_e32 v22, 0x200, v0
	v_cmp_gt_u32_e32 vcc, s33, v22
	s_and_saveexec_b64 s[2:3], vcc
	s_cbranch_execz .LBB167_206
; %bb.205:
	v_add_co_u32_e32 v22, vcc, 0xffffeff8, v27
	s_nop 1
	v_addc_co_u32_e32 v23, vcc, -1, v26, vcc
	flat_store_dwordx2 v[22:23], v[24:25]
.LBB167_206:
	s_or_b64 exec, exec, s[2:3]
	v_or_b32_e32 v22, 0x300, v0
	v_cmp_gt_u32_e32 vcc, s33, v22
	s_and_saveexec_b64 s[2:3], vcc
	s_cbranch_execz .LBB167_208
; %bb.207:
	v_add_co_u32_e32 v22, vcc, 0xffffe7f8, v27
	s_nop 1
	v_addc_co_u32_e32 v23, vcc, -1, v26, vcc
	flat_store_dwordx2 v[22:23], v[18:19]
.LBB167_208:
	s_or_b64 exec, exec, s[2:3]
	;; [unrolled: 11-line block ×10, first 2 shown]
	v_sub_co_u32_e32 v2, vcc, 0, v0
	v_or_b32_e32 v6, 0xc00, v0
	s_nop 0
	v_subb_co_u32_e64 v3, s[2:3], 0, 0, vcc
	v_cmp_gt_u32_e32 vcc, s33, v6
	s_and_saveexec_b64 s[2:3], vcc
	s_cbranch_execz .LBB167_226
; %bb.225:
	v_add_co_u32_e32 v6, vcc, 0xffff9ff8, v27
	s_nop 1
	v_addc_co_u32_e32 v7, vcc, -1, v26, vcc
	flat_store_dwordx2 v[6:7], v[4:5]
.LBB167_226:
	s_or_b64 exec, exec, s[2:3]
	v_or_b32_e32 v4, 0xd00, v0
	v_cmp_gt_u32_e64 s[2:3], s33, v4
	s_branch .LBB167_229
.LBB167_227:
	s_mov_b64 s[2:3], 0
                                        ; implicit-def: $vgpr30_vgpr31
                                        ; implicit-def: $vgpr2_vgpr3
	s_cbranch_execz .LBB167_229
; %bb.228:
	v_mul_u32_u24_e32 v2, 0x70, v0
	s_waitcnt lgkmcnt(0)
	s_barrier
	s_movk_i32 s4, 0x70
	ds_write_b128 v2, v[32:35]
	ds_write_b128 v2, v[36:39] offset:16
	ds_write_b128 v2, v[40:43] offset:32
	;; [unrolled: 1-line block ×6, first 2 shown]
	v_mul_i32_i24_e32 v2, 0xffffff98, v0
	v_mad_u32_u24 v2, v0, s4, v2
	s_waitcnt lgkmcnt(0)
	s_barrier
	ds_read2st64_b64 v[4:7], v2 offset1:4
	ds_read2st64_b64 v[8:11], v2 offset0:8 offset1:12
	ds_read2st64_b64 v[12:15], v2 offset0:16 offset1:20
	;; [unrolled: 1-line block ×6, first 2 shown]
	v_sub_co_u32_e32 v2, vcc, 0, v0
	v_mov_b32_e32 v0, s1
	s_nop 0
	v_subb_co_u32_e64 v3, s[4:5], 0, 0, vcc
	v_sub_co_u32_e32 v32, vcc, s0, v1
	s_movk_i32 s4, 0xf7f8
	s_nop 0
	v_subbrev_co_u32_e32 v33, vcc, 0, v0, vcc
	v_add_co_u32_e32 v0, vcc, s4, v32
	s_movk_i32 s4, 0xe7f8
	s_nop 0
	v_addc_co_u32_e32 v1, vcc, -1, v33, vcc
	s_waitcnt lgkmcnt(0)
	flat_store_dwordx2 v[0:1], v[4:5] offset:2048
	flat_store_dwordx2 v[0:1], v[6:7]
	v_add_co_u32_e32 v0, vcc, s4, v32
	s_movk_i32 s4, 0xd7f8
	s_nop 0
	v_addc_co_u32_e32 v1, vcc, -1, v33, vcc
	flat_store_dwordx2 v[0:1], v[8:9] offset:2048
	flat_store_dwordx2 v[0:1], v[10:11]
	v_add_co_u32_e32 v0, vcc, s4, v32
	s_movk_i32 s4, 0xc7f8
	s_nop 0
	v_addc_co_u32_e32 v1, vcc, -1, v33, vcc
	;; [unrolled: 6-line block ×4, first 2 shown]
	flat_store_dwordx2 v[0:1], v[20:21] offset:2048
	flat_store_dwordx2 v[0:1], v[22:23]
	v_add_co_u32_e32 v0, vcc, s4, v32
	s_or_b64 s[2:3], s[2:3], exec
	s_nop 0
	v_addc_co_u32_e32 v1, vcc, -1, v33, vcc
	flat_store_dwordx2 v[0:1], v[24:25]
	v_add_co_u32_e32 v0, vcc, 0xffffa7f8, v32
	s_nop 1
	v_addc_co_u32_e32 v1, vcc, -1, v33, vcc
	flat_store_dwordx2 v[0:1], v[26:27]
	v_add_co_u32_e32 v0, vcc, 0xffff9ff8, v32
	s_nop 1
	v_addc_co_u32_e32 v1, vcc, -1, v33, vcc
	flat_store_dwordx2 v[0:1], v[28:29]
.LBB167_229:
	s_and_saveexec_b64 s[4:5], s[2:3]
	s_cbranch_execz .LBB167_231
; %bb.230:
	v_lshl_add_u64 v[0:1], v[2:3], 3, s[0:1]
	v_add_co_u32_e32 v0, vcc, 0xffff97f8, v0
	s_nop 1
	v_addc_co_u32_e32 v1, vcc, -1, v1, vcc
	flat_store_dwordx2 v[0:1], v[30:31]
	s_endpgm
.LBB167_231:
	s_endpgm
	.section	.rodata,"a",@progbits
	.p2align	6, 0x0
	.amdhsa_kernel _ZN7rocprim17ROCPRIM_400000_NS6detail17trampoline_kernelINS0_14default_configENS1_27scan_by_key_config_selectorIllEEZZNS1_16scan_by_key_implILNS1_25lookback_scan_determinismE0ELb0ES3_N6thrust23THRUST_200600_302600_NS16reverse_iteratorIPKlEESD_NSA_IPlEElN6hipcub16HIPCUB_304000_NS3MaxENSH_8EqualityElEE10hipError_tPvRmT2_T3_T4_T5_mT6_T7_P12ihipStream_tbENKUlT_T0_E_clISt17integral_constantIbLb0EESZ_IbLb1EEEEDaSV_SW_EUlSV_E_NS1_11comp_targetILNS1_3genE0ELNS1_11target_archE4294967295ELNS1_3gpuE0ELNS1_3repE0EEENS1_30default_config_static_selectorELNS0_4arch9wavefront6targetE1EEEvT1_
		.amdhsa_group_segment_fixed_size 32768
		.amdhsa_private_segment_fixed_size 0
		.amdhsa_kernarg_size 136
		.amdhsa_user_sgpr_count 2
		.amdhsa_user_sgpr_dispatch_ptr 0
		.amdhsa_user_sgpr_queue_ptr 0
		.amdhsa_user_sgpr_kernarg_segment_ptr 1
		.amdhsa_user_sgpr_dispatch_id 0
		.amdhsa_user_sgpr_kernarg_preload_length 0
		.amdhsa_user_sgpr_kernarg_preload_offset 0
		.amdhsa_user_sgpr_private_segment_size 0
		.amdhsa_uses_dynamic_stack 0
		.amdhsa_enable_private_segment 0
		.amdhsa_system_sgpr_workgroup_id_x 1
		.amdhsa_system_sgpr_workgroup_id_y 0
		.amdhsa_system_sgpr_workgroup_id_z 0
		.amdhsa_system_sgpr_workgroup_info 0
		.amdhsa_system_vgpr_workitem_id 0
		.amdhsa_next_free_vgpr 108
		.amdhsa_next_free_sgpr 96
		.amdhsa_accum_offset 108
		.amdhsa_reserve_vcc 1
		.amdhsa_float_round_mode_32 0
		.amdhsa_float_round_mode_16_64 0
		.amdhsa_float_denorm_mode_32 3
		.amdhsa_float_denorm_mode_16_64 3
		.amdhsa_dx10_clamp 1
		.amdhsa_ieee_mode 1
		.amdhsa_fp16_overflow 0
		.amdhsa_tg_split 0
		.amdhsa_exception_fp_ieee_invalid_op 0
		.amdhsa_exception_fp_denorm_src 0
		.amdhsa_exception_fp_ieee_div_zero 0
		.amdhsa_exception_fp_ieee_overflow 0
		.amdhsa_exception_fp_ieee_underflow 0
		.amdhsa_exception_fp_ieee_inexact 0
		.amdhsa_exception_int_div_zero 0
	.end_amdhsa_kernel
	.section	.text._ZN7rocprim17ROCPRIM_400000_NS6detail17trampoline_kernelINS0_14default_configENS1_27scan_by_key_config_selectorIllEEZZNS1_16scan_by_key_implILNS1_25lookback_scan_determinismE0ELb0ES3_N6thrust23THRUST_200600_302600_NS16reverse_iteratorIPKlEESD_NSA_IPlEElN6hipcub16HIPCUB_304000_NS3MaxENSH_8EqualityElEE10hipError_tPvRmT2_T3_T4_T5_mT6_T7_P12ihipStream_tbENKUlT_T0_E_clISt17integral_constantIbLb0EESZ_IbLb1EEEEDaSV_SW_EUlSV_E_NS1_11comp_targetILNS1_3genE0ELNS1_11target_archE4294967295ELNS1_3gpuE0ELNS1_3repE0EEENS1_30default_config_static_selectorELNS0_4arch9wavefront6targetE1EEEvT1_,"axG",@progbits,_ZN7rocprim17ROCPRIM_400000_NS6detail17trampoline_kernelINS0_14default_configENS1_27scan_by_key_config_selectorIllEEZZNS1_16scan_by_key_implILNS1_25lookback_scan_determinismE0ELb0ES3_N6thrust23THRUST_200600_302600_NS16reverse_iteratorIPKlEESD_NSA_IPlEElN6hipcub16HIPCUB_304000_NS3MaxENSH_8EqualityElEE10hipError_tPvRmT2_T3_T4_T5_mT6_T7_P12ihipStream_tbENKUlT_T0_E_clISt17integral_constantIbLb0EESZ_IbLb1EEEEDaSV_SW_EUlSV_E_NS1_11comp_targetILNS1_3genE0ELNS1_11target_archE4294967295ELNS1_3gpuE0ELNS1_3repE0EEENS1_30default_config_static_selectorELNS0_4arch9wavefront6targetE1EEEvT1_,comdat
.Lfunc_end167:
	.size	_ZN7rocprim17ROCPRIM_400000_NS6detail17trampoline_kernelINS0_14default_configENS1_27scan_by_key_config_selectorIllEEZZNS1_16scan_by_key_implILNS1_25lookback_scan_determinismE0ELb0ES3_N6thrust23THRUST_200600_302600_NS16reverse_iteratorIPKlEESD_NSA_IPlEElN6hipcub16HIPCUB_304000_NS3MaxENSH_8EqualityElEE10hipError_tPvRmT2_T3_T4_T5_mT6_T7_P12ihipStream_tbENKUlT_T0_E_clISt17integral_constantIbLb0EESZ_IbLb1EEEEDaSV_SW_EUlSV_E_NS1_11comp_targetILNS1_3genE0ELNS1_11target_archE4294967295ELNS1_3gpuE0ELNS1_3repE0EEENS1_30default_config_static_selectorELNS0_4arch9wavefront6targetE1EEEvT1_, .Lfunc_end167-_ZN7rocprim17ROCPRIM_400000_NS6detail17trampoline_kernelINS0_14default_configENS1_27scan_by_key_config_selectorIllEEZZNS1_16scan_by_key_implILNS1_25lookback_scan_determinismE0ELb0ES3_N6thrust23THRUST_200600_302600_NS16reverse_iteratorIPKlEESD_NSA_IPlEElN6hipcub16HIPCUB_304000_NS3MaxENSH_8EqualityElEE10hipError_tPvRmT2_T3_T4_T5_mT6_T7_P12ihipStream_tbENKUlT_T0_E_clISt17integral_constantIbLb0EESZ_IbLb1EEEEDaSV_SW_EUlSV_E_NS1_11comp_targetILNS1_3genE0ELNS1_11target_archE4294967295ELNS1_3gpuE0ELNS1_3repE0EEENS1_30default_config_static_selectorELNS0_4arch9wavefront6targetE1EEEvT1_
                                        ; -- End function
	.set _ZN7rocprim17ROCPRIM_400000_NS6detail17trampoline_kernelINS0_14default_configENS1_27scan_by_key_config_selectorIllEEZZNS1_16scan_by_key_implILNS1_25lookback_scan_determinismE0ELb0ES3_N6thrust23THRUST_200600_302600_NS16reverse_iteratorIPKlEESD_NSA_IPlEElN6hipcub16HIPCUB_304000_NS3MaxENSH_8EqualityElEE10hipError_tPvRmT2_T3_T4_T5_mT6_T7_P12ihipStream_tbENKUlT_T0_E_clISt17integral_constantIbLb0EESZ_IbLb1EEEEDaSV_SW_EUlSV_E_NS1_11comp_targetILNS1_3genE0ELNS1_11target_archE4294967295ELNS1_3gpuE0ELNS1_3repE0EEENS1_30default_config_static_selectorELNS0_4arch9wavefront6targetE1EEEvT1_.num_vgpr, 108
	.set _ZN7rocprim17ROCPRIM_400000_NS6detail17trampoline_kernelINS0_14default_configENS1_27scan_by_key_config_selectorIllEEZZNS1_16scan_by_key_implILNS1_25lookback_scan_determinismE0ELb0ES3_N6thrust23THRUST_200600_302600_NS16reverse_iteratorIPKlEESD_NSA_IPlEElN6hipcub16HIPCUB_304000_NS3MaxENSH_8EqualityElEE10hipError_tPvRmT2_T3_T4_T5_mT6_T7_P12ihipStream_tbENKUlT_T0_E_clISt17integral_constantIbLb0EESZ_IbLb1EEEEDaSV_SW_EUlSV_E_NS1_11comp_targetILNS1_3genE0ELNS1_11target_archE4294967295ELNS1_3gpuE0ELNS1_3repE0EEENS1_30default_config_static_selectorELNS0_4arch9wavefront6targetE1EEEvT1_.num_agpr, 0
	.set _ZN7rocprim17ROCPRIM_400000_NS6detail17trampoline_kernelINS0_14default_configENS1_27scan_by_key_config_selectorIllEEZZNS1_16scan_by_key_implILNS1_25lookback_scan_determinismE0ELb0ES3_N6thrust23THRUST_200600_302600_NS16reverse_iteratorIPKlEESD_NSA_IPlEElN6hipcub16HIPCUB_304000_NS3MaxENSH_8EqualityElEE10hipError_tPvRmT2_T3_T4_T5_mT6_T7_P12ihipStream_tbENKUlT_T0_E_clISt17integral_constantIbLb0EESZ_IbLb1EEEEDaSV_SW_EUlSV_E_NS1_11comp_targetILNS1_3genE0ELNS1_11target_archE4294967295ELNS1_3gpuE0ELNS1_3repE0EEENS1_30default_config_static_selectorELNS0_4arch9wavefront6targetE1EEEvT1_.numbered_sgpr, 93
	.set _ZN7rocprim17ROCPRIM_400000_NS6detail17trampoline_kernelINS0_14default_configENS1_27scan_by_key_config_selectorIllEEZZNS1_16scan_by_key_implILNS1_25lookback_scan_determinismE0ELb0ES3_N6thrust23THRUST_200600_302600_NS16reverse_iteratorIPKlEESD_NSA_IPlEElN6hipcub16HIPCUB_304000_NS3MaxENSH_8EqualityElEE10hipError_tPvRmT2_T3_T4_T5_mT6_T7_P12ihipStream_tbENKUlT_T0_E_clISt17integral_constantIbLb0EESZ_IbLb1EEEEDaSV_SW_EUlSV_E_NS1_11comp_targetILNS1_3genE0ELNS1_11target_archE4294967295ELNS1_3gpuE0ELNS1_3repE0EEENS1_30default_config_static_selectorELNS0_4arch9wavefront6targetE1EEEvT1_.num_named_barrier, 0
	.set _ZN7rocprim17ROCPRIM_400000_NS6detail17trampoline_kernelINS0_14default_configENS1_27scan_by_key_config_selectorIllEEZZNS1_16scan_by_key_implILNS1_25lookback_scan_determinismE0ELb0ES3_N6thrust23THRUST_200600_302600_NS16reverse_iteratorIPKlEESD_NSA_IPlEElN6hipcub16HIPCUB_304000_NS3MaxENSH_8EqualityElEE10hipError_tPvRmT2_T3_T4_T5_mT6_T7_P12ihipStream_tbENKUlT_T0_E_clISt17integral_constantIbLb0EESZ_IbLb1EEEEDaSV_SW_EUlSV_E_NS1_11comp_targetILNS1_3genE0ELNS1_11target_archE4294967295ELNS1_3gpuE0ELNS1_3repE0EEENS1_30default_config_static_selectorELNS0_4arch9wavefront6targetE1EEEvT1_.private_seg_size, 0
	.set _ZN7rocprim17ROCPRIM_400000_NS6detail17trampoline_kernelINS0_14default_configENS1_27scan_by_key_config_selectorIllEEZZNS1_16scan_by_key_implILNS1_25lookback_scan_determinismE0ELb0ES3_N6thrust23THRUST_200600_302600_NS16reverse_iteratorIPKlEESD_NSA_IPlEElN6hipcub16HIPCUB_304000_NS3MaxENSH_8EqualityElEE10hipError_tPvRmT2_T3_T4_T5_mT6_T7_P12ihipStream_tbENKUlT_T0_E_clISt17integral_constantIbLb0EESZ_IbLb1EEEEDaSV_SW_EUlSV_E_NS1_11comp_targetILNS1_3genE0ELNS1_11target_archE4294967295ELNS1_3gpuE0ELNS1_3repE0EEENS1_30default_config_static_selectorELNS0_4arch9wavefront6targetE1EEEvT1_.uses_vcc, 1
	.set _ZN7rocprim17ROCPRIM_400000_NS6detail17trampoline_kernelINS0_14default_configENS1_27scan_by_key_config_selectorIllEEZZNS1_16scan_by_key_implILNS1_25lookback_scan_determinismE0ELb0ES3_N6thrust23THRUST_200600_302600_NS16reverse_iteratorIPKlEESD_NSA_IPlEElN6hipcub16HIPCUB_304000_NS3MaxENSH_8EqualityElEE10hipError_tPvRmT2_T3_T4_T5_mT6_T7_P12ihipStream_tbENKUlT_T0_E_clISt17integral_constantIbLb0EESZ_IbLb1EEEEDaSV_SW_EUlSV_E_NS1_11comp_targetILNS1_3genE0ELNS1_11target_archE4294967295ELNS1_3gpuE0ELNS1_3repE0EEENS1_30default_config_static_selectorELNS0_4arch9wavefront6targetE1EEEvT1_.uses_flat_scratch, 0
	.set _ZN7rocprim17ROCPRIM_400000_NS6detail17trampoline_kernelINS0_14default_configENS1_27scan_by_key_config_selectorIllEEZZNS1_16scan_by_key_implILNS1_25lookback_scan_determinismE0ELb0ES3_N6thrust23THRUST_200600_302600_NS16reverse_iteratorIPKlEESD_NSA_IPlEElN6hipcub16HIPCUB_304000_NS3MaxENSH_8EqualityElEE10hipError_tPvRmT2_T3_T4_T5_mT6_T7_P12ihipStream_tbENKUlT_T0_E_clISt17integral_constantIbLb0EESZ_IbLb1EEEEDaSV_SW_EUlSV_E_NS1_11comp_targetILNS1_3genE0ELNS1_11target_archE4294967295ELNS1_3gpuE0ELNS1_3repE0EEENS1_30default_config_static_selectorELNS0_4arch9wavefront6targetE1EEEvT1_.has_dyn_sized_stack, 0
	.set _ZN7rocprim17ROCPRIM_400000_NS6detail17trampoline_kernelINS0_14default_configENS1_27scan_by_key_config_selectorIllEEZZNS1_16scan_by_key_implILNS1_25lookback_scan_determinismE0ELb0ES3_N6thrust23THRUST_200600_302600_NS16reverse_iteratorIPKlEESD_NSA_IPlEElN6hipcub16HIPCUB_304000_NS3MaxENSH_8EqualityElEE10hipError_tPvRmT2_T3_T4_T5_mT6_T7_P12ihipStream_tbENKUlT_T0_E_clISt17integral_constantIbLb0EESZ_IbLb1EEEEDaSV_SW_EUlSV_E_NS1_11comp_targetILNS1_3genE0ELNS1_11target_archE4294967295ELNS1_3gpuE0ELNS1_3repE0EEENS1_30default_config_static_selectorELNS0_4arch9wavefront6targetE1EEEvT1_.has_recursion, 0
	.set _ZN7rocprim17ROCPRIM_400000_NS6detail17trampoline_kernelINS0_14default_configENS1_27scan_by_key_config_selectorIllEEZZNS1_16scan_by_key_implILNS1_25lookback_scan_determinismE0ELb0ES3_N6thrust23THRUST_200600_302600_NS16reverse_iteratorIPKlEESD_NSA_IPlEElN6hipcub16HIPCUB_304000_NS3MaxENSH_8EqualityElEE10hipError_tPvRmT2_T3_T4_T5_mT6_T7_P12ihipStream_tbENKUlT_T0_E_clISt17integral_constantIbLb0EESZ_IbLb1EEEEDaSV_SW_EUlSV_E_NS1_11comp_targetILNS1_3genE0ELNS1_11target_archE4294967295ELNS1_3gpuE0ELNS1_3repE0EEENS1_30default_config_static_selectorELNS0_4arch9wavefront6targetE1EEEvT1_.has_indirect_call, 0
	.section	.AMDGPU.csdata,"",@progbits
; Kernel info:
; codeLenInByte = 17164
; TotalNumSgprs: 99
; NumVgprs: 108
; NumAgprs: 0
; TotalNumVgprs: 108
; ScratchSize: 0
; MemoryBound: 0
; FloatMode: 240
; IeeeMode: 1
; LDSByteSize: 32768 bytes/workgroup (compile time only)
; SGPRBlocks: 12
; VGPRBlocks: 13
; NumSGPRsForWavesPerEU: 102
; NumVGPRsForWavesPerEU: 108
; AccumOffset: 108
; Occupancy: 4
; WaveLimiterHint : 1
; COMPUTE_PGM_RSRC2:SCRATCH_EN: 0
; COMPUTE_PGM_RSRC2:USER_SGPR: 2
; COMPUTE_PGM_RSRC2:TRAP_HANDLER: 0
; COMPUTE_PGM_RSRC2:TGID_X_EN: 1
; COMPUTE_PGM_RSRC2:TGID_Y_EN: 0
; COMPUTE_PGM_RSRC2:TGID_Z_EN: 0
; COMPUTE_PGM_RSRC2:TIDIG_COMP_CNT: 0
; COMPUTE_PGM_RSRC3_GFX90A:ACCUM_OFFSET: 26
; COMPUTE_PGM_RSRC3_GFX90A:TG_SPLIT: 0
	.section	.text._ZN7rocprim17ROCPRIM_400000_NS6detail17trampoline_kernelINS0_14default_configENS1_27scan_by_key_config_selectorIllEEZZNS1_16scan_by_key_implILNS1_25lookback_scan_determinismE0ELb0ES3_N6thrust23THRUST_200600_302600_NS16reverse_iteratorIPKlEESD_NSA_IPlEElN6hipcub16HIPCUB_304000_NS3MaxENSH_8EqualityElEE10hipError_tPvRmT2_T3_T4_T5_mT6_T7_P12ihipStream_tbENKUlT_T0_E_clISt17integral_constantIbLb0EESZ_IbLb1EEEEDaSV_SW_EUlSV_E_NS1_11comp_targetILNS1_3genE10ELNS1_11target_archE1201ELNS1_3gpuE5ELNS1_3repE0EEENS1_30default_config_static_selectorELNS0_4arch9wavefront6targetE1EEEvT1_,"axG",@progbits,_ZN7rocprim17ROCPRIM_400000_NS6detail17trampoline_kernelINS0_14default_configENS1_27scan_by_key_config_selectorIllEEZZNS1_16scan_by_key_implILNS1_25lookback_scan_determinismE0ELb0ES3_N6thrust23THRUST_200600_302600_NS16reverse_iteratorIPKlEESD_NSA_IPlEElN6hipcub16HIPCUB_304000_NS3MaxENSH_8EqualityElEE10hipError_tPvRmT2_T3_T4_T5_mT6_T7_P12ihipStream_tbENKUlT_T0_E_clISt17integral_constantIbLb0EESZ_IbLb1EEEEDaSV_SW_EUlSV_E_NS1_11comp_targetILNS1_3genE10ELNS1_11target_archE1201ELNS1_3gpuE5ELNS1_3repE0EEENS1_30default_config_static_selectorELNS0_4arch9wavefront6targetE1EEEvT1_,comdat
	.protected	_ZN7rocprim17ROCPRIM_400000_NS6detail17trampoline_kernelINS0_14default_configENS1_27scan_by_key_config_selectorIllEEZZNS1_16scan_by_key_implILNS1_25lookback_scan_determinismE0ELb0ES3_N6thrust23THRUST_200600_302600_NS16reverse_iteratorIPKlEESD_NSA_IPlEElN6hipcub16HIPCUB_304000_NS3MaxENSH_8EqualityElEE10hipError_tPvRmT2_T3_T4_T5_mT6_T7_P12ihipStream_tbENKUlT_T0_E_clISt17integral_constantIbLb0EESZ_IbLb1EEEEDaSV_SW_EUlSV_E_NS1_11comp_targetILNS1_3genE10ELNS1_11target_archE1201ELNS1_3gpuE5ELNS1_3repE0EEENS1_30default_config_static_selectorELNS0_4arch9wavefront6targetE1EEEvT1_ ; -- Begin function _ZN7rocprim17ROCPRIM_400000_NS6detail17trampoline_kernelINS0_14default_configENS1_27scan_by_key_config_selectorIllEEZZNS1_16scan_by_key_implILNS1_25lookback_scan_determinismE0ELb0ES3_N6thrust23THRUST_200600_302600_NS16reverse_iteratorIPKlEESD_NSA_IPlEElN6hipcub16HIPCUB_304000_NS3MaxENSH_8EqualityElEE10hipError_tPvRmT2_T3_T4_T5_mT6_T7_P12ihipStream_tbENKUlT_T0_E_clISt17integral_constantIbLb0EESZ_IbLb1EEEEDaSV_SW_EUlSV_E_NS1_11comp_targetILNS1_3genE10ELNS1_11target_archE1201ELNS1_3gpuE5ELNS1_3repE0EEENS1_30default_config_static_selectorELNS0_4arch9wavefront6targetE1EEEvT1_
	.globl	_ZN7rocprim17ROCPRIM_400000_NS6detail17trampoline_kernelINS0_14default_configENS1_27scan_by_key_config_selectorIllEEZZNS1_16scan_by_key_implILNS1_25lookback_scan_determinismE0ELb0ES3_N6thrust23THRUST_200600_302600_NS16reverse_iteratorIPKlEESD_NSA_IPlEElN6hipcub16HIPCUB_304000_NS3MaxENSH_8EqualityElEE10hipError_tPvRmT2_T3_T4_T5_mT6_T7_P12ihipStream_tbENKUlT_T0_E_clISt17integral_constantIbLb0EESZ_IbLb1EEEEDaSV_SW_EUlSV_E_NS1_11comp_targetILNS1_3genE10ELNS1_11target_archE1201ELNS1_3gpuE5ELNS1_3repE0EEENS1_30default_config_static_selectorELNS0_4arch9wavefront6targetE1EEEvT1_
	.p2align	8
	.type	_ZN7rocprim17ROCPRIM_400000_NS6detail17trampoline_kernelINS0_14default_configENS1_27scan_by_key_config_selectorIllEEZZNS1_16scan_by_key_implILNS1_25lookback_scan_determinismE0ELb0ES3_N6thrust23THRUST_200600_302600_NS16reverse_iteratorIPKlEESD_NSA_IPlEElN6hipcub16HIPCUB_304000_NS3MaxENSH_8EqualityElEE10hipError_tPvRmT2_T3_T4_T5_mT6_T7_P12ihipStream_tbENKUlT_T0_E_clISt17integral_constantIbLb0EESZ_IbLb1EEEEDaSV_SW_EUlSV_E_NS1_11comp_targetILNS1_3genE10ELNS1_11target_archE1201ELNS1_3gpuE5ELNS1_3repE0EEENS1_30default_config_static_selectorELNS0_4arch9wavefront6targetE1EEEvT1_,@function
_ZN7rocprim17ROCPRIM_400000_NS6detail17trampoline_kernelINS0_14default_configENS1_27scan_by_key_config_selectorIllEEZZNS1_16scan_by_key_implILNS1_25lookback_scan_determinismE0ELb0ES3_N6thrust23THRUST_200600_302600_NS16reverse_iteratorIPKlEESD_NSA_IPlEElN6hipcub16HIPCUB_304000_NS3MaxENSH_8EqualityElEE10hipError_tPvRmT2_T3_T4_T5_mT6_T7_P12ihipStream_tbENKUlT_T0_E_clISt17integral_constantIbLb0EESZ_IbLb1EEEEDaSV_SW_EUlSV_E_NS1_11comp_targetILNS1_3genE10ELNS1_11target_archE1201ELNS1_3gpuE5ELNS1_3repE0EEENS1_30default_config_static_selectorELNS0_4arch9wavefront6targetE1EEEvT1_: ; @_ZN7rocprim17ROCPRIM_400000_NS6detail17trampoline_kernelINS0_14default_configENS1_27scan_by_key_config_selectorIllEEZZNS1_16scan_by_key_implILNS1_25lookback_scan_determinismE0ELb0ES3_N6thrust23THRUST_200600_302600_NS16reverse_iteratorIPKlEESD_NSA_IPlEElN6hipcub16HIPCUB_304000_NS3MaxENSH_8EqualityElEE10hipError_tPvRmT2_T3_T4_T5_mT6_T7_P12ihipStream_tbENKUlT_T0_E_clISt17integral_constantIbLb0EESZ_IbLb1EEEEDaSV_SW_EUlSV_E_NS1_11comp_targetILNS1_3genE10ELNS1_11target_archE1201ELNS1_3gpuE5ELNS1_3repE0EEENS1_30default_config_static_selectorELNS0_4arch9wavefront6targetE1EEEvT1_
; %bb.0:
	.section	.rodata,"a",@progbits
	.p2align	6, 0x0
	.amdhsa_kernel _ZN7rocprim17ROCPRIM_400000_NS6detail17trampoline_kernelINS0_14default_configENS1_27scan_by_key_config_selectorIllEEZZNS1_16scan_by_key_implILNS1_25lookback_scan_determinismE0ELb0ES3_N6thrust23THRUST_200600_302600_NS16reverse_iteratorIPKlEESD_NSA_IPlEElN6hipcub16HIPCUB_304000_NS3MaxENSH_8EqualityElEE10hipError_tPvRmT2_T3_T4_T5_mT6_T7_P12ihipStream_tbENKUlT_T0_E_clISt17integral_constantIbLb0EESZ_IbLb1EEEEDaSV_SW_EUlSV_E_NS1_11comp_targetILNS1_3genE10ELNS1_11target_archE1201ELNS1_3gpuE5ELNS1_3repE0EEENS1_30default_config_static_selectorELNS0_4arch9wavefront6targetE1EEEvT1_
		.amdhsa_group_segment_fixed_size 0
		.amdhsa_private_segment_fixed_size 0
		.amdhsa_kernarg_size 136
		.amdhsa_user_sgpr_count 2
		.amdhsa_user_sgpr_dispatch_ptr 0
		.amdhsa_user_sgpr_queue_ptr 0
		.amdhsa_user_sgpr_kernarg_segment_ptr 1
		.amdhsa_user_sgpr_dispatch_id 0
		.amdhsa_user_sgpr_kernarg_preload_length 0
		.amdhsa_user_sgpr_kernarg_preload_offset 0
		.amdhsa_user_sgpr_private_segment_size 0
		.amdhsa_uses_dynamic_stack 0
		.amdhsa_enable_private_segment 0
		.amdhsa_system_sgpr_workgroup_id_x 1
		.amdhsa_system_sgpr_workgroup_id_y 0
		.amdhsa_system_sgpr_workgroup_id_z 0
		.amdhsa_system_sgpr_workgroup_info 0
		.amdhsa_system_vgpr_workitem_id 0
		.amdhsa_next_free_vgpr 1
		.amdhsa_next_free_sgpr 0
		.amdhsa_accum_offset 4
		.amdhsa_reserve_vcc 0
		.amdhsa_float_round_mode_32 0
		.amdhsa_float_round_mode_16_64 0
		.amdhsa_float_denorm_mode_32 3
		.amdhsa_float_denorm_mode_16_64 3
		.amdhsa_dx10_clamp 1
		.amdhsa_ieee_mode 1
		.amdhsa_fp16_overflow 0
		.amdhsa_tg_split 0
		.amdhsa_exception_fp_ieee_invalid_op 0
		.amdhsa_exception_fp_denorm_src 0
		.amdhsa_exception_fp_ieee_div_zero 0
		.amdhsa_exception_fp_ieee_overflow 0
		.amdhsa_exception_fp_ieee_underflow 0
		.amdhsa_exception_fp_ieee_inexact 0
		.amdhsa_exception_int_div_zero 0
	.end_amdhsa_kernel
	.section	.text._ZN7rocprim17ROCPRIM_400000_NS6detail17trampoline_kernelINS0_14default_configENS1_27scan_by_key_config_selectorIllEEZZNS1_16scan_by_key_implILNS1_25lookback_scan_determinismE0ELb0ES3_N6thrust23THRUST_200600_302600_NS16reverse_iteratorIPKlEESD_NSA_IPlEElN6hipcub16HIPCUB_304000_NS3MaxENSH_8EqualityElEE10hipError_tPvRmT2_T3_T4_T5_mT6_T7_P12ihipStream_tbENKUlT_T0_E_clISt17integral_constantIbLb0EESZ_IbLb1EEEEDaSV_SW_EUlSV_E_NS1_11comp_targetILNS1_3genE10ELNS1_11target_archE1201ELNS1_3gpuE5ELNS1_3repE0EEENS1_30default_config_static_selectorELNS0_4arch9wavefront6targetE1EEEvT1_,"axG",@progbits,_ZN7rocprim17ROCPRIM_400000_NS6detail17trampoline_kernelINS0_14default_configENS1_27scan_by_key_config_selectorIllEEZZNS1_16scan_by_key_implILNS1_25lookback_scan_determinismE0ELb0ES3_N6thrust23THRUST_200600_302600_NS16reverse_iteratorIPKlEESD_NSA_IPlEElN6hipcub16HIPCUB_304000_NS3MaxENSH_8EqualityElEE10hipError_tPvRmT2_T3_T4_T5_mT6_T7_P12ihipStream_tbENKUlT_T0_E_clISt17integral_constantIbLb0EESZ_IbLb1EEEEDaSV_SW_EUlSV_E_NS1_11comp_targetILNS1_3genE10ELNS1_11target_archE1201ELNS1_3gpuE5ELNS1_3repE0EEENS1_30default_config_static_selectorELNS0_4arch9wavefront6targetE1EEEvT1_,comdat
.Lfunc_end168:
	.size	_ZN7rocprim17ROCPRIM_400000_NS6detail17trampoline_kernelINS0_14default_configENS1_27scan_by_key_config_selectorIllEEZZNS1_16scan_by_key_implILNS1_25lookback_scan_determinismE0ELb0ES3_N6thrust23THRUST_200600_302600_NS16reverse_iteratorIPKlEESD_NSA_IPlEElN6hipcub16HIPCUB_304000_NS3MaxENSH_8EqualityElEE10hipError_tPvRmT2_T3_T4_T5_mT6_T7_P12ihipStream_tbENKUlT_T0_E_clISt17integral_constantIbLb0EESZ_IbLb1EEEEDaSV_SW_EUlSV_E_NS1_11comp_targetILNS1_3genE10ELNS1_11target_archE1201ELNS1_3gpuE5ELNS1_3repE0EEENS1_30default_config_static_selectorELNS0_4arch9wavefront6targetE1EEEvT1_, .Lfunc_end168-_ZN7rocprim17ROCPRIM_400000_NS6detail17trampoline_kernelINS0_14default_configENS1_27scan_by_key_config_selectorIllEEZZNS1_16scan_by_key_implILNS1_25lookback_scan_determinismE0ELb0ES3_N6thrust23THRUST_200600_302600_NS16reverse_iteratorIPKlEESD_NSA_IPlEElN6hipcub16HIPCUB_304000_NS3MaxENSH_8EqualityElEE10hipError_tPvRmT2_T3_T4_T5_mT6_T7_P12ihipStream_tbENKUlT_T0_E_clISt17integral_constantIbLb0EESZ_IbLb1EEEEDaSV_SW_EUlSV_E_NS1_11comp_targetILNS1_3genE10ELNS1_11target_archE1201ELNS1_3gpuE5ELNS1_3repE0EEENS1_30default_config_static_selectorELNS0_4arch9wavefront6targetE1EEEvT1_
                                        ; -- End function
	.set _ZN7rocprim17ROCPRIM_400000_NS6detail17trampoline_kernelINS0_14default_configENS1_27scan_by_key_config_selectorIllEEZZNS1_16scan_by_key_implILNS1_25lookback_scan_determinismE0ELb0ES3_N6thrust23THRUST_200600_302600_NS16reverse_iteratorIPKlEESD_NSA_IPlEElN6hipcub16HIPCUB_304000_NS3MaxENSH_8EqualityElEE10hipError_tPvRmT2_T3_T4_T5_mT6_T7_P12ihipStream_tbENKUlT_T0_E_clISt17integral_constantIbLb0EESZ_IbLb1EEEEDaSV_SW_EUlSV_E_NS1_11comp_targetILNS1_3genE10ELNS1_11target_archE1201ELNS1_3gpuE5ELNS1_3repE0EEENS1_30default_config_static_selectorELNS0_4arch9wavefront6targetE1EEEvT1_.num_vgpr, 0
	.set _ZN7rocprim17ROCPRIM_400000_NS6detail17trampoline_kernelINS0_14default_configENS1_27scan_by_key_config_selectorIllEEZZNS1_16scan_by_key_implILNS1_25lookback_scan_determinismE0ELb0ES3_N6thrust23THRUST_200600_302600_NS16reverse_iteratorIPKlEESD_NSA_IPlEElN6hipcub16HIPCUB_304000_NS3MaxENSH_8EqualityElEE10hipError_tPvRmT2_T3_T4_T5_mT6_T7_P12ihipStream_tbENKUlT_T0_E_clISt17integral_constantIbLb0EESZ_IbLb1EEEEDaSV_SW_EUlSV_E_NS1_11comp_targetILNS1_3genE10ELNS1_11target_archE1201ELNS1_3gpuE5ELNS1_3repE0EEENS1_30default_config_static_selectorELNS0_4arch9wavefront6targetE1EEEvT1_.num_agpr, 0
	.set _ZN7rocprim17ROCPRIM_400000_NS6detail17trampoline_kernelINS0_14default_configENS1_27scan_by_key_config_selectorIllEEZZNS1_16scan_by_key_implILNS1_25lookback_scan_determinismE0ELb0ES3_N6thrust23THRUST_200600_302600_NS16reverse_iteratorIPKlEESD_NSA_IPlEElN6hipcub16HIPCUB_304000_NS3MaxENSH_8EqualityElEE10hipError_tPvRmT2_T3_T4_T5_mT6_T7_P12ihipStream_tbENKUlT_T0_E_clISt17integral_constantIbLb0EESZ_IbLb1EEEEDaSV_SW_EUlSV_E_NS1_11comp_targetILNS1_3genE10ELNS1_11target_archE1201ELNS1_3gpuE5ELNS1_3repE0EEENS1_30default_config_static_selectorELNS0_4arch9wavefront6targetE1EEEvT1_.numbered_sgpr, 0
	.set _ZN7rocprim17ROCPRIM_400000_NS6detail17trampoline_kernelINS0_14default_configENS1_27scan_by_key_config_selectorIllEEZZNS1_16scan_by_key_implILNS1_25lookback_scan_determinismE0ELb0ES3_N6thrust23THRUST_200600_302600_NS16reverse_iteratorIPKlEESD_NSA_IPlEElN6hipcub16HIPCUB_304000_NS3MaxENSH_8EqualityElEE10hipError_tPvRmT2_T3_T4_T5_mT6_T7_P12ihipStream_tbENKUlT_T0_E_clISt17integral_constantIbLb0EESZ_IbLb1EEEEDaSV_SW_EUlSV_E_NS1_11comp_targetILNS1_3genE10ELNS1_11target_archE1201ELNS1_3gpuE5ELNS1_3repE0EEENS1_30default_config_static_selectorELNS0_4arch9wavefront6targetE1EEEvT1_.num_named_barrier, 0
	.set _ZN7rocprim17ROCPRIM_400000_NS6detail17trampoline_kernelINS0_14default_configENS1_27scan_by_key_config_selectorIllEEZZNS1_16scan_by_key_implILNS1_25lookback_scan_determinismE0ELb0ES3_N6thrust23THRUST_200600_302600_NS16reverse_iteratorIPKlEESD_NSA_IPlEElN6hipcub16HIPCUB_304000_NS3MaxENSH_8EqualityElEE10hipError_tPvRmT2_T3_T4_T5_mT6_T7_P12ihipStream_tbENKUlT_T0_E_clISt17integral_constantIbLb0EESZ_IbLb1EEEEDaSV_SW_EUlSV_E_NS1_11comp_targetILNS1_3genE10ELNS1_11target_archE1201ELNS1_3gpuE5ELNS1_3repE0EEENS1_30default_config_static_selectorELNS0_4arch9wavefront6targetE1EEEvT1_.private_seg_size, 0
	.set _ZN7rocprim17ROCPRIM_400000_NS6detail17trampoline_kernelINS0_14default_configENS1_27scan_by_key_config_selectorIllEEZZNS1_16scan_by_key_implILNS1_25lookback_scan_determinismE0ELb0ES3_N6thrust23THRUST_200600_302600_NS16reverse_iteratorIPKlEESD_NSA_IPlEElN6hipcub16HIPCUB_304000_NS3MaxENSH_8EqualityElEE10hipError_tPvRmT2_T3_T4_T5_mT6_T7_P12ihipStream_tbENKUlT_T0_E_clISt17integral_constantIbLb0EESZ_IbLb1EEEEDaSV_SW_EUlSV_E_NS1_11comp_targetILNS1_3genE10ELNS1_11target_archE1201ELNS1_3gpuE5ELNS1_3repE0EEENS1_30default_config_static_selectorELNS0_4arch9wavefront6targetE1EEEvT1_.uses_vcc, 0
	.set _ZN7rocprim17ROCPRIM_400000_NS6detail17trampoline_kernelINS0_14default_configENS1_27scan_by_key_config_selectorIllEEZZNS1_16scan_by_key_implILNS1_25lookback_scan_determinismE0ELb0ES3_N6thrust23THRUST_200600_302600_NS16reverse_iteratorIPKlEESD_NSA_IPlEElN6hipcub16HIPCUB_304000_NS3MaxENSH_8EqualityElEE10hipError_tPvRmT2_T3_T4_T5_mT6_T7_P12ihipStream_tbENKUlT_T0_E_clISt17integral_constantIbLb0EESZ_IbLb1EEEEDaSV_SW_EUlSV_E_NS1_11comp_targetILNS1_3genE10ELNS1_11target_archE1201ELNS1_3gpuE5ELNS1_3repE0EEENS1_30default_config_static_selectorELNS0_4arch9wavefront6targetE1EEEvT1_.uses_flat_scratch, 0
	.set _ZN7rocprim17ROCPRIM_400000_NS6detail17trampoline_kernelINS0_14default_configENS1_27scan_by_key_config_selectorIllEEZZNS1_16scan_by_key_implILNS1_25lookback_scan_determinismE0ELb0ES3_N6thrust23THRUST_200600_302600_NS16reverse_iteratorIPKlEESD_NSA_IPlEElN6hipcub16HIPCUB_304000_NS3MaxENSH_8EqualityElEE10hipError_tPvRmT2_T3_T4_T5_mT6_T7_P12ihipStream_tbENKUlT_T0_E_clISt17integral_constantIbLb0EESZ_IbLb1EEEEDaSV_SW_EUlSV_E_NS1_11comp_targetILNS1_3genE10ELNS1_11target_archE1201ELNS1_3gpuE5ELNS1_3repE0EEENS1_30default_config_static_selectorELNS0_4arch9wavefront6targetE1EEEvT1_.has_dyn_sized_stack, 0
	.set _ZN7rocprim17ROCPRIM_400000_NS6detail17trampoline_kernelINS0_14default_configENS1_27scan_by_key_config_selectorIllEEZZNS1_16scan_by_key_implILNS1_25lookback_scan_determinismE0ELb0ES3_N6thrust23THRUST_200600_302600_NS16reverse_iteratorIPKlEESD_NSA_IPlEElN6hipcub16HIPCUB_304000_NS3MaxENSH_8EqualityElEE10hipError_tPvRmT2_T3_T4_T5_mT6_T7_P12ihipStream_tbENKUlT_T0_E_clISt17integral_constantIbLb0EESZ_IbLb1EEEEDaSV_SW_EUlSV_E_NS1_11comp_targetILNS1_3genE10ELNS1_11target_archE1201ELNS1_3gpuE5ELNS1_3repE0EEENS1_30default_config_static_selectorELNS0_4arch9wavefront6targetE1EEEvT1_.has_recursion, 0
	.set _ZN7rocprim17ROCPRIM_400000_NS6detail17trampoline_kernelINS0_14default_configENS1_27scan_by_key_config_selectorIllEEZZNS1_16scan_by_key_implILNS1_25lookback_scan_determinismE0ELb0ES3_N6thrust23THRUST_200600_302600_NS16reverse_iteratorIPKlEESD_NSA_IPlEElN6hipcub16HIPCUB_304000_NS3MaxENSH_8EqualityElEE10hipError_tPvRmT2_T3_T4_T5_mT6_T7_P12ihipStream_tbENKUlT_T0_E_clISt17integral_constantIbLb0EESZ_IbLb1EEEEDaSV_SW_EUlSV_E_NS1_11comp_targetILNS1_3genE10ELNS1_11target_archE1201ELNS1_3gpuE5ELNS1_3repE0EEENS1_30default_config_static_selectorELNS0_4arch9wavefront6targetE1EEEvT1_.has_indirect_call, 0
	.section	.AMDGPU.csdata,"",@progbits
; Kernel info:
; codeLenInByte = 0
; TotalNumSgprs: 6
; NumVgprs: 0
; NumAgprs: 0
; TotalNumVgprs: 0
; ScratchSize: 0
; MemoryBound: 0
; FloatMode: 240
; IeeeMode: 1
; LDSByteSize: 0 bytes/workgroup (compile time only)
; SGPRBlocks: 0
; VGPRBlocks: 0
; NumSGPRsForWavesPerEU: 6
; NumVGPRsForWavesPerEU: 1
; AccumOffset: 4
; Occupancy: 8
; WaveLimiterHint : 0
; COMPUTE_PGM_RSRC2:SCRATCH_EN: 0
; COMPUTE_PGM_RSRC2:USER_SGPR: 2
; COMPUTE_PGM_RSRC2:TRAP_HANDLER: 0
; COMPUTE_PGM_RSRC2:TGID_X_EN: 1
; COMPUTE_PGM_RSRC2:TGID_Y_EN: 0
; COMPUTE_PGM_RSRC2:TGID_Z_EN: 0
; COMPUTE_PGM_RSRC2:TIDIG_COMP_CNT: 0
; COMPUTE_PGM_RSRC3_GFX90A:ACCUM_OFFSET: 0
; COMPUTE_PGM_RSRC3_GFX90A:TG_SPLIT: 0
	.section	.text._ZN7rocprim17ROCPRIM_400000_NS6detail17trampoline_kernelINS0_14default_configENS1_27scan_by_key_config_selectorIllEEZZNS1_16scan_by_key_implILNS1_25lookback_scan_determinismE0ELb0ES3_N6thrust23THRUST_200600_302600_NS16reverse_iteratorIPKlEESD_NSA_IPlEElN6hipcub16HIPCUB_304000_NS3MaxENSH_8EqualityElEE10hipError_tPvRmT2_T3_T4_T5_mT6_T7_P12ihipStream_tbENKUlT_T0_E_clISt17integral_constantIbLb0EESZ_IbLb1EEEEDaSV_SW_EUlSV_E_NS1_11comp_targetILNS1_3genE5ELNS1_11target_archE942ELNS1_3gpuE9ELNS1_3repE0EEENS1_30default_config_static_selectorELNS0_4arch9wavefront6targetE1EEEvT1_,"axG",@progbits,_ZN7rocprim17ROCPRIM_400000_NS6detail17trampoline_kernelINS0_14default_configENS1_27scan_by_key_config_selectorIllEEZZNS1_16scan_by_key_implILNS1_25lookback_scan_determinismE0ELb0ES3_N6thrust23THRUST_200600_302600_NS16reverse_iteratorIPKlEESD_NSA_IPlEElN6hipcub16HIPCUB_304000_NS3MaxENSH_8EqualityElEE10hipError_tPvRmT2_T3_T4_T5_mT6_T7_P12ihipStream_tbENKUlT_T0_E_clISt17integral_constantIbLb0EESZ_IbLb1EEEEDaSV_SW_EUlSV_E_NS1_11comp_targetILNS1_3genE5ELNS1_11target_archE942ELNS1_3gpuE9ELNS1_3repE0EEENS1_30default_config_static_selectorELNS0_4arch9wavefront6targetE1EEEvT1_,comdat
	.protected	_ZN7rocprim17ROCPRIM_400000_NS6detail17trampoline_kernelINS0_14default_configENS1_27scan_by_key_config_selectorIllEEZZNS1_16scan_by_key_implILNS1_25lookback_scan_determinismE0ELb0ES3_N6thrust23THRUST_200600_302600_NS16reverse_iteratorIPKlEESD_NSA_IPlEElN6hipcub16HIPCUB_304000_NS3MaxENSH_8EqualityElEE10hipError_tPvRmT2_T3_T4_T5_mT6_T7_P12ihipStream_tbENKUlT_T0_E_clISt17integral_constantIbLb0EESZ_IbLb1EEEEDaSV_SW_EUlSV_E_NS1_11comp_targetILNS1_3genE5ELNS1_11target_archE942ELNS1_3gpuE9ELNS1_3repE0EEENS1_30default_config_static_selectorELNS0_4arch9wavefront6targetE1EEEvT1_ ; -- Begin function _ZN7rocprim17ROCPRIM_400000_NS6detail17trampoline_kernelINS0_14default_configENS1_27scan_by_key_config_selectorIllEEZZNS1_16scan_by_key_implILNS1_25lookback_scan_determinismE0ELb0ES3_N6thrust23THRUST_200600_302600_NS16reverse_iteratorIPKlEESD_NSA_IPlEElN6hipcub16HIPCUB_304000_NS3MaxENSH_8EqualityElEE10hipError_tPvRmT2_T3_T4_T5_mT6_T7_P12ihipStream_tbENKUlT_T0_E_clISt17integral_constantIbLb0EESZ_IbLb1EEEEDaSV_SW_EUlSV_E_NS1_11comp_targetILNS1_3genE5ELNS1_11target_archE942ELNS1_3gpuE9ELNS1_3repE0EEENS1_30default_config_static_selectorELNS0_4arch9wavefront6targetE1EEEvT1_
	.globl	_ZN7rocprim17ROCPRIM_400000_NS6detail17trampoline_kernelINS0_14default_configENS1_27scan_by_key_config_selectorIllEEZZNS1_16scan_by_key_implILNS1_25lookback_scan_determinismE0ELb0ES3_N6thrust23THRUST_200600_302600_NS16reverse_iteratorIPKlEESD_NSA_IPlEElN6hipcub16HIPCUB_304000_NS3MaxENSH_8EqualityElEE10hipError_tPvRmT2_T3_T4_T5_mT6_T7_P12ihipStream_tbENKUlT_T0_E_clISt17integral_constantIbLb0EESZ_IbLb1EEEEDaSV_SW_EUlSV_E_NS1_11comp_targetILNS1_3genE5ELNS1_11target_archE942ELNS1_3gpuE9ELNS1_3repE0EEENS1_30default_config_static_selectorELNS0_4arch9wavefront6targetE1EEEvT1_
	.p2align	8
	.type	_ZN7rocprim17ROCPRIM_400000_NS6detail17trampoline_kernelINS0_14default_configENS1_27scan_by_key_config_selectorIllEEZZNS1_16scan_by_key_implILNS1_25lookback_scan_determinismE0ELb0ES3_N6thrust23THRUST_200600_302600_NS16reverse_iteratorIPKlEESD_NSA_IPlEElN6hipcub16HIPCUB_304000_NS3MaxENSH_8EqualityElEE10hipError_tPvRmT2_T3_T4_T5_mT6_T7_P12ihipStream_tbENKUlT_T0_E_clISt17integral_constantIbLb0EESZ_IbLb1EEEEDaSV_SW_EUlSV_E_NS1_11comp_targetILNS1_3genE5ELNS1_11target_archE942ELNS1_3gpuE9ELNS1_3repE0EEENS1_30default_config_static_selectorELNS0_4arch9wavefront6targetE1EEEvT1_,@function
_ZN7rocprim17ROCPRIM_400000_NS6detail17trampoline_kernelINS0_14default_configENS1_27scan_by_key_config_selectorIllEEZZNS1_16scan_by_key_implILNS1_25lookback_scan_determinismE0ELb0ES3_N6thrust23THRUST_200600_302600_NS16reverse_iteratorIPKlEESD_NSA_IPlEElN6hipcub16HIPCUB_304000_NS3MaxENSH_8EqualityElEE10hipError_tPvRmT2_T3_T4_T5_mT6_T7_P12ihipStream_tbENKUlT_T0_E_clISt17integral_constantIbLb0EESZ_IbLb1EEEEDaSV_SW_EUlSV_E_NS1_11comp_targetILNS1_3genE5ELNS1_11target_archE942ELNS1_3gpuE9ELNS1_3repE0EEENS1_30default_config_static_selectorELNS0_4arch9wavefront6targetE1EEEvT1_: ; @_ZN7rocprim17ROCPRIM_400000_NS6detail17trampoline_kernelINS0_14default_configENS1_27scan_by_key_config_selectorIllEEZZNS1_16scan_by_key_implILNS1_25lookback_scan_determinismE0ELb0ES3_N6thrust23THRUST_200600_302600_NS16reverse_iteratorIPKlEESD_NSA_IPlEElN6hipcub16HIPCUB_304000_NS3MaxENSH_8EqualityElEE10hipError_tPvRmT2_T3_T4_T5_mT6_T7_P12ihipStream_tbENKUlT_T0_E_clISt17integral_constantIbLb0EESZ_IbLb1EEEEDaSV_SW_EUlSV_E_NS1_11comp_targetILNS1_3genE5ELNS1_11target_archE942ELNS1_3gpuE9ELNS1_3repE0EEENS1_30default_config_static_selectorELNS0_4arch9wavefront6targetE1EEEvT1_
; %bb.0:
	.section	.rodata,"a",@progbits
	.p2align	6, 0x0
	.amdhsa_kernel _ZN7rocprim17ROCPRIM_400000_NS6detail17trampoline_kernelINS0_14default_configENS1_27scan_by_key_config_selectorIllEEZZNS1_16scan_by_key_implILNS1_25lookback_scan_determinismE0ELb0ES3_N6thrust23THRUST_200600_302600_NS16reverse_iteratorIPKlEESD_NSA_IPlEElN6hipcub16HIPCUB_304000_NS3MaxENSH_8EqualityElEE10hipError_tPvRmT2_T3_T4_T5_mT6_T7_P12ihipStream_tbENKUlT_T0_E_clISt17integral_constantIbLb0EESZ_IbLb1EEEEDaSV_SW_EUlSV_E_NS1_11comp_targetILNS1_3genE5ELNS1_11target_archE942ELNS1_3gpuE9ELNS1_3repE0EEENS1_30default_config_static_selectorELNS0_4arch9wavefront6targetE1EEEvT1_
		.amdhsa_group_segment_fixed_size 0
		.amdhsa_private_segment_fixed_size 0
		.amdhsa_kernarg_size 136
		.amdhsa_user_sgpr_count 2
		.amdhsa_user_sgpr_dispatch_ptr 0
		.amdhsa_user_sgpr_queue_ptr 0
		.amdhsa_user_sgpr_kernarg_segment_ptr 1
		.amdhsa_user_sgpr_dispatch_id 0
		.amdhsa_user_sgpr_kernarg_preload_length 0
		.amdhsa_user_sgpr_kernarg_preload_offset 0
		.amdhsa_user_sgpr_private_segment_size 0
		.amdhsa_uses_dynamic_stack 0
		.amdhsa_enable_private_segment 0
		.amdhsa_system_sgpr_workgroup_id_x 1
		.amdhsa_system_sgpr_workgroup_id_y 0
		.amdhsa_system_sgpr_workgroup_id_z 0
		.amdhsa_system_sgpr_workgroup_info 0
		.amdhsa_system_vgpr_workitem_id 0
		.amdhsa_next_free_vgpr 1
		.amdhsa_next_free_sgpr 0
		.amdhsa_accum_offset 4
		.amdhsa_reserve_vcc 0
		.amdhsa_float_round_mode_32 0
		.amdhsa_float_round_mode_16_64 0
		.amdhsa_float_denorm_mode_32 3
		.amdhsa_float_denorm_mode_16_64 3
		.amdhsa_dx10_clamp 1
		.amdhsa_ieee_mode 1
		.amdhsa_fp16_overflow 0
		.amdhsa_tg_split 0
		.amdhsa_exception_fp_ieee_invalid_op 0
		.amdhsa_exception_fp_denorm_src 0
		.amdhsa_exception_fp_ieee_div_zero 0
		.amdhsa_exception_fp_ieee_overflow 0
		.amdhsa_exception_fp_ieee_underflow 0
		.amdhsa_exception_fp_ieee_inexact 0
		.amdhsa_exception_int_div_zero 0
	.end_amdhsa_kernel
	.section	.text._ZN7rocprim17ROCPRIM_400000_NS6detail17trampoline_kernelINS0_14default_configENS1_27scan_by_key_config_selectorIllEEZZNS1_16scan_by_key_implILNS1_25lookback_scan_determinismE0ELb0ES3_N6thrust23THRUST_200600_302600_NS16reverse_iteratorIPKlEESD_NSA_IPlEElN6hipcub16HIPCUB_304000_NS3MaxENSH_8EqualityElEE10hipError_tPvRmT2_T3_T4_T5_mT6_T7_P12ihipStream_tbENKUlT_T0_E_clISt17integral_constantIbLb0EESZ_IbLb1EEEEDaSV_SW_EUlSV_E_NS1_11comp_targetILNS1_3genE5ELNS1_11target_archE942ELNS1_3gpuE9ELNS1_3repE0EEENS1_30default_config_static_selectorELNS0_4arch9wavefront6targetE1EEEvT1_,"axG",@progbits,_ZN7rocprim17ROCPRIM_400000_NS6detail17trampoline_kernelINS0_14default_configENS1_27scan_by_key_config_selectorIllEEZZNS1_16scan_by_key_implILNS1_25lookback_scan_determinismE0ELb0ES3_N6thrust23THRUST_200600_302600_NS16reverse_iteratorIPKlEESD_NSA_IPlEElN6hipcub16HIPCUB_304000_NS3MaxENSH_8EqualityElEE10hipError_tPvRmT2_T3_T4_T5_mT6_T7_P12ihipStream_tbENKUlT_T0_E_clISt17integral_constantIbLb0EESZ_IbLb1EEEEDaSV_SW_EUlSV_E_NS1_11comp_targetILNS1_3genE5ELNS1_11target_archE942ELNS1_3gpuE9ELNS1_3repE0EEENS1_30default_config_static_selectorELNS0_4arch9wavefront6targetE1EEEvT1_,comdat
.Lfunc_end169:
	.size	_ZN7rocprim17ROCPRIM_400000_NS6detail17trampoline_kernelINS0_14default_configENS1_27scan_by_key_config_selectorIllEEZZNS1_16scan_by_key_implILNS1_25lookback_scan_determinismE0ELb0ES3_N6thrust23THRUST_200600_302600_NS16reverse_iteratorIPKlEESD_NSA_IPlEElN6hipcub16HIPCUB_304000_NS3MaxENSH_8EqualityElEE10hipError_tPvRmT2_T3_T4_T5_mT6_T7_P12ihipStream_tbENKUlT_T0_E_clISt17integral_constantIbLb0EESZ_IbLb1EEEEDaSV_SW_EUlSV_E_NS1_11comp_targetILNS1_3genE5ELNS1_11target_archE942ELNS1_3gpuE9ELNS1_3repE0EEENS1_30default_config_static_selectorELNS0_4arch9wavefront6targetE1EEEvT1_, .Lfunc_end169-_ZN7rocprim17ROCPRIM_400000_NS6detail17trampoline_kernelINS0_14default_configENS1_27scan_by_key_config_selectorIllEEZZNS1_16scan_by_key_implILNS1_25lookback_scan_determinismE0ELb0ES3_N6thrust23THRUST_200600_302600_NS16reverse_iteratorIPKlEESD_NSA_IPlEElN6hipcub16HIPCUB_304000_NS3MaxENSH_8EqualityElEE10hipError_tPvRmT2_T3_T4_T5_mT6_T7_P12ihipStream_tbENKUlT_T0_E_clISt17integral_constantIbLb0EESZ_IbLb1EEEEDaSV_SW_EUlSV_E_NS1_11comp_targetILNS1_3genE5ELNS1_11target_archE942ELNS1_3gpuE9ELNS1_3repE0EEENS1_30default_config_static_selectorELNS0_4arch9wavefront6targetE1EEEvT1_
                                        ; -- End function
	.set _ZN7rocprim17ROCPRIM_400000_NS6detail17trampoline_kernelINS0_14default_configENS1_27scan_by_key_config_selectorIllEEZZNS1_16scan_by_key_implILNS1_25lookback_scan_determinismE0ELb0ES3_N6thrust23THRUST_200600_302600_NS16reverse_iteratorIPKlEESD_NSA_IPlEElN6hipcub16HIPCUB_304000_NS3MaxENSH_8EqualityElEE10hipError_tPvRmT2_T3_T4_T5_mT6_T7_P12ihipStream_tbENKUlT_T0_E_clISt17integral_constantIbLb0EESZ_IbLb1EEEEDaSV_SW_EUlSV_E_NS1_11comp_targetILNS1_3genE5ELNS1_11target_archE942ELNS1_3gpuE9ELNS1_3repE0EEENS1_30default_config_static_selectorELNS0_4arch9wavefront6targetE1EEEvT1_.num_vgpr, 0
	.set _ZN7rocprim17ROCPRIM_400000_NS6detail17trampoline_kernelINS0_14default_configENS1_27scan_by_key_config_selectorIllEEZZNS1_16scan_by_key_implILNS1_25lookback_scan_determinismE0ELb0ES3_N6thrust23THRUST_200600_302600_NS16reverse_iteratorIPKlEESD_NSA_IPlEElN6hipcub16HIPCUB_304000_NS3MaxENSH_8EqualityElEE10hipError_tPvRmT2_T3_T4_T5_mT6_T7_P12ihipStream_tbENKUlT_T0_E_clISt17integral_constantIbLb0EESZ_IbLb1EEEEDaSV_SW_EUlSV_E_NS1_11comp_targetILNS1_3genE5ELNS1_11target_archE942ELNS1_3gpuE9ELNS1_3repE0EEENS1_30default_config_static_selectorELNS0_4arch9wavefront6targetE1EEEvT1_.num_agpr, 0
	.set _ZN7rocprim17ROCPRIM_400000_NS6detail17trampoline_kernelINS0_14default_configENS1_27scan_by_key_config_selectorIllEEZZNS1_16scan_by_key_implILNS1_25lookback_scan_determinismE0ELb0ES3_N6thrust23THRUST_200600_302600_NS16reverse_iteratorIPKlEESD_NSA_IPlEElN6hipcub16HIPCUB_304000_NS3MaxENSH_8EqualityElEE10hipError_tPvRmT2_T3_T4_T5_mT6_T7_P12ihipStream_tbENKUlT_T0_E_clISt17integral_constantIbLb0EESZ_IbLb1EEEEDaSV_SW_EUlSV_E_NS1_11comp_targetILNS1_3genE5ELNS1_11target_archE942ELNS1_3gpuE9ELNS1_3repE0EEENS1_30default_config_static_selectorELNS0_4arch9wavefront6targetE1EEEvT1_.numbered_sgpr, 0
	.set _ZN7rocprim17ROCPRIM_400000_NS6detail17trampoline_kernelINS0_14default_configENS1_27scan_by_key_config_selectorIllEEZZNS1_16scan_by_key_implILNS1_25lookback_scan_determinismE0ELb0ES3_N6thrust23THRUST_200600_302600_NS16reverse_iteratorIPKlEESD_NSA_IPlEElN6hipcub16HIPCUB_304000_NS3MaxENSH_8EqualityElEE10hipError_tPvRmT2_T3_T4_T5_mT6_T7_P12ihipStream_tbENKUlT_T0_E_clISt17integral_constantIbLb0EESZ_IbLb1EEEEDaSV_SW_EUlSV_E_NS1_11comp_targetILNS1_3genE5ELNS1_11target_archE942ELNS1_3gpuE9ELNS1_3repE0EEENS1_30default_config_static_selectorELNS0_4arch9wavefront6targetE1EEEvT1_.num_named_barrier, 0
	.set _ZN7rocprim17ROCPRIM_400000_NS6detail17trampoline_kernelINS0_14default_configENS1_27scan_by_key_config_selectorIllEEZZNS1_16scan_by_key_implILNS1_25lookback_scan_determinismE0ELb0ES3_N6thrust23THRUST_200600_302600_NS16reverse_iteratorIPKlEESD_NSA_IPlEElN6hipcub16HIPCUB_304000_NS3MaxENSH_8EqualityElEE10hipError_tPvRmT2_T3_T4_T5_mT6_T7_P12ihipStream_tbENKUlT_T0_E_clISt17integral_constantIbLb0EESZ_IbLb1EEEEDaSV_SW_EUlSV_E_NS1_11comp_targetILNS1_3genE5ELNS1_11target_archE942ELNS1_3gpuE9ELNS1_3repE0EEENS1_30default_config_static_selectorELNS0_4arch9wavefront6targetE1EEEvT1_.private_seg_size, 0
	.set _ZN7rocprim17ROCPRIM_400000_NS6detail17trampoline_kernelINS0_14default_configENS1_27scan_by_key_config_selectorIllEEZZNS1_16scan_by_key_implILNS1_25lookback_scan_determinismE0ELb0ES3_N6thrust23THRUST_200600_302600_NS16reverse_iteratorIPKlEESD_NSA_IPlEElN6hipcub16HIPCUB_304000_NS3MaxENSH_8EqualityElEE10hipError_tPvRmT2_T3_T4_T5_mT6_T7_P12ihipStream_tbENKUlT_T0_E_clISt17integral_constantIbLb0EESZ_IbLb1EEEEDaSV_SW_EUlSV_E_NS1_11comp_targetILNS1_3genE5ELNS1_11target_archE942ELNS1_3gpuE9ELNS1_3repE0EEENS1_30default_config_static_selectorELNS0_4arch9wavefront6targetE1EEEvT1_.uses_vcc, 0
	.set _ZN7rocprim17ROCPRIM_400000_NS6detail17trampoline_kernelINS0_14default_configENS1_27scan_by_key_config_selectorIllEEZZNS1_16scan_by_key_implILNS1_25lookback_scan_determinismE0ELb0ES3_N6thrust23THRUST_200600_302600_NS16reverse_iteratorIPKlEESD_NSA_IPlEElN6hipcub16HIPCUB_304000_NS3MaxENSH_8EqualityElEE10hipError_tPvRmT2_T3_T4_T5_mT6_T7_P12ihipStream_tbENKUlT_T0_E_clISt17integral_constantIbLb0EESZ_IbLb1EEEEDaSV_SW_EUlSV_E_NS1_11comp_targetILNS1_3genE5ELNS1_11target_archE942ELNS1_3gpuE9ELNS1_3repE0EEENS1_30default_config_static_selectorELNS0_4arch9wavefront6targetE1EEEvT1_.uses_flat_scratch, 0
	.set _ZN7rocprim17ROCPRIM_400000_NS6detail17trampoline_kernelINS0_14default_configENS1_27scan_by_key_config_selectorIllEEZZNS1_16scan_by_key_implILNS1_25lookback_scan_determinismE0ELb0ES3_N6thrust23THRUST_200600_302600_NS16reverse_iteratorIPKlEESD_NSA_IPlEElN6hipcub16HIPCUB_304000_NS3MaxENSH_8EqualityElEE10hipError_tPvRmT2_T3_T4_T5_mT6_T7_P12ihipStream_tbENKUlT_T0_E_clISt17integral_constantIbLb0EESZ_IbLb1EEEEDaSV_SW_EUlSV_E_NS1_11comp_targetILNS1_3genE5ELNS1_11target_archE942ELNS1_3gpuE9ELNS1_3repE0EEENS1_30default_config_static_selectorELNS0_4arch9wavefront6targetE1EEEvT1_.has_dyn_sized_stack, 0
	.set _ZN7rocprim17ROCPRIM_400000_NS6detail17trampoline_kernelINS0_14default_configENS1_27scan_by_key_config_selectorIllEEZZNS1_16scan_by_key_implILNS1_25lookback_scan_determinismE0ELb0ES3_N6thrust23THRUST_200600_302600_NS16reverse_iteratorIPKlEESD_NSA_IPlEElN6hipcub16HIPCUB_304000_NS3MaxENSH_8EqualityElEE10hipError_tPvRmT2_T3_T4_T5_mT6_T7_P12ihipStream_tbENKUlT_T0_E_clISt17integral_constantIbLb0EESZ_IbLb1EEEEDaSV_SW_EUlSV_E_NS1_11comp_targetILNS1_3genE5ELNS1_11target_archE942ELNS1_3gpuE9ELNS1_3repE0EEENS1_30default_config_static_selectorELNS0_4arch9wavefront6targetE1EEEvT1_.has_recursion, 0
	.set _ZN7rocprim17ROCPRIM_400000_NS6detail17trampoline_kernelINS0_14default_configENS1_27scan_by_key_config_selectorIllEEZZNS1_16scan_by_key_implILNS1_25lookback_scan_determinismE0ELb0ES3_N6thrust23THRUST_200600_302600_NS16reverse_iteratorIPKlEESD_NSA_IPlEElN6hipcub16HIPCUB_304000_NS3MaxENSH_8EqualityElEE10hipError_tPvRmT2_T3_T4_T5_mT6_T7_P12ihipStream_tbENKUlT_T0_E_clISt17integral_constantIbLb0EESZ_IbLb1EEEEDaSV_SW_EUlSV_E_NS1_11comp_targetILNS1_3genE5ELNS1_11target_archE942ELNS1_3gpuE9ELNS1_3repE0EEENS1_30default_config_static_selectorELNS0_4arch9wavefront6targetE1EEEvT1_.has_indirect_call, 0
	.section	.AMDGPU.csdata,"",@progbits
; Kernel info:
; codeLenInByte = 0
; TotalNumSgprs: 6
; NumVgprs: 0
; NumAgprs: 0
; TotalNumVgprs: 0
; ScratchSize: 0
; MemoryBound: 0
; FloatMode: 240
; IeeeMode: 1
; LDSByteSize: 0 bytes/workgroup (compile time only)
; SGPRBlocks: 0
; VGPRBlocks: 0
; NumSGPRsForWavesPerEU: 6
; NumVGPRsForWavesPerEU: 1
; AccumOffset: 4
; Occupancy: 8
; WaveLimiterHint : 0
; COMPUTE_PGM_RSRC2:SCRATCH_EN: 0
; COMPUTE_PGM_RSRC2:USER_SGPR: 2
; COMPUTE_PGM_RSRC2:TRAP_HANDLER: 0
; COMPUTE_PGM_RSRC2:TGID_X_EN: 1
; COMPUTE_PGM_RSRC2:TGID_Y_EN: 0
; COMPUTE_PGM_RSRC2:TGID_Z_EN: 0
; COMPUTE_PGM_RSRC2:TIDIG_COMP_CNT: 0
; COMPUTE_PGM_RSRC3_GFX90A:ACCUM_OFFSET: 0
; COMPUTE_PGM_RSRC3_GFX90A:TG_SPLIT: 0
	.section	.text._ZN7rocprim17ROCPRIM_400000_NS6detail17trampoline_kernelINS0_14default_configENS1_27scan_by_key_config_selectorIllEEZZNS1_16scan_by_key_implILNS1_25lookback_scan_determinismE0ELb0ES3_N6thrust23THRUST_200600_302600_NS16reverse_iteratorIPKlEESD_NSA_IPlEElN6hipcub16HIPCUB_304000_NS3MaxENSH_8EqualityElEE10hipError_tPvRmT2_T3_T4_T5_mT6_T7_P12ihipStream_tbENKUlT_T0_E_clISt17integral_constantIbLb0EESZ_IbLb1EEEEDaSV_SW_EUlSV_E_NS1_11comp_targetILNS1_3genE4ELNS1_11target_archE910ELNS1_3gpuE8ELNS1_3repE0EEENS1_30default_config_static_selectorELNS0_4arch9wavefront6targetE1EEEvT1_,"axG",@progbits,_ZN7rocprim17ROCPRIM_400000_NS6detail17trampoline_kernelINS0_14default_configENS1_27scan_by_key_config_selectorIllEEZZNS1_16scan_by_key_implILNS1_25lookback_scan_determinismE0ELb0ES3_N6thrust23THRUST_200600_302600_NS16reverse_iteratorIPKlEESD_NSA_IPlEElN6hipcub16HIPCUB_304000_NS3MaxENSH_8EqualityElEE10hipError_tPvRmT2_T3_T4_T5_mT6_T7_P12ihipStream_tbENKUlT_T0_E_clISt17integral_constantIbLb0EESZ_IbLb1EEEEDaSV_SW_EUlSV_E_NS1_11comp_targetILNS1_3genE4ELNS1_11target_archE910ELNS1_3gpuE8ELNS1_3repE0EEENS1_30default_config_static_selectorELNS0_4arch9wavefront6targetE1EEEvT1_,comdat
	.protected	_ZN7rocprim17ROCPRIM_400000_NS6detail17trampoline_kernelINS0_14default_configENS1_27scan_by_key_config_selectorIllEEZZNS1_16scan_by_key_implILNS1_25lookback_scan_determinismE0ELb0ES3_N6thrust23THRUST_200600_302600_NS16reverse_iteratorIPKlEESD_NSA_IPlEElN6hipcub16HIPCUB_304000_NS3MaxENSH_8EqualityElEE10hipError_tPvRmT2_T3_T4_T5_mT6_T7_P12ihipStream_tbENKUlT_T0_E_clISt17integral_constantIbLb0EESZ_IbLb1EEEEDaSV_SW_EUlSV_E_NS1_11comp_targetILNS1_3genE4ELNS1_11target_archE910ELNS1_3gpuE8ELNS1_3repE0EEENS1_30default_config_static_selectorELNS0_4arch9wavefront6targetE1EEEvT1_ ; -- Begin function _ZN7rocprim17ROCPRIM_400000_NS6detail17trampoline_kernelINS0_14default_configENS1_27scan_by_key_config_selectorIllEEZZNS1_16scan_by_key_implILNS1_25lookback_scan_determinismE0ELb0ES3_N6thrust23THRUST_200600_302600_NS16reverse_iteratorIPKlEESD_NSA_IPlEElN6hipcub16HIPCUB_304000_NS3MaxENSH_8EqualityElEE10hipError_tPvRmT2_T3_T4_T5_mT6_T7_P12ihipStream_tbENKUlT_T0_E_clISt17integral_constantIbLb0EESZ_IbLb1EEEEDaSV_SW_EUlSV_E_NS1_11comp_targetILNS1_3genE4ELNS1_11target_archE910ELNS1_3gpuE8ELNS1_3repE0EEENS1_30default_config_static_selectorELNS0_4arch9wavefront6targetE1EEEvT1_
	.globl	_ZN7rocprim17ROCPRIM_400000_NS6detail17trampoline_kernelINS0_14default_configENS1_27scan_by_key_config_selectorIllEEZZNS1_16scan_by_key_implILNS1_25lookback_scan_determinismE0ELb0ES3_N6thrust23THRUST_200600_302600_NS16reverse_iteratorIPKlEESD_NSA_IPlEElN6hipcub16HIPCUB_304000_NS3MaxENSH_8EqualityElEE10hipError_tPvRmT2_T3_T4_T5_mT6_T7_P12ihipStream_tbENKUlT_T0_E_clISt17integral_constantIbLb0EESZ_IbLb1EEEEDaSV_SW_EUlSV_E_NS1_11comp_targetILNS1_3genE4ELNS1_11target_archE910ELNS1_3gpuE8ELNS1_3repE0EEENS1_30default_config_static_selectorELNS0_4arch9wavefront6targetE1EEEvT1_
	.p2align	8
	.type	_ZN7rocprim17ROCPRIM_400000_NS6detail17trampoline_kernelINS0_14default_configENS1_27scan_by_key_config_selectorIllEEZZNS1_16scan_by_key_implILNS1_25lookback_scan_determinismE0ELb0ES3_N6thrust23THRUST_200600_302600_NS16reverse_iteratorIPKlEESD_NSA_IPlEElN6hipcub16HIPCUB_304000_NS3MaxENSH_8EqualityElEE10hipError_tPvRmT2_T3_T4_T5_mT6_T7_P12ihipStream_tbENKUlT_T0_E_clISt17integral_constantIbLb0EESZ_IbLb1EEEEDaSV_SW_EUlSV_E_NS1_11comp_targetILNS1_3genE4ELNS1_11target_archE910ELNS1_3gpuE8ELNS1_3repE0EEENS1_30default_config_static_selectorELNS0_4arch9wavefront6targetE1EEEvT1_,@function
_ZN7rocprim17ROCPRIM_400000_NS6detail17trampoline_kernelINS0_14default_configENS1_27scan_by_key_config_selectorIllEEZZNS1_16scan_by_key_implILNS1_25lookback_scan_determinismE0ELb0ES3_N6thrust23THRUST_200600_302600_NS16reverse_iteratorIPKlEESD_NSA_IPlEElN6hipcub16HIPCUB_304000_NS3MaxENSH_8EqualityElEE10hipError_tPvRmT2_T3_T4_T5_mT6_T7_P12ihipStream_tbENKUlT_T0_E_clISt17integral_constantIbLb0EESZ_IbLb1EEEEDaSV_SW_EUlSV_E_NS1_11comp_targetILNS1_3genE4ELNS1_11target_archE910ELNS1_3gpuE8ELNS1_3repE0EEENS1_30default_config_static_selectorELNS0_4arch9wavefront6targetE1EEEvT1_: ; @_ZN7rocprim17ROCPRIM_400000_NS6detail17trampoline_kernelINS0_14default_configENS1_27scan_by_key_config_selectorIllEEZZNS1_16scan_by_key_implILNS1_25lookback_scan_determinismE0ELb0ES3_N6thrust23THRUST_200600_302600_NS16reverse_iteratorIPKlEESD_NSA_IPlEElN6hipcub16HIPCUB_304000_NS3MaxENSH_8EqualityElEE10hipError_tPvRmT2_T3_T4_T5_mT6_T7_P12ihipStream_tbENKUlT_T0_E_clISt17integral_constantIbLb0EESZ_IbLb1EEEEDaSV_SW_EUlSV_E_NS1_11comp_targetILNS1_3genE4ELNS1_11target_archE910ELNS1_3gpuE8ELNS1_3repE0EEENS1_30default_config_static_selectorELNS0_4arch9wavefront6targetE1EEEvT1_
; %bb.0:
	.section	.rodata,"a",@progbits
	.p2align	6, 0x0
	.amdhsa_kernel _ZN7rocprim17ROCPRIM_400000_NS6detail17trampoline_kernelINS0_14default_configENS1_27scan_by_key_config_selectorIllEEZZNS1_16scan_by_key_implILNS1_25lookback_scan_determinismE0ELb0ES3_N6thrust23THRUST_200600_302600_NS16reverse_iteratorIPKlEESD_NSA_IPlEElN6hipcub16HIPCUB_304000_NS3MaxENSH_8EqualityElEE10hipError_tPvRmT2_T3_T4_T5_mT6_T7_P12ihipStream_tbENKUlT_T0_E_clISt17integral_constantIbLb0EESZ_IbLb1EEEEDaSV_SW_EUlSV_E_NS1_11comp_targetILNS1_3genE4ELNS1_11target_archE910ELNS1_3gpuE8ELNS1_3repE0EEENS1_30default_config_static_selectorELNS0_4arch9wavefront6targetE1EEEvT1_
		.amdhsa_group_segment_fixed_size 0
		.amdhsa_private_segment_fixed_size 0
		.amdhsa_kernarg_size 136
		.amdhsa_user_sgpr_count 2
		.amdhsa_user_sgpr_dispatch_ptr 0
		.amdhsa_user_sgpr_queue_ptr 0
		.amdhsa_user_sgpr_kernarg_segment_ptr 1
		.amdhsa_user_sgpr_dispatch_id 0
		.amdhsa_user_sgpr_kernarg_preload_length 0
		.amdhsa_user_sgpr_kernarg_preload_offset 0
		.amdhsa_user_sgpr_private_segment_size 0
		.amdhsa_uses_dynamic_stack 0
		.amdhsa_enable_private_segment 0
		.amdhsa_system_sgpr_workgroup_id_x 1
		.amdhsa_system_sgpr_workgroup_id_y 0
		.amdhsa_system_sgpr_workgroup_id_z 0
		.amdhsa_system_sgpr_workgroup_info 0
		.amdhsa_system_vgpr_workitem_id 0
		.amdhsa_next_free_vgpr 1
		.amdhsa_next_free_sgpr 0
		.amdhsa_accum_offset 4
		.amdhsa_reserve_vcc 0
		.amdhsa_float_round_mode_32 0
		.amdhsa_float_round_mode_16_64 0
		.amdhsa_float_denorm_mode_32 3
		.amdhsa_float_denorm_mode_16_64 3
		.amdhsa_dx10_clamp 1
		.amdhsa_ieee_mode 1
		.amdhsa_fp16_overflow 0
		.amdhsa_tg_split 0
		.amdhsa_exception_fp_ieee_invalid_op 0
		.amdhsa_exception_fp_denorm_src 0
		.amdhsa_exception_fp_ieee_div_zero 0
		.amdhsa_exception_fp_ieee_overflow 0
		.amdhsa_exception_fp_ieee_underflow 0
		.amdhsa_exception_fp_ieee_inexact 0
		.amdhsa_exception_int_div_zero 0
	.end_amdhsa_kernel
	.section	.text._ZN7rocprim17ROCPRIM_400000_NS6detail17trampoline_kernelINS0_14default_configENS1_27scan_by_key_config_selectorIllEEZZNS1_16scan_by_key_implILNS1_25lookback_scan_determinismE0ELb0ES3_N6thrust23THRUST_200600_302600_NS16reverse_iteratorIPKlEESD_NSA_IPlEElN6hipcub16HIPCUB_304000_NS3MaxENSH_8EqualityElEE10hipError_tPvRmT2_T3_T4_T5_mT6_T7_P12ihipStream_tbENKUlT_T0_E_clISt17integral_constantIbLb0EESZ_IbLb1EEEEDaSV_SW_EUlSV_E_NS1_11comp_targetILNS1_3genE4ELNS1_11target_archE910ELNS1_3gpuE8ELNS1_3repE0EEENS1_30default_config_static_selectorELNS0_4arch9wavefront6targetE1EEEvT1_,"axG",@progbits,_ZN7rocprim17ROCPRIM_400000_NS6detail17trampoline_kernelINS0_14default_configENS1_27scan_by_key_config_selectorIllEEZZNS1_16scan_by_key_implILNS1_25lookback_scan_determinismE0ELb0ES3_N6thrust23THRUST_200600_302600_NS16reverse_iteratorIPKlEESD_NSA_IPlEElN6hipcub16HIPCUB_304000_NS3MaxENSH_8EqualityElEE10hipError_tPvRmT2_T3_T4_T5_mT6_T7_P12ihipStream_tbENKUlT_T0_E_clISt17integral_constantIbLb0EESZ_IbLb1EEEEDaSV_SW_EUlSV_E_NS1_11comp_targetILNS1_3genE4ELNS1_11target_archE910ELNS1_3gpuE8ELNS1_3repE0EEENS1_30default_config_static_selectorELNS0_4arch9wavefront6targetE1EEEvT1_,comdat
.Lfunc_end170:
	.size	_ZN7rocprim17ROCPRIM_400000_NS6detail17trampoline_kernelINS0_14default_configENS1_27scan_by_key_config_selectorIllEEZZNS1_16scan_by_key_implILNS1_25lookback_scan_determinismE0ELb0ES3_N6thrust23THRUST_200600_302600_NS16reverse_iteratorIPKlEESD_NSA_IPlEElN6hipcub16HIPCUB_304000_NS3MaxENSH_8EqualityElEE10hipError_tPvRmT2_T3_T4_T5_mT6_T7_P12ihipStream_tbENKUlT_T0_E_clISt17integral_constantIbLb0EESZ_IbLb1EEEEDaSV_SW_EUlSV_E_NS1_11comp_targetILNS1_3genE4ELNS1_11target_archE910ELNS1_3gpuE8ELNS1_3repE0EEENS1_30default_config_static_selectorELNS0_4arch9wavefront6targetE1EEEvT1_, .Lfunc_end170-_ZN7rocprim17ROCPRIM_400000_NS6detail17trampoline_kernelINS0_14default_configENS1_27scan_by_key_config_selectorIllEEZZNS1_16scan_by_key_implILNS1_25lookback_scan_determinismE0ELb0ES3_N6thrust23THRUST_200600_302600_NS16reverse_iteratorIPKlEESD_NSA_IPlEElN6hipcub16HIPCUB_304000_NS3MaxENSH_8EqualityElEE10hipError_tPvRmT2_T3_T4_T5_mT6_T7_P12ihipStream_tbENKUlT_T0_E_clISt17integral_constantIbLb0EESZ_IbLb1EEEEDaSV_SW_EUlSV_E_NS1_11comp_targetILNS1_3genE4ELNS1_11target_archE910ELNS1_3gpuE8ELNS1_3repE0EEENS1_30default_config_static_selectorELNS0_4arch9wavefront6targetE1EEEvT1_
                                        ; -- End function
	.set _ZN7rocprim17ROCPRIM_400000_NS6detail17trampoline_kernelINS0_14default_configENS1_27scan_by_key_config_selectorIllEEZZNS1_16scan_by_key_implILNS1_25lookback_scan_determinismE0ELb0ES3_N6thrust23THRUST_200600_302600_NS16reverse_iteratorIPKlEESD_NSA_IPlEElN6hipcub16HIPCUB_304000_NS3MaxENSH_8EqualityElEE10hipError_tPvRmT2_T3_T4_T5_mT6_T7_P12ihipStream_tbENKUlT_T0_E_clISt17integral_constantIbLb0EESZ_IbLb1EEEEDaSV_SW_EUlSV_E_NS1_11comp_targetILNS1_3genE4ELNS1_11target_archE910ELNS1_3gpuE8ELNS1_3repE0EEENS1_30default_config_static_selectorELNS0_4arch9wavefront6targetE1EEEvT1_.num_vgpr, 0
	.set _ZN7rocprim17ROCPRIM_400000_NS6detail17trampoline_kernelINS0_14default_configENS1_27scan_by_key_config_selectorIllEEZZNS1_16scan_by_key_implILNS1_25lookback_scan_determinismE0ELb0ES3_N6thrust23THRUST_200600_302600_NS16reverse_iteratorIPKlEESD_NSA_IPlEElN6hipcub16HIPCUB_304000_NS3MaxENSH_8EqualityElEE10hipError_tPvRmT2_T3_T4_T5_mT6_T7_P12ihipStream_tbENKUlT_T0_E_clISt17integral_constantIbLb0EESZ_IbLb1EEEEDaSV_SW_EUlSV_E_NS1_11comp_targetILNS1_3genE4ELNS1_11target_archE910ELNS1_3gpuE8ELNS1_3repE0EEENS1_30default_config_static_selectorELNS0_4arch9wavefront6targetE1EEEvT1_.num_agpr, 0
	.set _ZN7rocprim17ROCPRIM_400000_NS6detail17trampoline_kernelINS0_14default_configENS1_27scan_by_key_config_selectorIllEEZZNS1_16scan_by_key_implILNS1_25lookback_scan_determinismE0ELb0ES3_N6thrust23THRUST_200600_302600_NS16reverse_iteratorIPKlEESD_NSA_IPlEElN6hipcub16HIPCUB_304000_NS3MaxENSH_8EqualityElEE10hipError_tPvRmT2_T3_T4_T5_mT6_T7_P12ihipStream_tbENKUlT_T0_E_clISt17integral_constantIbLb0EESZ_IbLb1EEEEDaSV_SW_EUlSV_E_NS1_11comp_targetILNS1_3genE4ELNS1_11target_archE910ELNS1_3gpuE8ELNS1_3repE0EEENS1_30default_config_static_selectorELNS0_4arch9wavefront6targetE1EEEvT1_.numbered_sgpr, 0
	.set _ZN7rocprim17ROCPRIM_400000_NS6detail17trampoline_kernelINS0_14default_configENS1_27scan_by_key_config_selectorIllEEZZNS1_16scan_by_key_implILNS1_25lookback_scan_determinismE0ELb0ES3_N6thrust23THRUST_200600_302600_NS16reverse_iteratorIPKlEESD_NSA_IPlEElN6hipcub16HIPCUB_304000_NS3MaxENSH_8EqualityElEE10hipError_tPvRmT2_T3_T4_T5_mT6_T7_P12ihipStream_tbENKUlT_T0_E_clISt17integral_constantIbLb0EESZ_IbLb1EEEEDaSV_SW_EUlSV_E_NS1_11comp_targetILNS1_3genE4ELNS1_11target_archE910ELNS1_3gpuE8ELNS1_3repE0EEENS1_30default_config_static_selectorELNS0_4arch9wavefront6targetE1EEEvT1_.num_named_barrier, 0
	.set _ZN7rocprim17ROCPRIM_400000_NS6detail17trampoline_kernelINS0_14default_configENS1_27scan_by_key_config_selectorIllEEZZNS1_16scan_by_key_implILNS1_25lookback_scan_determinismE0ELb0ES3_N6thrust23THRUST_200600_302600_NS16reverse_iteratorIPKlEESD_NSA_IPlEElN6hipcub16HIPCUB_304000_NS3MaxENSH_8EqualityElEE10hipError_tPvRmT2_T3_T4_T5_mT6_T7_P12ihipStream_tbENKUlT_T0_E_clISt17integral_constantIbLb0EESZ_IbLb1EEEEDaSV_SW_EUlSV_E_NS1_11comp_targetILNS1_3genE4ELNS1_11target_archE910ELNS1_3gpuE8ELNS1_3repE0EEENS1_30default_config_static_selectorELNS0_4arch9wavefront6targetE1EEEvT1_.private_seg_size, 0
	.set _ZN7rocprim17ROCPRIM_400000_NS6detail17trampoline_kernelINS0_14default_configENS1_27scan_by_key_config_selectorIllEEZZNS1_16scan_by_key_implILNS1_25lookback_scan_determinismE0ELb0ES3_N6thrust23THRUST_200600_302600_NS16reverse_iteratorIPKlEESD_NSA_IPlEElN6hipcub16HIPCUB_304000_NS3MaxENSH_8EqualityElEE10hipError_tPvRmT2_T3_T4_T5_mT6_T7_P12ihipStream_tbENKUlT_T0_E_clISt17integral_constantIbLb0EESZ_IbLb1EEEEDaSV_SW_EUlSV_E_NS1_11comp_targetILNS1_3genE4ELNS1_11target_archE910ELNS1_3gpuE8ELNS1_3repE0EEENS1_30default_config_static_selectorELNS0_4arch9wavefront6targetE1EEEvT1_.uses_vcc, 0
	.set _ZN7rocprim17ROCPRIM_400000_NS6detail17trampoline_kernelINS0_14default_configENS1_27scan_by_key_config_selectorIllEEZZNS1_16scan_by_key_implILNS1_25lookback_scan_determinismE0ELb0ES3_N6thrust23THRUST_200600_302600_NS16reverse_iteratorIPKlEESD_NSA_IPlEElN6hipcub16HIPCUB_304000_NS3MaxENSH_8EqualityElEE10hipError_tPvRmT2_T3_T4_T5_mT6_T7_P12ihipStream_tbENKUlT_T0_E_clISt17integral_constantIbLb0EESZ_IbLb1EEEEDaSV_SW_EUlSV_E_NS1_11comp_targetILNS1_3genE4ELNS1_11target_archE910ELNS1_3gpuE8ELNS1_3repE0EEENS1_30default_config_static_selectorELNS0_4arch9wavefront6targetE1EEEvT1_.uses_flat_scratch, 0
	.set _ZN7rocprim17ROCPRIM_400000_NS6detail17trampoline_kernelINS0_14default_configENS1_27scan_by_key_config_selectorIllEEZZNS1_16scan_by_key_implILNS1_25lookback_scan_determinismE0ELb0ES3_N6thrust23THRUST_200600_302600_NS16reverse_iteratorIPKlEESD_NSA_IPlEElN6hipcub16HIPCUB_304000_NS3MaxENSH_8EqualityElEE10hipError_tPvRmT2_T3_T4_T5_mT6_T7_P12ihipStream_tbENKUlT_T0_E_clISt17integral_constantIbLb0EESZ_IbLb1EEEEDaSV_SW_EUlSV_E_NS1_11comp_targetILNS1_3genE4ELNS1_11target_archE910ELNS1_3gpuE8ELNS1_3repE0EEENS1_30default_config_static_selectorELNS0_4arch9wavefront6targetE1EEEvT1_.has_dyn_sized_stack, 0
	.set _ZN7rocprim17ROCPRIM_400000_NS6detail17trampoline_kernelINS0_14default_configENS1_27scan_by_key_config_selectorIllEEZZNS1_16scan_by_key_implILNS1_25lookback_scan_determinismE0ELb0ES3_N6thrust23THRUST_200600_302600_NS16reverse_iteratorIPKlEESD_NSA_IPlEElN6hipcub16HIPCUB_304000_NS3MaxENSH_8EqualityElEE10hipError_tPvRmT2_T3_T4_T5_mT6_T7_P12ihipStream_tbENKUlT_T0_E_clISt17integral_constantIbLb0EESZ_IbLb1EEEEDaSV_SW_EUlSV_E_NS1_11comp_targetILNS1_3genE4ELNS1_11target_archE910ELNS1_3gpuE8ELNS1_3repE0EEENS1_30default_config_static_selectorELNS0_4arch9wavefront6targetE1EEEvT1_.has_recursion, 0
	.set _ZN7rocprim17ROCPRIM_400000_NS6detail17trampoline_kernelINS0_14default_configENS1_27scan_by_key_config_selectorIllEEZZNS1_16scan_by_key_implILNS1_25lookback_scan_determinismE0ELb0ES3_N6thrust23THRUST_200600_302600_NS16reverse_iteratorIPKlEESD_NSA_IPlEElN6hipcub16HIPCUB_304000_NS3MaxENSH_8EqualityElEE10hipError_tPvRmT2_T3_T4_T5_mT6_T7_P12ihipStream_tbENKUlT_T0_E_clISt17integral_constantIbLb0EESZ_IbLb1EEEEDaSV_SW_EUlSV_E_NS1_11comp_targetILNS1_3genE4ELNS1_11target_archE910ELNS1_3gpuE8ELNS1_3repE0EEENS1_30default_config_static_selectorELNS0_4arch9wavefront6targetE1EEEvT1_.has_indirect_call, 0
	.section	.AMDGPU.csdata,"",@progbits
; Kernel info:
; codeLenInByte = 0
; TotalNumSgprs: 6
; NumVgprs: 0
; NumAgprs: 0
; TotalNumVgprs: 0
; ScratchSize: 0
; MemoryBound: 0
; FloatMode: 240
; IeeeMode: 1
; LDSByteSize: 0 bytes/workgroup (compile time only)
; SGPRBlocks: 0
; VGPRBlocks: 0
; NumSGPRsForWavesPerEU: 6
; NumVGPRsForWavesPerEU: 1
; AccumOffset: 4
; Occupancy: 8
; WaveLimiterHint : 0
; COMPUTE_PGM_RSRC2:SCRATCH_EN: 0
; COMPUTE_PGM_RSRC2:USER_SGPR: 2
; COMPUTE_PGM_RSRC2:TRAP_HANDLER: 0
; COMPUTE_PGM_RSRC2:TGID_X_EN: 1
; COMPUTE_PGM_RSRC2:TGID_Y_EN: 0
; COMPUTE_PGM_RSRC2:TGID_Z_EN: 0
; COMPUTE_PGM_RSRC2:TIDIG_COMP_CNT: 0
; COMPUTE_PGM_RSRC3_GFX90A:ACCUM_OFFSET: 0
; COMPUTE_PGM_RSRC3_GFX90A:TG_SPLIT: 0
	.section	.text._ZN7rocprim17ROCPRIM_400000_NS6detail17trampoline_kernelINS0_14default_configENS1_27scan_by_key_config_selectorIllEEZZNS1_16scan_by_key_implILNS1_25lookback_scan_determinismE0ELb0ES3_N6thrust23THRUST_200600_302600_NS16reverse_iteratorIPKlEESD_NSA_IPlEElN6hipcub16HIPCUB_304000_NS3MaxENSH_8EqualityElEE10hipError_tPvRmT2_T3_T4_T5_mT6_T7_P12ihipStream_tbENKUlT_T0_E_clISt17integral_constantIbLb0EESZ_IbLb1EEEEDaSV_SW_EUlSV_E_NS1_11comp_targetILNS1_3genE3ELNS1_11target_archE908ELNS1_3gpuE7ELNS1_3repE0EEENS1_30default_config_static_selectorELNS0_4arch9wavefront6targetE1EEEvT1_,"axG",@progbits,_ZN7rocprim17ROCPRIM_400000_NS6detail17trampoline_kernelINS0_14default_configENS1_27scan_by_key_config_selectorIllEEZZNS1_16scan_by_key_implILNS1_25lookback_scan_determinismE0ELb0ES3_N6thrust23THRUST_200600_302600_NS16reverse_iteratorIPKlEESD_NSA_IPlEElN6hipcub16HIPCUB_304000_NS3MaxENSH_8EqualityElEE10hipError_tPvRmT2_T3_T4_T5_mT6_T7_P12ihipStream_tbENKUlT_T0_E_clISt17integral_constantIbLb0EESZ_IbLb1EEEEDaSV_SW_EUlSV_E_NS1_11comp_targetILNS1_3genE3ELNS1_11target_archE908ELNS1_3gpuE7ELNS1_3repE0EEENS1_30default_config_static_selectorELNS0_4arch9wavefront6targetE1EEEvT1_,comdat
	.protected	_ZN7rocprim17ROCPRIM_400000_NS6detail17trampoline_kernelINS0_14default_configENS1_27scan_by_key_config_selectorIllEEZZNS1_16scan_by_key_implILNS1_25lookback_scan_determinismE0ELb0ES3_N6thrust23THRUST_200600_302600_NS16reverse_iteratorIPKlEESD_NSA_IPlEElN6hipcub16HIPCUB_304000_NS3MaxENSH_8EqualityElEE10hipError_tPvRmT2_T3_T4_T5_mT6_T7_P12ihipStream_tbENKUlT_T0_E_clISt17integral_constantIbLb0EESZ_IbLb1EEEEDaSV_SW_EUlSV_E_NS1_11comp_targetILNS1_3genE3ELNS1_11target_archE908ELNS1_3gpuE7ELNS1_3repE0EEENS1_30default_config_static_selectorELNS0_4arch9wavefront6targetE1EEEvT1_ ; -- Begin function _ZN7rocprim17ROCPRIM_400000_NS6detail17trampoline_kernelINS0_14default_configENS1_27scan_by_key_config_selectorIllEEZZNS1_16scan_by_key_implILNS1_25lookback_scan_determinismE0ELb0ES3_N6thrust23THRUST_200600_302600_NS16reverse_iteratorIPKlEESD_NSA_IPlEElN6hipcub16HIPCUB_304000_NS3MaxENSH_8EqualityElEE10hipError_tPvRmT2_T3_T4_T5_mT6_T7_P12ihipStream_tbENKUlT_T0_E_clISt17integral_constantIbLb0EESZ_IbLb1EEEEDaSV_SW_EUlSV_E_NS1_11comp_targetILNS1_3genE3ELNS1_11target_archE908ELNS1_3gpuE7ELNS1_3repE0EEENS1_30default_config_static_selectorELNS0_4arch9wavefront6targetE1EEEvT1_
	.globl	_ZN7rocprim17ROCPRIM_400000_NS6detail17trampoline_kernelINS0_14default_configENS1_27scan_by_key_config_selectorIllEEZZNS1_16scan_by_key_implILNS1_25lookback_scan_determinismE0ELb0ES3_N6thrust23THRUST_200600_302600_NS16reverse_iteratorIPKlEESD_NSA_IPlEElN6hipcub16HIPCUB_304000_NS3MaxENSH_8EqualityElEE10hipError_tPvRmT2_T3_T4_T5_mT6_T7_P12ihipStream_tbENKUlT_T0_E_clISt17integral_constantIbLb0EESZ_IbLb1EEEEDaSV_SW_EUlSV_E_NS1_11comp_targetILNS1_3genE3ELNS1_11target_archE908ELNS1_3gpuE7ELNS1_3repE0EEENS1_30default_config_static_selectorELNS0_4arch9wavefront6targetE1EEEvT1_
	.p2align	8
	.type	_ZN7rocprim17ROCPRIM_400000_NS6detail17trampoline_kernelINS0_14default_configENS1_27scan_by_key_config_selectorIllEEZZNS1_16scan_by_key_implILNS1_25lookback_scan_determinismE0ELb0ES3_N6thrust23THRUST_200600_302600_NS16reverse_iteratorIPKlEESD_NSA_IPlEElN6hipcub16HIPCUB_304000_NS3MaxENSH_8EqualityElEE10hipError_tPvRmT2_T3_T4_T5_mT6_T7_P12ihipStream_tbENKUlT_T0_E_clISt17integral_constantIbLb0EESZ_IbLb1EEEEDaSV_SW_EUlSV_E_NS1_11comp_targetILNS1_3genE3ELNS1_11target_archE908ELNS1_3gpuE7ELNS1_3repE0EEENS1_30default_config_static_selectorELNS0_4arch9wavefront6targetE1EEEvT1_,@function
_ZN7rocprim17ROCPRIM_400000_NS6detail17trampoline_kernelINS0_14default_configENS1_27scan_by_key_config_selectorIllEEZZNS1_16scan_by_key_implILNS1_25lookback_scan_determinismE0ELb0ES3_N6thrust23THRUST_200600_302600_NS16reverse_iteratorIPKlEESD_NSA_IPlEElN6hipcub16HIPCUB_304000_NS3MaxENSH_8EqualityElEE10hipError_tPvRmT2_T3_T4_T5_mT6_T7_P12ihipStream_tbENKUlT_T0_E_clISt17integral_constantIbLb0EESZ_IbLb1EEEEDaSV_SW_EUlSV_E_NS1_11comp_targetILNS1_3genE3ELNS1_11target_archE908ELNS1_3gpuE7ELNS1_3repE0EEENS1_30default_config_static_selectorELNS0_4arch9wavefront6targetE1EEEvT1_: ; @_ZN7rocprim17ROCPRIM_400000_NS6detail17trampoline_kernelINS0_14default_configENS1_27scan_by_key_config_selectorIllEEZZNS1_16scan_by_key_implILNS1_25lookback_scan_determinismE0ELb0ES3_N6thrust23THRUST_200600_302600_NS16reverse_iteratorIPKlEESD_NSA_IPlEElN6hipcub16HIPCUB_304000_NS3MaxENSH_8EqualityElEE10hipError_tPvRmT2_T3_T4_T5_mT6_T7_P12ihipStream_tbENKUlT_T0_E_clISt17integral_constantIbLb0EESZ_IbLb1EEEEDaSV_SW_EUlSV_E_NS1_11comp_targetILNS1_3genE3ELNS1_11target_archE908ELNS1_3gpuE7ELNS1_3repE0EEENS1_30default_config_static_selectorELNS0_4arch9wavefront6targetE1EEEvT1_
; %bb.0:
	.section	.rodata,"a",@progbits
	.p2align	6, 0x0
	.amdhsa_kernel _ZN7rocprim17ROCPRIM_400000_NS6detail17trampoline_kernelINS0_14default_configENS1_27scan_by_key_config_selectorIllEEZZNS1_16scan_by_key_implILNS1_25lookback_scan_determinismE0ELb0ES3_N6thrust23THRUST_200600_302600_NS16reverse_iteratorIPKlEESD_NSA_IPlEElN6hipcub16HIPCUB_304000_NS3MaxENSH_8EqualityElEE10hipError_tPvRmT2_T3_T4_T5_mT6_T7_P12ihipStream_tbENKUlT_T0_E_clISt17integral_constantIbLb0EESZ_IbLb1EEEEDaSV_SW_EUlSV_E_NS1_11comp_targetILNS1_3genE3ELNS1_11target_archE908ELNS1_3gpuE7ELNS1_3repE0EEENS1_30default_config_static_selectorELNS0_4arch9wavefront6targetE1EEEvT1_
		.amdhsa_group_segment_fixed_size 0
		.amdhsa_private_segment_fixed_size 0
		.amdhsa_kernarg_size 136
		.amdhsa_user_sgpr_count 2
		.amdhsa_user_sgpr_dispatch_ptr 0
		.amdhsa_user_sgpr_queue_ptr 0
		.amdhsa_user_sgpr_kernarg_segment_ptr 1
		.amdhsa_user_sgpr_dispatch_id 0
		.amdhsa_user_sgpr_kernarg_preload_length 0
		.amdhsa_user_sgpr_kernarg_preload_offset 0
		.amdhsa_user_sgpr_private_segment_size 0
		.amdhsa_uses_dynamic_stack 0
		.amdhsa_enable_private_segment 0
		.amdhsa_system_sgpr_workgroup_id_x 1
		.amdhsa_system_sgpr_workgroup_id_y 0
		.amdhsa_system_sgpr_workgroup_id_z 0
		.amdhsa_system_sgpr_workgroup_info 0
		.amdhsa_system_vgpr_workitem_id 0
		.amdhsa_next_free_vgpr 1
		.amdhsa_next_free_sgpr 0
		.amdhsa_accum_offset 4
		.amdhsa_reserve_vcc 0
		.amdhsa_float_round_mode_32 0
		.amdhsa_float_round_mode_16_64 0
		.amdhsa_float_denorm_mode_32 3
		.amdhsa_float_denorm_mode_16_64 3
		.amdhsa_dx10_clamp 1
		.amdhsa_ieee_mode 1
		.amdhsa_fp16_overflow 0
		.amdhsa_tg_split 0
		.amdhsa_exception_fp_ieee_invalid_op 0
		.amdhsa_exception_fp_denorm_src 0
		.amdhsa_exception_fp_ieee_div_zero 0
		.amdhsa_exception_fp_ieee_overflow 0
		.amdhsa_exception_fp_ieee_underflow 0
		.amdhsa_exception_fp_ieee_inexact 0
		.amdhsa_exception_int_div_zero 0
	.end_amdhsa_kernel
	.section	.text._ZN7rocprim17ROCPRIM_400000_NS6detail17trampoline_kernelINS0_14default_configENS1_27scan_by_key_config_selectorIllEEZZNS1_16scan_by_key_implILNS1_25lookback_scan_determinismE0ELb0ES3_N6thrust23THRUST_200600_302600_NS16reverse_iteratorIPKlEESD_NSA_IPlEElN6hipcub16HIPCUB_304000_NS3MaxENSH_8EqualityElEE10hipError_tPvRmT2_T3_T4_T5_mT6_T7_P12ihipStream_tbENKUlT_T0_E_clISt17integral_constantIbLb0EESZ_IbLb1EEEEDaSV_SW_EUlSV_E_NS1_11comp_targetILNS1_3genE3ELNS1_11target_archE908ELNS1_3gpuE7ELNS1_3repE0EEENS1_30default_config_static_selectorELNS0_4arch9wavefront6targetE1EEEvT1_,"axG",@progbits,_ZN7rocprim17ROCPRIM_400000_NS6detail17trampoline_kernelINS0_14default_configENS1_27scan_by_key_config_selectorIllEEZZNS1_16scan_by_key_implILNS1_25lookback_scan_determinismE0ELb0ES3_N6thrust23THRUST_200600_302600_NS16reverse_iteratorIPKlEESD_NSA_IPlEElN6hipcub16HIPCUB_304000_NS3MaxENSH_8EqualityElEE10hipError_tPvRmT2_T3_T4_T5_mT6_T7_P12ihipStream_tbENKUlT_T0_E_clISt17integral_constantIbLb0EESZ_IbLb1EEEEDaSV_SW_EUlSV_E_NS1_11comp_targetILNS1_3genE3ELNS1_11target_archE908ELNS1_3gpuE7ELNS1_3repE0EEENS1_30default_config_static_selectorELNS0_4arch9wavefront6targetE1EEEvT1_,comdat
.Lfunc_end171:
	.size	_ZN7rocprim17ROCPRIM_400000_NS6detail17trampoline_kernelINS0_14default_configENS1_27scan_by_key_config_selectorIllEEZZNS1_16scan_by_key_implILNS1_25lookback_scan_determinismE0ELb0ES3_N6thrust23THRUST_200600_302600_NS16reverse_iteratorIPKlEESD_NSA_IPlEElN6hipcub16HIPCUB_304000_NS3MaxENSH_8EqualityElEE10hipError_tPvRmT2_T3_T4_T5_mT6_T7_P12ihipStream_tbENKUlT_T0_E_clISt17integral_constantIbLb0EESZ_IbLb1EEEEDaSV_SW_EUlSV_E_NS1_11comp_targetILNS1_3genE3ELNS1_11target_archE908ELNS1_3gpuE7ELNS1_3repE0EEENS1_30default_config_static_selectorELNS0_4arch9wavefront6targetE1EEEvT1_, .Lfunc_end171-_ZN7rocprim17ROCPRIM_400000_NS6detail17trampoline_kernelINS0_14default_configENS1_27scan_by_key_config_selectorIllEEZZNS1_16scan_by_key_implILNS1_25lookback_scan_determinismE0ELb0ES3_N6thrust23THRUST_200600_302600_NS16reverse_iteratorIPKlEESD_NSA_IPlEElN6hipcub16HIPCUB_304000_NS3MaxENSH_8EqualityElEE10hipError_tPvRmT2_T3_T4_T5_mT6_T7_P12ihipStream_tbENKUlT_T0_E_clISt17integral_constantIbLb0EESZ_IbLb1EEEEDaSV_SW_EUlSV_E_NS1_11comp_targetILNS1_3genE3ELNS1_11target_archE908ELNS1_3gpuE7ELNS1_3repE0EEENS1_30default_config_static_selectorELNS0_4arch9wavefront6targetE1EEEvT1_
                                        ; -- End function
	.set _ZN7rocprim17ROCPRIM_400000_NS6detail17trampoline_kernelINS0_14default_configENS1_27scan_by_key_config_selectorIllEEZZNS1_16scan_by_key_implILNS1_25lookback_scan_determinismE0ELb0ES3_N6thrust23THRUST_200600_302600_NS16reverse_iteratorIPKlEESD_NSA_IPlEElN6hipcub16HIPCUB_304000_NS3MaxENSH_8EqualityElEE10hipError_tPvRmT2_T3_T4_T5_mT6_T7_P12ihipStream_tbENKUlT_T0_E_clISt17integral_constantIbLb0EESZ_IbLb1EEEEDaSV_SW_EUlSV_E_NS1_11comp_targetILNS1_3genE3ELNS1_11target_archE908ELNS1_3gpuE7ELNS1_3repE0EEENS1_30default_config_static_selectorELNS0_4arch9wavefront6targetE1EEEvT1_.num_vgpr, 0
	.set _ZN7rocprim17ROCPRIM_400000_NS6detail17trampoline_kernelINS0_14default_configENS1_27scan_by_key_config_selectorIllEEZZNS1_16scan_by_key_implILNS1_25lookback_scan_determinismE0ELb0ES3_N6thrust23THRUST_200600_302600_NS16reverse_iteratorIPKlEESD_NSA_IPlEElN6hipcub16HIPCUB_304000_NS3MaxENSH_8EqualityElEE10hipError_tPvRmT2_T3_T4_T5_mT6_T7_P12ihipStream_tbENKUlT_T0_E_clISt17integral_constantIbLb0EESZ_IbLb1EEEEDaSV_SW_EUlSV_E_NS1_11comp_targetILNS1_3genE3ELNS1_11target_archE908ELNS1_3gpuE7ELNS1_3repE0EEENS1_30default_config_static_selectorELNS0_4arch9wavefront6targetE1EEEvT1_.num_agpr, 0
	.set _ZN7rocprim17ROCPRIM_400000_NS6detail17trampoline_kernelINS0_14default_configENS1_27scan_by_key_config_selectorIllEEZZNS1_16scan_by_key_implILNS1_25lookback_scan_determinismE0ELb0ES3_N6thrust23THRUST_200600_302600_NS16reverse_iteratorIPKlEESD_NSA_IPlEElN6hipcub16HIPCUB_304000_NS3MaxENSH_8EqualityElEE10hipError_tPvRmT2_T3_T4_T5_mT6_T7_P12ihipStream_tbENKUlT_T0_E_clISt17integral_constantIbLb0EESZ_IbLb1EEEEDaSV_SW_EUlSV_E_NS1_11comp_targetILNS1_3genE3ELNS1_11target_archE908ELNS1_3gpuE7ELNS1_3repE0EEENS1_30default_config_static_selectorELNS0_4arch9wavefront6targetE1EEEvT1_.numbered_sgpr, 0
	.set _ZN7rocprim17ROCPRIM_400000_NS6detail17trampoline_kernelINS0_14default_configENS1_27scan_by_key_config_selectorIllEEZZNS1_16scan_by_key_implILNS1_25lookback_scan_determinismE0ELb0ES3_N6thrust23THRUST_200600_302600_NS16reverse_iteratorIPKlEESD_NSA_IPlEElN6hipcub16HIPCUB_304000_NS3MaxENSH_8EqualityElEE10hipError_tPvRmT2_T3_T4_T5_mT6_T7_P12ihipStream_tbENKUlT_T0_E_clISt17integral_constantIbLb0EESZ_IbLb1EEEEDaSV_SW_EUlSV_E_NS1_11comp_targetILNS1_3genE3ELNS1_11target_archE908ELNS1_3gpuE7ELNS1_3repE0EEENS1_30default_config_static_selectorELNS0_4arch9wavefront6targetE1EEEvT1_.num_named_barrier, 0
	.set _ZN7rocprim17ROCPRIM_400000_NS6detail17trampoline_kernelINS0_14default_configENS1_27scan_by_key_config_selectorIllEEZZNS1_16scan_by_key_implILNS1_25lookback_scan_determinismE0ELb0ES3_N6thrust23THRUST_200600_302600_NS16reverse_iteratorIPKlEESD_NSA_IPlEElN6hipcub16HIPCUB_304000_NS3MaxENSH_8EqualityElEE10hipError_tPvRmT2_T3_T4_T5_mT6_T7_P12ihipStream_tbENKUlT_T0_E_clISt17integral_constantIbLb0EESZ_IbLb1EEEEDaSV_SW_EUlSV_E_NS1_11comp_targetILNS1_3genE3ELNS1_11target_archE908ELNS1_3gpuE7ELNS1_3repE0EEENS1_30default_config_static_selectorELNS0_4arch9wavefront6targetE1EEEvT1_.private_seg_size, 0
	.set _ZN7rocprim17ROCPRIM_400000_NS6detail17trampoline_kernelINS0_14default_configENS1_27scan_by_key_config_selectorIllEEZZNS1_16scan_by_key_implILNS1_25lookback_scan_determinismE0ELb0ES3_N6thrust23THRUST_200600_302600_NS16reverse_iteratorIPKlEESD_NSA_IPlEElN6hipcub16HIPCUB_304000_NS3MaxENSH_8EqualityElEE10hipError_tPvRmT2_T3_T4_T5_mT6_T7_P12ihipStream_tbENKUlT_T0_E_clISt17integral_constantIbLb0EESZ_IbLb1EEEEDaSV_SW_EUlSV_E_NS1_11comp_targetILNS1_3genE3ELNS1_11target_archE908ELNS1_3gpuE7ELNS1_3repE0EEENS1_30default_config_static_selectorELNS0_4arch9wavefront6targetE1EEEvT1_.uses_vcc, 0
	.set _ZN7rocprim17ROCPRIM_400000_NS6detail17trampoline_kernelINS0_14default_configENS1_27scan_by_key_config_selectorIllEEZZNS1_16scan_by_key_implILNS1_25lookback_scan_determinismE0ELb0ES3_N6thrust23THRUST_200600_302600_NS16reverse_iteratorIPKlEESD_NSA_IPlEElN6hipcub16HIPCUB_304000_NS3MaxENSH_8EqualityElEE10hipError_tPvRmT2_T3_T4_T5_mT6_T7_P12ihipStream_tbENKUlT_T0_E_clISt17integral_constantIbLb0EESZ_IbLb1EEEEDaSV_SW_EUlSV_E_NS1_11comp_targetILNS1_3genE3ELNS1_11target_archE908ELNS1_3gpuE7ELNS1_3repE0EEENS1_30default_config_static_selectorELNS0_4arch9wavefront6targetE1EEEvT1_.uses_flat_scratch, 0
	.set _ZN7rocprim17ROCPRIM_400000_NS6detail17trampoline_kernelINS0_14default_configENS1_27scan_by_key_config_selectorIllEEZZNS1_16scan_by_key_implILNS1_25lookback_scan_determinismE0ELb0ES3_N6thrust23THRUST_200600_302600_NS16reverse_iteratorIPKlEESD_NSA_IPlEElN6hipcub16HIPCUB_304000_NS3MaxENSH_8EqualityElEE10hipError_tPvRmT2_T3_T4_T5_mT6_T7_P12ihipStream_tbENKUlT_T0_E_clISt17integral_constantIbLb0EESZ_IbLb1EEEEDaSV_SW_EUlSV_E_NS1_11comp_targetILNS1_3genE3ELNS1_11target_archE908ELNS1_3gpuE7ELNS1_3repE0EEENS1_30default_config_static_selectorELNS0_4arch9wavefront6targetE1EEEvT1_.has_dyn_sized_stack, 0
	.set _ZN7rocprim17ROCPRIM_400000_NS6detail17trampoline_kernelINS0_14default_configENS1_27scan_by_key_config_selectorIllEEZZNS1_16scan_by_key_implILNS1_25lookback_scan_determinismE0ELb0ES3_N6thrust23THRUST_200600_302600_NS16reverse_iteratorIPKlEESD_NSA_IPlEElN6hipcub16HIPCUB_304000_NS3MaxENSH_8EqualityElEE10hipError_tPvRmT2_T3_T4_T5_mT6_T7_P12ihipStream_tbENKUlT_T0_E_clISt17integral_constantIbLb0EESZ_IbLb1EEEEDaSV_SW_EUlSV_E_NS1_11comp_targetILNS1_3genE3ELNS1_11target_archE908ELNS1_3gpuE7ELNS1_3repE0EEENS1_30default_config_static_selectorELNS0_4arch9wavefront6targetE1EEEvT1_.has_recursion, 0
	.set _ZN7rocprim17ROCPRIM_400000_NS6detail17trampoline_kernelINS0_14default_configENS1_27scan_by_key_config_selectorIllEEZZNS1_16scan_by_key_implILNS1_25lookback_scan_determinismE0ELb0ES3_N6thrust23THRUST_200600_302600_NS16reverse_iteratorIPKlEESD_NSA_IPlEElN6hipcub16HIPCUB_304000_NS3MaxENSH_8EqualityElEE10hipError_tPvRmT2_T3_T4_T5_mT6_T7_P12ihipStream_tbENKUlT_T0_E_clISt17integral_constantIbLb0EESZ_IbLb1EEEEDaSV_SW_EUlSV_E_NS1_11comp_targetILNS1_3genE3ELNS1_11target_archE908ELNS1_3gpuE7ELNS1_3repE0EEENS1_30default_config_static_selectorELNS0_4arch9wavefront6targetE1EEEvT1_.has_indirect_call, 0
	.section	.AMDGPU.csdata,"",@progbits
; Kernel info:
; codeLenInByte = 0
; TotalNumSgprs: 6
; NumVgprs: 0
; NumAgprs: 0
; TotalNumVgprs: 0
; ScratchSize: 0
; MemoryBound: 0
; FloatMode: 240
; IeeeMode: 1
; LDSByteSize: 0 bytes/workgroup (compile time only)
; SGPRBlocks: 0
; VGPRBlocks: 0
; NumSGPRsForWavesPerEU: 6
; NumVGPRsForWavesPerEU: 1
; AccumOffset: 4
; Occupancy: 8
; WaveLimiterHint : 0
; COMPUTE_PGM_RSRC2:SCRATCH_EN: 0
; COMPUTE_PGM_RSRC2:USER_SGPR: 2
; COMPUTE_PGM_RSRC2:TRAP_HANDLER: 0
; COMPUTE_PGM_RSRC2:TGID_X_EN: 1
; COMPUTE_PGM_RSRC2:TGID_Y_EN: 0
; COMPUTE_PGM_RSRC2:TGID_Z_EN: 0
; COMPUTE_PGM_RSRC2:TIDIG_COMP_CNT: 0
; COMPUTE_PGM_RSRC3_GFX90A:ACCUM_OFFSET: 0
; COMPUTE_PGM_RSRC3_GFX90A:TG_SPLIT: 0
	.section	.text._ZN7rocprim17ROCPRIM_400000_NS6detail17trampoline_kernelINS0_14default_configENS1_27scan_by_key_config_selectorIllEEZZNS1_16scan_by_key_implILNS1_25lookback_scan_determinismE0ELb0ES3_N6thrust23THRUST_200600_302600_NS16reverse_iteratorIPKlEESD_NSA_IPlEElN6hipcub16HIPCUB_304000_NS3MaxENSH_8EqualityElEE10hipError_tPvRmT2_T3_T4_T5_mT6_T7_P12ihipStream_tbENKUlT_T0_E_clISt17integral_constantIbLb0EESZ_IbLb1EEEEDaSV_SW_EUlSV_E_NS1_11comp_targetILNS1_3genE2ELNS1_11target_archE906ELNS1_3gpuE6ELNS1_3repE0EEENS1_30default_config_static_selectorELNS0_4arch9wavefront6targetE1EEEvT1_,"axG",@progbits,_ZN7rocprim17ROCPRIM_400000_NS6detail17trampoline_kernelINS0_14default_configENS1_27scan_by_key_config_selectorIllEEZZNS1_16scan_by_key_implILNS1_25lookback_scan_determinismE0ELb0ES3_N6thrust23THRUST_200600_302600_NS16reverse_iteratorIPKlEESD_NSA_IPlEElN6hipcub16HIPCUB_304000_NS3MaxENSH_8EqualityElEE10hipError_tPvRmT2_T3_T4_T5_mT6_T7_P12ihipStream_tbENKUlT_T0_E_clISt17integral_constantIbLb0EESZ_IbLb1EEEEDaSV_SW_EUlSV_E_NS1_11comp_targetILNS1_3genE2ELNS1_11target_archE906ELNS1_3gpuE6ELNS1_3repE0EEENS1_30default_config_static_selectorELNS0_4arch9wavefront6targetE1EEEvT1_,comdat
	.protected	_ZN7rocprim17ROCPRIM_400000_NS6detail17trampoline_kernelINS0_14default_configENS1_27scan_by_key_config_selectorIllEEZZNS1_16scan_by_key_implILNS1_25lookback_scan_determinismE0ELb0ES3_N6thrust23THRUST_200600_302600_NS16reverse_iteratorIPKlEESD_NSA_IPlEElN6hipcub16HIPCUB_304000_NS3MaxENSH_8EqualityElEE10hipError_tPvRmT2_T3_T4_T5_mT6_T7_P12ihipStream_tbENKUlT_T0_E_clISt17integral_constantIbLb0EESZ_IbLb1EEEEDaSV_SW_EUlSV_E_NS1_11comp_targetILNS1_3genE2ELNS1_11target_archE906ELNS1_3gpuE6ELNS1_3repE0EEENS1_30default_config_static_selectorELNS0_4arch9wavefront6targetE1EEEvT1_ ; -- Begin function _ZN7rocprim17ROCPRIM_400000_NS6detail17trampoline_kernelINS0_14default_configENS1_27scan_by_key_config_selectorIllEEZZNS1_16scan_by_key_implILNS1_25lookback_scan_determinismE0ELb0ES3_N6thrust23THRUST_200600_302600_NS16reverse_iteratorIPKlEESD_NSA_IPlEElN6hipcub16HIPCUB_304000_NS3MaxENSH_8EqualityElEE10hipError_tPvRmT2_T3_T4_T5_mT6_T7_P12ihipStream_tbENKUlT_T0_E_clISt17integral_constantIbLb0EESZ_IbLb1EEEEDaSV_SW_EUlSV_E_NS1_11comp_targetILNS1_3genE2ELNS1_11target_archE906ELNS1_3gpuE6ELNS1_3repE0EEENS1_30default_config_static_selectorELNS0_4arch9wavefront6targetE1EEEvT1_
	.globl	_ZN7rocprim17ROCPRIM_400000_NS6detail17trampoline_kernelINS0_14default_configENS1_27scan_by_key_config_selectorIllEEZZNS1_16scan_by_key_implILNS1_25lookback_scan_determinismE0ELb0ES3_N6thrust23THRUST_200600_302600_NS16reverse_iteratorIPKlEESD_NSA_IPlEElN6hipcub16HIPCUB_304000_NS3MaxENSH_8EqualityElEE10hipError_tPvRmT2_T3_T4_T5_mT6_T7_P12ihipStream_tbENKUlT_T0_E_clISt17integral_constantIbLb0EESZ_IbLb1EEEEDaSV_SW_EUlSV_E_NS1_11comp_targetILNS1_3genE2ELNS1_11target_archE906ELNS1_3gpuE6ELNS1_3repE0EEENS1_30default_config_static_selectorELNS0_4arch9wavefront6targetE1EEEvT1_
	.p2align	8
	.type	_ZN7rocprim17ROCPRIM_400000_NS6detail17trampoline_kernelINS0_14default_configENS1_27scan_by_key_config_selectorIllEEZZNS1_16scan_by_key_implILNS1_25lookback_scan_determinismE0ELb0ES3_N6thrust23THRUST_200600_302600_NS16reverse_iteratorIPKlEESD_NSA_IPlEElN6hipcub16HIPCUB_304000_NS3MaxENSH_8EqualityElEE10hipError_tPvRmT2_T3_T4_T5_mT6_T7_P12ihipStream_tbENKUlT_T0_E_clISt17integral_constantIbLb0EESZ_IbLb1EEEEDaSV_SW_EUlSV_E_NS1_11comp_targetILNS1_3genE2ELNS1_11target_archE906ELNS1_3gpuE6ELNS1_3repE0EEENS1_30default_config_static_selectorELNS0_4arch9wavefront6targetE1EEEvT1_,@function
_ZN7rocprim17ROCPRIM_400000_NS6detail17trampoline_kernelINS0_14default_configENS1_27scan_by_key_config_selectorIllEEZZNS1_16scan_by_key_implILNS1_25lookback_scan_determinismE0ELb0ES3_N6thrust23THRUST_200600_302600_NS16reverse_iteratorIPKlEESD_NSA_IPlEElN6hipcub16HIPCUB_304000_NS3MaxENSH_8EqualityElEE10hipError_tPvRmT2_T3_T4_T5_mT6_T7_P12ihipStream_tbENKUlT_T0_E_clISt17integral_constantIbLb0EESZ_IbLb1EEEEDaSV_SW_EUlSV_E_NS1_11comp_targetILNS1_3genE2ELNS1_11target_archE906ELNS1_3gpuE6ELNS1_3repE0EEENS1_30default_config_static_selectorELNS0_4arch9wavefront6targetE1EEEvT1_: ; @_ZN7rocprim17ROCPRIM_400000_NS6detail17trampoline_kernelINS0_14default_configENS1_27scan_by_key_config_selectorIllEEZZNS1_16scan_by_key_implILNS1_25lookback_scan_determinismE0ELb0ES3_N6thrust23THRUST_200600_302600_NS16reverse_iteratorIPKlEESD_NSA_IPlEElN6hipcub16HIPCUB_304000_NS3MaxENSH_8EqualityElEE10hipError_tPvRmT2_T3_T4_T5_mT6_T7_P12ihipStream_tbENKUlT_T0_E_clISt17integral_constantIbLb0EESZ_IbLb1EEEEDaSV_SW_EUlSV_E_NS1_11comp_targetILNS1_3genE2ELNS1_11target_archE906ELNS1_3gpuE6ELNS1_3repE0EEENS1_30default_config_static_selectorELNS0_4arch9wavefront6targetE1EEEvT1_
; %bb.0:
	.section	.rodata,"a",@progbits
	.p2align	6, 0x0
	.amdhsa_kernel _ZN7rocprim17ROCPRIM_400000_NS6detail17trampoline_kernelINS0_14default_configENS1_27scan_by_key_config_selectorIllEEZZNS1_16scan_by_key_implILNS1_25lookback_scan_determinismE0ELb0ES3_N6thrust23THRUST_200600_302600_NS16reverse_iteratorIPKlEESD_NSA_IPlEElN6hipcub16HIPCUB_304000_NS3MaxENSH_8EqualityElEE10hipError_tPvRmT2_T3_T4_T5_mT6_T7_P12ihipStream_tbENKUlT_T0_E_clISt17integral_constantIbLb0EESZ_IbLb1EEEEDaSV_SW_EUlSV_E_NS1_11comp_targetILNS1_3genE2ELNS1_11target_archE906ELNS1_3gpuE6ELNS1_3repE0EEENS1_30default_config_static_selectorELNS0_4arch9wavefront6targetE1EEEvT1_
		.amdhsa_group_segment_fixed_size 0
		.amdhsa_private_segment_fixed_size 0
		.amdhsa_kernarg_size 136
		.amdhsa_user_sgpr_count 2
		.amdhsa_user_sgpr_dispatch_ptr 0
		.amdhsa_user_sgpr_queue_ptr 0
		.amdhsa_user_sgpr_kernarg_segment_ptr 1
		.amdhsa_user_sgpr_dispatch_id 0
		.amdhsa_user_sgpr_kernarg_preload_length 0
		.amdhsa_user_sgpr_kernarg_preload_offset 0
		.amdhsa_user_sgpr_private_segment_size 0
		.amdhsa_uses_dynamic_stack 0
		.amdhsa_enable_private_segment 0
		.amdhsa_system_sgpr_workgroup_id_x 1
		.amdhsa_system_sgpr_workgroup_id_y 0
		.amdhsa_system_sgpr_workgroup_id_z 0
		.amdhsa_system_sgpr_workgroup_info 0
		.amdhsa_system_vgpr_workitem_id 0
		.amdhsa_next_free_vgpr 1
		.amdhsa_next_free_sgpr 0
		.amdhsa_accum_offset 4
		.amdhsa_reserve_vcc 0
		.amdhsa_float_round_mode_32 0
		.amdhsa_float_round_mode_16_64 0
		.amdhsa_float_denorm_mode_32 3
		.amdhsa_float_denorm_mode_16_64 3
		.amdhsa_dx10_clamp 1
		.amdhsa_ieee_mode 1
		.amdhsa_fp16_overflow 0
		.amdhsa_tg_split 0
		.amdhsa_exception_fp_ieee_invalid_op 0
		.amdhsa_exception_fp_denorm_src 0
		.amdhsa_exception_fp_ieee_div_zero 0
		.amdhsa_exception_fp_ieee_overflow 0
		.amdhsa_exception_fp_ieee_underflow 0
		.amdhsa_exception_fp_ieee_inexact 0
		.amdhsa_exception_int_div_zero 0
	.end_amdhsa_kernel
	.section	.text._ZN7rocprim17ROCPRIM_400000_NS6detail17trampoline_kernelINS0_14default_configENS1_27scan_by_key_config_selectorIllEEZZNS1_16scan_by_key_implILNS1_25lookback_scan_determinismE0ELb0ES3_N6thrust23THRUST_200600_302600_NS16reverse_iteratorIPKlEESD_NSA_IPlEElN6hipcub16HIPCUB_304000_NS3MaxENSH_8EqualityElEE10hipError_tPvRmT2_T3_T4_T5_mT6_T7_P12ihipStream_tbENKUlT_T0_E_clISt17integral_constantIbLb0EESZ_IbLb1EEEEDaSV_SW_EUlSV_E_NS1_11comp_targetILNS1_3genE2ELNS1_11target_archE906ELNS1_3gpuE6ELNS1_3repE0EEENS1_30default_config_static_selectorELNS0_4arch9wavefront6targetE1EEEvT1_,"axG",@progbits,_ZN7rocprim17ROCPRIM_400000_NS6detail17trampoline_kernelINS0_14default_configENS1_27scan_by_key_config_selectorIllEEZZNS1_16scan_by_key_implILNS1_25lookback_scan_determinismE0ELb0ES3_N6thrust23THRUST_200600_302600_NS16reverse_iteratorIPKlEESD_NSA_IPlEElN6hipcub16HIPCUB_304000_NS3MaxENSH_8EqualityElEE10hipError_tPvRmT2_T3_T4_T5_mT6_T7_P12ihipStream_tbENKUlT_T0_E_clISt17integral_constantIbLb0EESZ_IbLb1EEEEDaSV_SW_EUlSV_E_NS1_11comp_targetILNS1_3genE2ELNS1_11target_archE906ELNS1_3gpuE6ELNS1_3repE0EEENS1_30default_config_static_selectorELNS0_4arch9wavefront6targetE1EEEvT1_,comdat
.Lfunc_end172:
	.size	_ZN7rocprim17ROCPRIM_400000_NS6detail17trampoline_kernelINS0_14default_configENS1_27scan_by_key_config_selectorIllEEZZNS1_16scan_by_key_implILNS1_25lookback_scan_determinismE0ELb0ES3_N6thrust23THRUST_200600_302600_NS16reverse_iteratorIPKlEESD_NSA_IPlEElN6hipcub16HIPCUB_304000_NS3MaxENSH_8EqualityElEE10hipError_tPvRmT2_T3_T4_T5_mT6_T7_P12ihipStream_tbENKUlT_T0_E_clISt17integral_constantIbLb0EESZ_IbLb1EEEEDaSV_SW_EUlSV_E_NS1_11comp_targetILNS1_3genE2ELNS1_11target_archE906ELNS1_3gpuE6ELNS1_3repE0EEENS1_30default_config_static_selectorELNS0_4arch9wavefront6targetE1EEEvT1_, .Lfunc_end172-_ZN7rocprim17ROCPRIM_400000_NS6detail17trampoline_kernelINS0_14default_configENS1_27scan_by_key_config_selectorIllEEZZNS1_16scan_by_key_implILNS1_25lookback_scan_determinismE0ELb0ES3_N6thrust23THRUST_200600_302600_NS16reverse_iteratorIPKlEESD_NSA_IPlEElN6hipcub16HIPCUB_304000_NS3MaxENSH_8EqualityElEE10hipError_tPvRmT2_T3_T4_T5_mT6_T7_P12ihipStream_tbENKUlT_T0_E_clISt17integral_constantIbLb0EESZ_IbLb1EEEEDaSV_SW_EUlSV_E_NS1_11comp_targetILNS1_3genE2ELNS1_11target_archE906ELNS1_3gpuE6ELNS1_3repE0EEENS1_30default_config_static_selectorELNS0_4arch9wavefront6targetE1EEEvT1_
                                        ; -- End function
	.set _ZN7rocprim17ROCPRIM_400000_NS6detail17trampoline_kernelINS0_14default_configENS1_27scan_by_key_config_selectorIllEEZZNS1_16scan_by_key_implILNS1_25lookback_scan_determinismE0ELb0ES3_N6thrust23THRUST_200600_302600_NS16reverse_iteratorIPKlEESD_NSA_IPlEElN6hipcub16HIPCUB_304000_NS3MaxENSH_8EqualityElEE10hipError_tPvRmT2_T3_T4_T5_mT6_T7_P12ihipStream_tbENKUlT_T0_E_clISt17integral_constantIbLb0EESZ_IbLb1EEEEDaSV_SW_EUlSV_E_NS1_11comp_targetILNS1_3genE2ELNS1_11target_archE906ELNS1_3gpuE6ELNS1_3repE0EEENS1_30default_config_static_selectorELNS0_4arch9wavefront6targetE1EEEvT1_.num_vgpr, 0
	.set _ZN7rocprim17ROCPRIM_400000_NS6detail17trampoline_kernelINS0_14default_configENS1_27scan_by_key_config_selectorIllEEZZNS1_16scan_by_key_implILNS1_25lookback_scan_determinismE0ELb0ES3_N6thrust23THRUST_200600_302600_NS16reverse_iteratorIPKlEESD_NSA_IPlEElN6hipcub16HIPCUB_304000_NS3MaxENSH_8EqualityElEE10hipError_tPvRmT2_T3_T4_T5_mT6_T7_P12ihipStream_tbENKUlT_T0_E_clISt17integral_constantIbLb0EESZ_IbLb1EEEEDaSV_SW_EUlSV_E_NS1_11comp_targetILNS1_3genE2ELNS1_11target_archE906ELNS1_3gpuE6ELNS1_3repE0EEENS1_30default_config_static_selectorELNS0_4arch9wavefront6targetE1EEEvT1_.num_agpr, 0
	.set _ZN7rocprim17ROCPRIM_400000_NS6detail17trampoline_kernelINS0_14default_configENS1_27scan_by_key_config_selectorIllEEZZNS1_16scan_by_key_implILNS1_25lookback_scan_determinismE0ELb0ES3_N6thrust23THRUST_200600_302600_NS16reverse_iteratorIPKlEESD_NSA_IPlEElN6hipcub16HIPCUB_304000_NS3MaxENSH_8EqualityElEE10hipError_tPvRmT2_T3_T4_T5_mT6_T7_P12ihipStream_tbENKUlT_T0_E_clISt17integral_constantIbLb0EESZ_IbLb1EEEEDaSV_SW_EUlSV_E_NS1_11comp_targetILNS1_3genE2ELNS1_11target_archE906ELNS1_3gpuE6ELNS1_3repE0EEENS1_30default_config_static_selectorELNS0_4arch9wavefront6targetE1EEEvT1_.numbered_sgpr, 0
	.set _ZN7rocprim17ROCPRIM_400000_NS6detail17trampoline_kernelINS0_14default_configENS1_27scan_by_key_config_selectorIllEEZZNS1_16scan_by_key_implILNS1_25lookback_scan_determinismE0ELb0ES3_N6thrust23THRUST_200600_302600_NS16reverse_iteratorIPKlEESD_NSA_IPlEElN6hipcub16HIPCUB_304000_NS3MaxENSH_8EqualityElEE10hipError_tPvRmT2_T3_T4_T5_mT6_T7_P12ihipStream_tbENKUlT_T0_E_clISt17integral_constantIbLb0EESZ_IbLb1EEEEDaSV_SW_EUlSV_E_NS1_11comp_targetILNS1_3genE2ELNS1_11target_archE906ELNS1_3gpuE6ELNS1_3repE0EEENS1_30default_config_static_selectorELNS0_4arch9wavefront6targetE1EEEvT1_.num_named_barrier, 0
	.set _ZN7rocprim17ROCPRIM_400000_NS6detail17trampoline_kernelINS0_14default_configENS1_27scan_by_key_config_selectorIllEEZZNS1_16scan_by_key_implILNS1_25lookback_scan_determinismE0ELb0ES3_N6thrust23THRUST_200600_302600_NS16reverse_iteratorIPKlEESD_NSA_IPlEElN6hipcub16HIPCUB_304000_NS3MaxENSH_8EqualityElEE10hipError_tPvRmT2_T3_T4_T5_mT6_T7_P12ihipStream_tbENKUlT_T0_E_clISt17integral_constantIbLb0EESZ_IbLb1EEEEDaSV_SW_EUlSV_E_NS1_11comp_targetILNS1_3genE2ELNS1_11target_archE906ELNS1_3gpuE6ELNS1_3repE0EEENS1_30default_config_static_selectorELNS0_4arch9wavefront6targetE1EEEvT1_.private_seg_size, 0
	.set _ZN7rocprim17ROCPRIM_400000_NS6detail17trampoline_kernelINS0_14default_configENS1_27scan_by_key_config_selectorIllEEZZNS1_16scan_by_key_implILNS1_25lookback_scan_determinismE0ELb0ES3_N6thrust23THRUST_200600_302600_NS16reverse_iteratorIPKlEESD_NSA_IPlEElN6hipcub16HIPCUB_304000_NS3MaxENSH_8EqualityElEE10hipError_tPvRmT2_T3_T4_T5_mT6_T7_P12ihipStream_tbENKUlT_T0_E_clISt17integral_constantIbLb0EESZ_IbLb1EEEEDaSV_SW_EUlSV_E_NS1_11comp_targetILNS1_3genE2ELNS1_11target_archE906ELNS1_3gpuE6ELNS1_3repE0EEENS1_30default_config_static_selectorELNS0_4arch9wavefront6targetE1EEEvT1_.uses_vcc, 0
	.set _ZN7rocprim17ROCPRIM_400000_NS6detail17trampoline_kernelINS0_14default_configENS1_27scan_by_key_config_selectorIllEEZZNS1_16scan_by_key_implILNS1_25lookback_scan_determinismE0ELb0ES3_N6thrust23THRUST_200600_302600_NS16reverse_iteratorIPKlEESD_NSA_IPlEElN6hipcub16HIPCUB_304000_NS3MaxENSH_8EqualityElEE10hipError_tPvRmT2_T3_T4_T5_mT6_T7_P12ihipStream_tbENKUlT_T0_E_clISt17integral_constantIbLb0EESZ_IbLb1EEEEDaSV_SW_EUlSV_E_NS1_11comp_targetILNS1_3genE2ELNS1_11target_archE906ELNS1_3gpuE6ELNS1_3repE0EEENS1_30default_config_static_selectorELNS0_4arch9wavefront6targetE1EEEvT1_.uses_flat_scratch, 0
	.set _ZN7rocprim17ROCPRIM_400000_NS6detail17trampoline_kernelINS0_14default_configENS1_27scan_by_key_config_selectorIllEEZZNS1_16scan_by_key_implILNS1_25lookback_scan_determinismE0ELb0ES3_N6thrust23THRUST_200600_302600_NS16reverse_iteratorIPKlEESD_NSA_IPlEElN6hipcub16HIPCUB_304000_NS3MaxENSH_8EqualityElEE10hipError_tPvRmT2_T3_T4_T5_mT6_T7_P12ihipStream_tbENKUlT_T0_E_clISt17integral_constantIbLb0EESZ_IbLb1EEEEDaSV_SW_EUlSV_E_NS1_11comp_targetILNS1_3genE2ELNS1_11target_archE906ELNS1_3gpuE6ELNS1_3repE0EEENS1_30default_config_static_selectorELNS0_4arch9wavefront6targetE1EEEvT1_.has_dyn_sized_stack, 0
	.set _ZN7rocprim17ROCPRIM_400000_NS6detail17trampoline_kernelINS0_14default_configENS1_27scan_by_key_config_selectorIllEEZZNS1_16scan_by_key_implILNS1_25lookback_scan_determinismE0ELb0ES3_N6thrust23THRUST_200600_302600_NS16reverse_iteratorIPKlEESD_NSA_IPlEElN6hipcub16HIPCUB_304000_NS3MaxENSH_8EqualityElEE10hipError_tPvRmT2_T3_T4_T5_mT6_T7_P12ihipStream_tbENKUlT_T0_E_clISt17integral_constantIbLb0EESZ_IbLb1EEEEDaSV_SW_EUlSV_E_NS1_11comp_targetILNS1_3genE2ELNS1_11target_archE906ELNS1_3gpuE6ELNS1_3repE0EEENS1_30default_config_static_selectorELNS0_4arch9wavefront6targetE1EEEvT1_.has_recursion, 0
	.set _ZN7rocprim17ROCPRIM_400000_NS6detail17trampoline_kernelINS0_14default_configENS1_27scan_by_key_config_selectorIllEEZZNS1_16scan_by_key_implILNS1_25lookback_scan_determinismE0ELb0ES3_N6thrust23THRUST_200600_302600_NS16reverse_iteratorIPKlEESD_NSA_IPlEElN6hipcub16HIPCUB_304000_NS3MaxENSH_8EqualityElEE10hipError_tPvRmT2_T3_T4_T5_mT6_T7_P12ihipStream_tbENKUlT_T0_E_clISt17integral_constantIbLb0EESZ_IbLb1EEEEDaSV_SW_EUlSV_E_NS1_11comp_targetILNS1_3genE2ELNS1_11target_archE906ELNS1_3gpuE6ELNS1_3repE0EEENS1_30default_config_static_selectorELNS0_4arch9wavefront6targetE1EEEvT1_.has_indirect_call, 0
	.section	.AMDGPU.csdata,"",@progbits
; Kernel info:
; codeLenInByte = 0
; TotalNumSgprs: 6
; NumVgprs: 0
; NumAgprs: 0
; TotalNumVgprs: 0
; ScratchSize: 0
; MemoryBound: 0
; FloatMode: 240
; IeeeMode: 1
; LDSByteSize: 0 bytes/workgroup (compile time only)
; SGPRBlocks: 0
; VGPRBlocks: 0
; NumSGPRsForWavesPerEU: 6
; NumVGPRsForWavesPerEU: 1
; AccumOffset: 4
; Occupancy: 8
; WaveLimiterHint : 0
; COMPUTE_PGM_RSRC2:SCRATCH_EN: 0
; COMPUTE_PGM_RSRC2:USER_SGPR: 2
; COMPUTE_PGM_RSRC2:TRAP_HANDLER: 0
; COMPUTE_PGM_RSRC2:TGID_X_EN: 1
; COMPUTE_PGM_RSRC2:TGID_Y_EN: 0
; COMPUTE_PGM_RSRC2:TGID_Z_EN: 0
; COMPUTE_PGM_RSRC2:TIDIG_COMP_CNT: 0
; COMPUTE_PGM_RSRC3_GFX90A:ACCUM_OFFSET: 0
; COMPUTE_PGM_RSRC3_GFX90A:TG_SPLIT: 0
	.section	.text._ZN7rocprim17ROCPRIM_400000_NS6detail17trampoline_kernelINS0_14default_configENS1_27scan_by_key_config_selectorIllEEZZNS1_16scan_by_key_implILNS1_25lookback_scan_determinismE0ELb0ES3_N6thrust23THRUST_200600_302600_NS16reverse_iteratorIPKlEESD_NSA_IPlEElN6hipcub16HIPCUB_304000_NS3MaxENSH_8EqualityElEE10hipError_tPvRmT2_T3_T4_T5_mT6_T7_P12ihipStream_tbENKUlT_T0_E_clISt17integral_constantIbLb0EESZ_IbLb1EEEEDaSV_SW_EUlSV_E_NS1_11comp_targetILNS1_3genE10ELNS1_11target_archE1200ELNS1_3gpuE4ELNS1_3repE0EEENS1_30default_config_static_selectorELNS0_4arch9wavefront6targetE1EEEvT1_,"axG",@progbits,_ZN7rocprim17ROCPRIM_400000_NS6detail17trampoline_kernelINS0_14default_configENS1_27scan_by_key_config_selectorIllEEZZNS1_16scan_by_key_implILNS1_25lookback_scan_determinismE0ELb0ES3_N6thrust23THRUST_200600_302600_NS16reverse_iteratorIPKlEESD_NSA_IPlEElN6hipcub16HIPCUB_304000_NS3MaxENSH_8EqualityElEE10hipError_tPvRmT2_T3_T4_T5_mT6_T7_P12ihipStream_tbENKUlT_T0_E_clISt17integral_constantIbLb0EESZ_IbLb1EEEEDaSV_SW_EUlSV_E_NS1_11comp_targetILNS1_3genE10ELNS1_11target_archE1200ELNS1_3gpuE4ELNS1_3repE0EEENS1_30default_config_static_selectorELNS0_4arch9wavefront6targetE1EEEvT1_,comdat
	.protected	_ZN7rocprim17ROCPRIM_400000_NS6detail17trampoline_kernelINS0_14default_configENS1_27scan_by_key_config_selectorIllEEZZNS1_16scan_by_key_implILNS1_25lookback_scan_determinismE0ELb0ES3_N6thrust23THRUST_200600_302600_NS16reverse_iteratorIPKlEESD_NSA_IPlEElN6hipcub16HIPCUB_304000_NS3MaxENSH_8EqualityElEE10hipError_tPvRmT2_T3_T4_T5_mT6_T7_P12ihipStream_tbENKUlT_T0_E_clISt17integral_constantIbLb0EESZ_IbLb1EEEEDaSV_SW_EUlSV_E_NS1_11comp_targetILNS1_3genE10ELNS1_11target_archE1200ELNS1_3gpuE4ELNS1_3repE0EEENS1_30default_config_static_selectorELNS0_4arch9wavefront6targetE1EEEvT1_ ; -- Begin function _ZN7rocprim17ROCPRIM_400000_NS6detail17trampoline_kernelINS0_14default_configENS1_27scan_by_key_config_selectorIllEEZZNS1_16scan_by_key_implILNS1_25lookback_scan_determinismE0ELb0ES3_N6thrust23THRUST_200600_302600_NS16reverse_iteratorIPKlEESD_NSA_IPlEElN6hipcub16HIPCUB_304000_NS3MaxENSH_8EqualityElEE10hipError_tPvRmT2_T3_T4_T5_mT6_T7_P12ihipStream_tbENKUlT_T0_E_clISt17integral_constantIbLb0EESZ_IbLb1EEEEDaSV_SW_EUlSV_E_NS1_11comp_targetILNS1_3genE10ELNS1_11target_archE1200ELNS1_3gpuE4ELNS1_3repE0EEENS1_30default_config_static_selectorELNS0_4arch9wavefront6targetE1EEEvT1_
	.globl	_ZN7rocprim17ROCPRIM_400000_NS6detail17trampoline_kernelINS0_14default_configENS1_27scan_by_key_config_selectorIllEEZZNS1_16scan_by_key_implILNS1_25lookback_scan_determinismE0ELb0ES3_N6thrust23THRUST_200600_302600_NS16reverse_iteratorIPKlEESD_NSA_IPlEElN6hipcub16HIPCUB_304000_NS3MaxENSH_8EqualityElEE10hipError_tPvRmT2_T3_T4_T5_mT6_T7_P12ihipStream_tbENKUlT_T0_E_clISt17integral_constantIbLb0EESZ_IbLb1EEEEDaSV_SW_EUlSV_E_NS1_11comp_targetILNS1_3genE10ELNS1_11target_archE1200ELNS1_3gpuE4ELNS1_3repE0EEENS1_30default_config_static_selectorELNS0_4arch9wavefront6targetE1EEEvT1_
	.p2align	8
	.type	_ZN7rocprim17ROCPRIM_400000_NS6detail17trampoline_kernelINS0_14default_configENS1_27scan_by_key_config_selectorIllEEZZNS1_16scan_by_key_implILNS1_25lookback_scan_determinismE0ELb0ES3_N6thrust23THRUST_200600_302600_NS16reverse_iteratorIPKlEESD_NSA_IPlEElN6hipcub16HIPCUB_304000_NS3MaxENSH_8EqualityElEE10hipError_tPvRmT2_T3_T4_T5_mT6_T7_P12ihipStream_tbENKUlT_T0_E_clISt17integral_constantIbLb0EESZ_IbLb1EEEEDaSV_SW_EUlSV_E_NS1_11comp_targetILNS1_3genE10ELNS1_11target_archE1200ELNS1_3gpuE4ELNS1_3repE0EEENS1_30default_config_static_selectorELNS0_4arch9wavefront6targetE1EEEvT1_,@function
_ZN7rocprim17ROCPRIM_400000_NS6detail17trampoline_kernelINS0_14default_configENS1_27scan_by_key_config_selectorIllEEZZNS1_16scan_by_key_implILNS1_25lookback_scan_determinismE0ELb0ES3_N6thrust23THRUST_200600_302600_NS16reverse_iteratorIPKlEESD_NSA_IPlEElN6hipcub16HIPCUB_304000_NS3MaxENSH_8EqualityElEE10hipError_tPvRmT2_T3_T4_T5_mT6_T7_P12ihipStream_tbENKUlT_T0_E_clISt17integral_constantIbLb0EESZ_IbLb1EEEEDaSV_SW_EUlSV_E_NS1_11comp_targetILNS1_3genE10ELNS1_11target_archE1200ELNS1_3gpuE4ELNS1_3repE0EEENS1_30default_config_static_selectorELNS0_4arch9wavefront6targetE1EEEvT1_: ; @_ZN7rocprim17ROCPRIM_400000_NS6detail17trampoline_kernelINS0_14default_configENS1_27scan_by_key_config_selectorIllEEZZNS1_16scan_by_key_implILNS1_25lookback_scan_determinismE0ELb0ES3_N6thrust23THRUST_200600_302600_NS16reverse_iteratorIPKlEESD_NSA_IPlEElN6hipcub16HIPCUB_304000_NS3MaxENSH_8EqualityElEE10hipError_tPvRmT2_T3_T4_T5_mT6_T7_P12ihipStream_tbENKUlT_T0_E_clISt17integral_constantIbLb0EESZ_IbLb1EEEEDaSV_SW_EUlSV_E_NS1_11comp_targetILNS1_3genE10ELNS1_11target_archE1200ELNS1_3gpuE4ELNS1_3repE0EEENS1_30default_config_static_selectorELNS0_4arch9wavefront6targetE1EEEvT1_
; %bb.0:
	.section	.rodata,"a",@progbits
	.p2align	6, 0x0
	.amdhsa_kernel _ZN7rocprim17ROCPRIM_400000_NS6detail17trampoline_kernelINS0_14default_configENS1_27scan_by_key_config_selectorIllEEZZNS1_16scan_by_key_implILNS1_25lookback_scan_determinismE0ELb0ES3_N6thrust23THRUST_200600_302600_NS16reverse_iteratorIPKlEESD_NSA_IPlEElN6hipcub16HIPCUB_304000_NS3MaxENSH_8EqualityElEE10hipError_tPvRmT2_T3_T4_T5_mT6_T7_P12ihipStream_tbENKUlT_T0_E_clISt17integral_constantIbLb0EESZ_IbLb1EEEEDaSV_SW_EUlSV_E_NS1_11comp_targetILNS1_3genE10ELNS1_11target_archE1200ELNS1_3gpuE4ELNS1_3repE0EEENS1_30default_config_static_selectorELNS0_4arch9wavefront6targetE1EEEvT1_
		.amdhsa_group_segment_fixed_size 0
		.amdhsa_private_segment_fixed_size 0
		.amdhsa_kernarg_size 136
		.amdhsa_user_sgpr_count 2
		.amdhsa_user_sgpr_dispatch_ptr 0
		.amdhsa_user_sgpr_queue_ptr 0
		.amdhsa_user_sgpr_kernarg_segment_ptr 1
		.amdhsa_user_sgpr_dispatch_id 0
		.amdhsa_user_sgpr_kernarg_preload_length 0
		.amdhsa_user_sgpr_kernarg_preload_offset 0
		.amdhsa_user_sgpr_private_segment_size 0
		.amdhsa_uses_dynamic_stack 0
		.amdhsa_enable_private_segment 0
		.amdhsa_system_sgpr_workgroup_id_x 1
		.amdhsa_system_sgpr_workgroup_id_y 0
		.amdhsa_system_sgpr_workgroup_id_z 0
		.amdhsa_system_sgpr_workgroup_info 0
		.amdhsa_system_vgpr_workitem_id 0
		.amdhsa_next_free_vgpr 1
		.amdhsa_next_free_sgpr 0
		.amdhsa_accum_offset 4
		.amdhsa_reserve_vcc 0
		.amdhsa_float_round_mode_32 0
		.amdhsa_float_round_mode_16_64 0
		.amdhsa_float_denorm_mode_32 3
		.amdhsa_float_denorm_mode_16_64 3
		.amdhsa_dx10_clamp 1
		.amdhsa_ieee_mode 1
		.amdhsa_fp16_overflow 0
		.amdhsa_tg_split 0
		.amdhsa_exception_fp_ieee_invalid_op 0
		.amdhsa_exception_fp_denorm_src 0
		.amdhsa_exception_fp_ieee_div_zero 0
		.amdhsa_exception_fp_ieee_overflow 0
		.amdhsa_exception_fp_ieee_underflow 0
		.amdhsa_exception_fp_ieee_inexact 0
		.amdhsa_exception_int_div_zero 0
	.end_amdhsa_kernel
	.section	.text._ZN7rocprim17ROCPRIM_400000_NS6detail17trampoline_kernelINS0_14default_configENS1_27scan_by_key_config_selectorIllEEZZNS1_16scan_by_key_implILNS1_25lookback_scan_determinismE0ELb0ES3_N6thrust23THRUST_200600_302600_NS16reverse_iteratorIPKlEESD_NSA_IPlEElN6hipcub16HIPCUB_304000_NS3MaxENSH_8EqualityElEE10hipError_tPvRmT2_T3_T4_T5_mT6_T7_P12ihipStream_tbENKUlT_T0_E_clISt17integral_constantIbLb0EESZ_IbLb1EEEEDaSV_SW_EUlSV_E_NS1_11comp_targetILNS1_3genE10ELNS1_11target_archE1200ELNS1_3gpuE4ELNS1_3repE0EEENS1_30default_config_static_selectorELNS0_4arch9wavefront6targetE1EEEvT1_,"axG",@progbits,_ZN7rocprim17ROCPRIM_400000_NS6detail17trampoline_kernelINS0_14default_configENS1_27scan_by_key_config_selectorIllEEZZNS1_16scan_by_key_implILNS1_25lookback_scan_determinismE0ELb0ES3_N6thrust23THRUST_200600_302600_NS16reverse_iteratorIPKlEESD_NSA_IPlEElN6hipcub16HIPCUB_304000_NS3MaxENSH_8EqualityElEE10hipError_tPvRmT2_T3_T4_T5_mT6_T7_P12ihipStream_tbENKUlT_T0_E_clISt17integral_constantIbLb0EESZ_IbLb1EEEEDaSV_SW_EUlSV_E_NS1_11comp_targetILNS1_3genE10ELNS1_11target_archE1200ELNS1_3gpuE4ELNS1_3repE0EEENS1_30default_config_static_selectorELNS0_4arch9wavefront6targetE1EEEvT1_,comdat
.Lfunc_end173:
	.size	_ZN7rocprim17ROCPRIM_400000_NS6detail17trampoline_kernelINS0_14default_configENS1_27scan_by_key_config_selectorIllEEZZNS1_16scan_by_key_implILNS1_25lookback_scan_determinismE0ELb0ES3_N6thrust23THRUST_200600_302600_NS16reverse_iteratorIPKlEESD_NSA_IPlEElN6hipcub16HIPCUB_304000_NS3MaxENSH_8EqualityElEE10hipError_tPvRmT2_T3_T4_T5_mT6_T7_P12ihipStream_tbENKUlT_T0_E_clISt17integral_constantIbLb0EESZ_IbLb1EEEEDaSV_SW_EUlSV_E_NS1_11comp_targetILNS1_3genE10ELNS1_11target_archE1200ELNS1_3gpuE4ELNS1_3repE0EEENS1_30default_config_static_selectorELNS0_4arch9wavefront6targetE1EEEvT1_, .Lfunc_end173-_ZN7rocprim17ROCPRIM_400000_NS6detail17trampoline_kernelINS0_14default_configENS1_27scan_by_key_config_selectorIllEEZZNS1_16scan_by_key_implILNS1_25lookback_scan_determinismE0ELb0ES3_N6thrust23THRUST_200600_302600_NS16reverse_iteratorIPKlEESD_NSA_IPlEElN6hipcub16HIPCUB_304000_NS3MaxENSH_8EqualityElEE10hipError_tPvRmT2_T3_T4_T5_mT6_T7_P12ihipStream_tbENKUlT_T0_E_clISt17integral_constantIbLb0EESZ_IbLb1EEEEDaSV_SW_EUlSV_E_NS1_11comp_targetILNS1_3genE10ELNS1_11target_archE1200ELNS1_3gpuE4ELNS1_3repE0EEENS1_30default_config_static_selectorELNS0_4arch9wavefront6targetE1EEEvT1_
                                        ; -- End function
	.set _ZN7rocprim17ROCPRIM_400000_NS6detail17trampoline_kernelINS0_14default_configENS1_27scan_by_key_config_selectorIllEEZZNS1_16scan_by_key_implILNS1_25lookback_scan_determinismE0ELb0ES3_N6thrust23THRUST_200600_302600_NS16reverse_iteratorIPKlEESD_NSA_IPlEElN6hipcub16HIPCUB_304000_NS3MaxENSH_8EqualityElEE10hipError_tPvRmT2_T3_T4_T5_mT6_T7_P12ihipStream_tbENKUlT_T0_E_clISt17integral_constantIbLb0EESZ_IbLb1EEEEDaSV_SW_EUlSV_E_NS1_11comp_targetILNS1_3genE10ELNS1_11target_archE1200ELNS1_3gpuE4ELNS1_3repE0EEENS1_30default_config_static_selectorELNS0_4arch9wavefront6targetE1EEEvT1_.num_vgpr, 0
	.set _ZN7rocprim17ROCPRIM_400000_NS6detail17trampoline_kernelINS0_14default_configENS1_27scan_by_key_config_selectorIllEEZZNS1_16scan_by_key_implILNS1_25lookback_scan_determinismE0ELb0ES3_N6thrust23THRUST_200600_302600_NS16reverse_iteratorIPKlEESD_NSA_IPlEElN6hipcub16HIPCUB_304000_NS3MaxENSH_8EqualityElEE10hipError_tPvRmT2_T3_T4_T5_mT6_T7_P12ihipStream_tbENKUlT_T0_E_clISt17integral_constantIbLb0EESZ_IbLb1EEEEDaSV_SW_EUlSV_E_NS1_11comp_targetILNS1_3genE10ELNS1_11target_archE1200ELNS1_3gpuE4ELNS1_3repE0EEENS1_30default_config_static_selectorELNS0_4arch9wavefront6targetE1EEEvT1_.num_agpr, 0
	.set _ZN7rocprim17ROCPRIM_400000_NS6detail17trampoline_kernelINS0_14default_configENS1_27scan_by_key_config_selectorIllEEZZNS1_16scan_by_key_implILNS1_25lookback_scan_determinismE0ELb0ES3_N6thrust23THRUST_200600_302600_NS16reverse_iteratorIPKlEESD_NSA_IPlEElN6hipcub16HIPCUB_304000_NS3MaxENSH_8EqualityElEE10hipError_tPvRmT2_T3_T4_T5_mT6_T7_P12ihipStream_tbENKUlT_T0_E_clISt17integral_constantIbLb0EESZ_IbLb1EEEEDaSV_SW_EUlSV_E_NS1_11comp_targetILNS1_3genE10ELNS1_11target_archE1200ELNS1_3gpuE4ELNS1_3repE0EEENS1_30default_config_static_selectorELNS0_4arch9wavefront6targetE1EEEvT1_.numbered_sgpr, 0
	.set _ZN7rocprim17ROCPRIM_400000_NS6detail17trampoline_kernelINS0_14default_configENS1_27scan_by_key_config_selectorIllEEZZNS1_16scan_by_key_implILNS1_25lookback_scan_determinismE0ELb0ES3_N6thrust23THRUST_200600_302600_NS16reverse_iteratorIPKlEESD_NSA_IPlEElN6hipcub16HIPCUB_304000_NS3MaxENSH_8EqualityElEE10hipError_tPvRmT2_T3_T4_T5_mT6_T7_P12ihipStream_tbENKUlT_T0_E_clISt17integral_constantIbLb0EESZ_IbLb1EEEEDaSV_SW_EUlSV_E_NS1_11comp_targetILNS1_3genE10ELNS1_11target_archE1200ELNS1_3gpuE4ELNS1_3repE0EEENS1_30default_config_static_selectorELNS0_4arch9wavefront6targetE1EEEvT1_.num_named_barrier, 0
	.set _ZN7rocprim17ROCPRIM_400000_NS6detail17trampoline_kernelINS0_14default_configENS1_27scan_by_key_config_selectorIllEEZZNS1_16scan_by_key_implILNS1_25lookback_scan_determinismE0ELb0ES3_N6thrust23THRUST_200600_302600_NS16reverse_iteratorIPKlEESD_NSA_IPlEElN6hipcub16HIPCUB_304000_NS3MaxENSH_8EqualityElEE10hipError_tPvRmT2_T3_T4_T5_mT6_T7_P12ihipStream_tbENKUlT_T0_E_clISt17integral_constantIbLb0EESZ_IbLb1EEEEDaSV_SW_EUlSV_E_NS1_11comp_targetILNS1_3genE10ELNS1_11target_archE1200ELNS1_3gpuE4ELNS1_3repE0EEENS1_30default_config_static_selectorELNS0_4arch9wavefront6targetE1EEEvT1_.private_seg_size, 0
	.set _ZN7rocprim17ROCPRIM_400000_NS6detail17trampoline_kernelINS0_14default_configENS1_27scan_by_key_config_selectorIllEEZZNS1_16scan_by_key_implILNS1_25lookback_scan_determinismE0ELb0ES3_N6thrust23THRUST_200600_302600_NS16reverse_iteratorIPKlEESD_NSA_IPlEElN6hipcub16HIPCUB_304000_NS3MaxENSH_8EqualityElEE10hipError_tPvRmT2_T3_T4_T5_mT6_T7_P12ihipStream_tbENKUlT_T0_E_clISt17integral_constantIbLb0EESZ_IbLb1EEEEDaSV_SW_EUlSV_E_NS1_11comp_targetILNS1_3genE10ELNS1_11target_archE1200ELNS1_3gpuE4ELNS1_3repE0EEENS1_30default_config_static_selectorELNS0_4arch9wavefront6targetE1EEEvT1_.uses_vcc, 0
	.set _ZN7rocprim17ROCPRIM_400000_NS6detail17trampoline_kernelINS0_14default_configENS1_27scan_by_key_config_selectorIllEEZZNS1_16scan_by_key_implILNS1_25lookback_scan_determinismE0ELb0ES3_N6thrust23THRUST_200600_302600_NS16reverse_iteratorIPKlEESD_NSA_IPlEElN6hipcub16HIPCUB_304000_NS3MaxENSH_8EqualityElEE10hipError_tPvRmT2_T3_T4_T5_mT6_T7_P12ihipStream_tbENKUlT_T0_E_clISt17integral_constantIbLb0EESZ_IbLb1EEEEDaSV_SW_EUlSV_E_NS1_11comp_targetILNS1_3genE10ELNS1_11target_archE1200ELNS1_3gpuE4ELNS1_3repE0EEENS1_30default_config_static_selectorELNS0_4arch9wavefront6targetE1EEEvT1_.uses_flat_scratch, 0
	.set _ZN7rocprim17ROCPRIM_400000_NS6detail17trampoline_kernelINS0_14default_configENS1_27scan_by_key_config_selectorIllEEZZNS1_16scan_by_key_implILNS1_25lookback_scan_determinismE0ELb0ES3_N6thrust23THRUST_200600_302600_NS16reverse_iteratorIPKlEESD_NSA_IPlEElN6hipcub16HIPCUB_304000_NS3MaxENSH_8EqualityElEE10hipError_tPvRmT2_T3_T4_T5_mT6_T7_P12ihipStream_tbENKUlT_T0_E_clISt17integral_constantIbLb0EESZ_IbLb1EEEEDaSV_SW_EUlSV_E_NS1_11comp_targetILNS1_3genE10ELNS1_11target_archE1200ELNS1_3gpuE4ELNS1_3repE0EEENS1_30default_config_static_selectorELNS0_4arch9wavefront6targetE1EEEvT1_.has_dyn_sized_stack, 0
	.set _ZN7rocprim17ROCPRIM_400000_NS6detail17trampoline_kernelINS0_14default_configENS1_27scan_by_key_config_selectorIllEEZZNS1_16scan_by_key_implILNS1_25lookback_scan_determinismE0ELb0ES3_N6thrust23THRUST_200600_302600_NS16reverse_iteratorIPKlEESD_NSA_IPlEElN6hipcub16HIPCUB_304000_NS3MaxENSH_8EqualityElEE10hipError_tPvRmT2_T3_T4_T5_mT6_T7_P12ihipStream_tbENKUlT_T0_E_clISt17integral_constantIbLb0EESZ_IbLb1EEEEDaSV_SW_EUlSV_E_NS1_11comp_targetILNS1_3genE10ELNS1_11target_archE1200ELNS1_3gpuE4ELNS1_3repE0EEENS1_30default_config_static_selectorELNS0_4arch9wavefront6targetE1EEEvT1_.has_recursion, 0
	.set _ZN7rocprim17ROCPRIM_400000_NS6detail17trampoline_kernelINS0_14default_configENS1_27scan_by_key_config_selectorIllEEZZNS1_16scan_by_key_implILNS1_25lookback_scan_determinismE0ELb0ES3_N6thrust23THRUST_200600_302600_NS16reverse_iteratorIPKlEESD_NSA_IPlEElN6hipcub16HIPCUB_304000_NS3MaxENSH_8EqualityElEE10hipError_tPvRmT2_T3_T4_T5_mT6_T7_P12ihipStream_tbENKUlT_T0_E_clISt17integral_constantIbLb0EESZ_IbLb1EEEEDaSV_SW_EUlSV_E_NS1_11comp_targetILNS1_3genE10ELNS1_11target_archE1200ELNS1_3gpuE4ELNS1_3repE0EEENS1_30default_config_static_selectorELNS0_4arch9wavefront6targetE1EEEvT1_.has_indirect_call, 0
	.section	.AMDGPU.csdata,"",@progbits
; Kernel info:
; codeLenInByte = 0
; TotalNumSgprs: 6
; NumVgprs: 0
; NumAgprs: 0
; TotalNumVgprs: 0
; ScratchSize: 0
; MemoryBound: 0
; FloatMode: 240
; IeeeMode: 1
; LDSByteSize: 0 bytes/workgroup (compile time only)
; SGPRBlocks: 0
; VGPRBlocks: 0
; NumSGPRsForWavesPerEU: 6
; NumVGPRsForWavesPerEU: 1
; AccumOffset: 4
; Occupancy: 8
; WaveLimiterHint : 0
; COMPUTE_PGM_RSRC2:SCRATCH_EN: 0
; COMPUTE_PGM_RSRC2:USER_SGPR: 2
; COMPUTE_PGM_RSRC2:TRAP_HANDLER: 0
; COMPUTE_PGM_RSRC2:TGID_X_EN: 1
; COMPUTE_PGM_RSRC2:TGID_Y_EN: 0
; COMPUTE_PGM_RSRC2:TGID_Z_EN: 0
; COMPUTE_PGM_RSRC2:TIDIG_COMP_CNT: 0
; COMPUTE_PGM_RSRC3_GFX90A:ACCUM_OFFSET: 0
; COMPUTE_PGM_RSRC3_GFX90A:TG_SPLIT: 0
	.section	.text._ZN7rocprim17ROCPRIM_400000_NS6detail17trampoline_kernelINS0_14default_configENS1_27scan_by_key_config_selectorIllEEZZNS1_16scan_by_key_implILNS1_25lookback_scan_determinismE0ELb0ES3_N6thrust23THRUST_200600_302600_NS16reverse_iteratorIPKlEESD_NSA_IPlEElN6hipcub16HIPCUB_304000_NS3MaxENSH_8EqualityElEE10hipError_tPvRmT2_T3_T4_T5_mT6_T7_P12ihipStream_tbENKUlT_T0_E_clISt17integral_constantIbLb0EESZ_IbLb1EEEEDaSV_SW_EUlSV_E_NS1_11comp_targetILNS1_3genE9ELNS1_11target_archE1100ELNS1_3gpuE3ELNS1_3repE0EEENS1_30default_config_static_selectorELNS0_4arch9wavefront6targetE1EEEvT1_,"axG",@progbits,_ZN7rocprim17ROCPRIM_400000_NS6detail17trampoline_kernelINS0_14default_configENS1_27scan_by_key_config_selectorIllEEZZNS1_16scan_by_key_implILNS1_25lookback_scan_determinismE0ELb0ES3_N6thrust23THRUST_200600_302600_NS16reverse_iteratorIPKlEESD_NSA_IPlEElN6hipcub16HIPCUB_304000_NS3MaxENSH_8EqualityElEE10hipError_tPvRmT2_T3_T4_T5_mT6_T7_P12ihipStream_tbENKUlT_T0_E_clISt17integral_constantIbLb0EESZ_IbLb1EEEEDaSV_SW_EUlSV_E_NS1_11comp_targetILNS1_3genE9ELNS1_11target_archE1100ELNS1_3gpuE3ELNS1_3repE0EEENS1_30default_config_static_selectorELNS0_4arch9wavefront6targetE1EEEvT1_,comdat
	.protected	_ZN7rocprim17ROCPRIM_400000_NS6detail17trampoline_kernelINS0_14default_configENS1_27scan_by_key_config_selectorIllEEZZNS1_16scan_by_key_implILNS1_25lookback_scan_determinismE0ELb0ES3_N6thrust23THRUST_200600_302600_NS16reverse_iteratorIPKlEESD_NSA_IPlEElN6hipcub16HIPCUB_304000_NS3MaxENSH_8EqualityElEE10hipError_tPvRmT2_T3_T4_T5_mT6_T7_P12ihipStream_tbENKUlT_T0_E_clISt17integral_constantIbLb0EESZ_IbLb1EEEEDaSV_SW_EUlSV_E_NS1_11comp_targetILNS1_3genE9ELNS1_11target_archE1100ELNS1_3gpuE3ELNS1_3repE0EEENS1_30default_config_static_selectorELNS0_4arch9wavefront6targetE1EEEvT1_ ; -- Begin function _ZN7rocprim17ROCPRIM_400000_NS6detail17trampoline_kernelINS0_14default_configENS1_27scan_by_key_config_selectorIllEEZZNS1_16scan_by_key_implILNS1_25lookback_scan_determinismE0ELb0ES3_N6thrust23THRUST_200600_302600_NS16reverse_iteratorIPKlEESD_NSA_IPlEElN6hipcub16HIPCUB_304000_NS3MaxENSH_8EqualityElEE10hipError_tPvRmT2_T3_T4_T5_mT6_T7_P12ihipStream_tbENKUlT_T0_E_clISt17integral_constantIbLb0EESZ_IbLb1EEEEDaSV_SW_EUlSV_E_NS1_11comp_targetILNS1_3genE9ELNS1_11target_archE1100ELNS1_3gpuE3ELNS1_3repE0EEENS1_30default_config_static_selectorELNS0_4arch9wavefront6targetE1EEEvT1_
	.globl	_ZN7rocprim17ROCPRIM_400000_NS6detail17trampoline_kernelINS0_14default_configENS1_27scan_by_key_config_selectorIllEEZZNS1_16scan_by_key_implILNS1_25lookback_scan_determinismE0ELb0ES3_N6thrust23THRUST_200600_302600_NS16reverse_iteratorIPKlEESD_NSA_IPlEElN6hipcub16HIPCUB_304000_NS3MaxENSH_8EqualityElEE10hipError_tPvRmT2_T3_T4_T5_mT6_T7_P12ihipStream_tbENKUlT_T0_E_clISt17integral_constantIbLb0EESZ_IbLb1EEEEDaSV_SW_EUlSV_E_NS1_11comp_targetILNS1_3genE9ELNS1_11target_archE1100ELNS1_3gpuE3ELNS1_3repE0EEENS1_30default_config_static_selectorELNS0_4arch9wavefront6targetE1EEEvT1_
	.p2align	8
	.type	_ZN7rocprim17ROCPRIM_400000_NS6detail17trampoline_kernelINS0_14default_configENS1_27scan_by_key_config_selectorIllEEZZNS1_16scan_by_key_implILNS1_25lookback_scan_determinismE0ELb0ES3_N6thrust23THRUST_200600_302600_NS16reverse_iteratorIPKlEESD_NSA_IPlEElN6hipcub16HIPCUB_304000_NS3MaxENSH_8EqualityElEE10hipError_tPvRmT2_T3_T4_T5_mT6_T7_P12ihipStream_tbENKUlT_T0_E_clISt17integral_constantIbLb0EESZ_IbLb1EEEEDaSV_SW_EUlSV_E_NS1_11comp_targetILNS1_3genE9ELNS1_11target_archE1100ELNS1_3gpuE3ELNS1_3repE0EEENS1_30default_config_static_selectorELNS0_4arch9wavefront6targetE1EEEvT1_,@function
_ZN7rocprim17ROCPRIM_400000_NS6detail17trampoline_kernelINS0_14default_configENS1_27scan_by_key_config_selectorIllEEZZNS1_16scan_by_key_implILNS1_25lookback_scan_determinismE0ELb0ES3_N6thrust23THRUST_200600_302600_NS16reverse_iteratorIPKlEESD_NSA_IPlEElN6hipcub16HIPCUB_304000_NS3MaxENSH_8EqualityElEE10hipError_tPvRmT2_T3_T4_T5_mT6_T7_P12ihipStream_tbENKUlT_T0_E_clISt17integral_constantIbLb0EESZ_IbLb1EEEEDaSV_SW_EUlSV_E_NS1_11comp_targetILNS1_3genE9ELNS1_11target_archE1100ELNS1_3gpuE3ELNS1_3repE0EEENS1_30default_config_static_selectorELNS0_4arch9wavefront6targetE1EEEvT1_: ; @_ZN7rocprim17ROCPRIM_400000_NS6detail17trampoline_kernelINS0_14default_configENS1_27scan_by_key_config_selectorIllEEZZNS1_16scan_by_key_implILNS1_25lookback_scan_determinismE0ELb0ES3_N6thrust23THRUST_200600_302600_NS16reverse_iteratorIPKlEESD_NSA_IPlEElN6hipcub16HIPCUB_304000_NS3MaxENSH_8EqualityElEE10hipError_tPvRmT2_T3_T4_T5_mT6_T7_P12ihipStream_tbENKUlT_T0_E_clISt17integral_constantIbLb0EESZ_IbLb1EEEEDaSV_SW_EUlSV_E_NS1_11comp_targetILNS1_3genE9ELNS1_11target_archE1100ELNS1_3gpuE3ELNS1_3repE0EEENS1_30default_config_static_selectorELNS0_4arch9wavefront6targetE1EEEvT1_
; %bb.0:
	.section	.rodata,"a",@progbits
	.p2align	6, 0x0
	.amdhsa_kernel _ZN7rocprim17ROCPRIM_400000_NS6detail17trampoline_kernelINS0_14default_configENS1_27scan_by_key_config_selectorIllEEZZNS1_16scan_by_key_implILNS1_25lookback_scan_determinismE0ELb0ES3_N6thrust23THRUST_200600_302600_NS16reverse_iteratorIPKlEESD_NSA_IPlEElN6hipcub16HIPCUB_304000_NS3MaxENSH_8EqualityElEE10hipError_tPvRmT2_T3_T4_T5_mT6_T7_P12ihipStream_tbENKUlT_T0_E_clISt17integral_constantIbLb0EESZ_IbLb1EEEEDaSV_SW_EUlSV_E_NS1_11comp_targetILNS1_3genE9ELNS1_11target_archE1100ELNS1_3gpuE3ELNS1_3repE0EEENS1_30default_config_static_selectorELNS0_4arch9wavefront6targetE1EEEvT1_
		.amdhsa_group_segment_fixed_size 0
		.amdhsa_private_segment_fixed_size 0
		.amdhsa_kernarg_size 136
		.amdhsa_user_sgpr_count 2
		.amdhsa_user_sgpr_dispatch_ptr 0
		.amdhsa_user_sgpr_queue_ptr 0
		.amdhsa_user_sgpr_kernarg_segment_ptr 1
		.amdhsa_user_sgpr_dispatch_id 0
		.amdhsa_user_sgpr_kernarg_preload_length 0
		.amdhsa_user_sgpr_kernarg_preload_offset 0
		.amdhsa_user_sgpr_private_segment_size 0
		.amdhsa_uses_dynamic_stack 0
		.amdhsa_enable_private_segment 0
		.amdhsa_system_sgpr_workgroup_id_x 1
		.amdhsa_system_sgpr_workgroup_id_y 0
		.amdhsa_system_sgpr_workgroup_id_z 0
		.amdhsa_system_sgpr_workgroup_info 0
		.amdhsa_system_vgpr_workitem_id 0
		.amdhsa_next_free_vgpr 1
		.amdhsa_next_free_sgpr 0
		.amdhsa_accum_offset 4
		.amdhsa_reserve_vcc 0
		.amdhsa_float_round_mode_32 0
		.amdhsa_float_round_mode_16_64 0
		.amdhsa_float_denorm_mode_32 3
		.amdhsa_float_denorm_mode_16_64 3
		.amdhsa_dx10_clamp 1
		.amdhsa_ieee_mode 1
		.amdhsa_fp16_overflow 0
		.amdhsa_tg_split 0
		.amdhsa_exception_fp_ieee_invalid_op 0
		.amdhsa_exception_fp_denorm_src 0
		.amdhsa_exception_fp_ieee_div_zero 0
		.amdhsa_exception_fp_ieee_overflow 0
		.amdhsa_exception_fp_ieee_underflow 0
		.amdhsa_exception_fp_ieee_inexact 0
		.amdhsa_exception_int_div_zero 0
	.end_amdhsa_kernel
	.section	.text._ZN7rocprim17ROCPRIM_400000_NS6detail17trampoline_kernelINS0_14default_configENS1_27scan_by_key_config_selectorIllEEZZNS1_16scan_by_key_implILNS1_25lookback_scan_determinismE0ELb0ES3_N6thrust23THRUST_200600_302600_NS16reverse_iteratorIPKlEESD_NSA_IPlEElN6hipcub16HIPCUB_304000_NS3MaxENSH_8EqualityElEE10hipError_tPvRmT2_T3_T4_T5_mT6_T7_P12ihipStream_tbENKUlT_T0_E_clISt17integral_constantIbLb0EESZ_IbLb1EEEEDaSV_SW_EUlSV_E_NS1_11comp_targetILNS1_3genE9ELNS1_11target_archE1100ELNS1_3gpuE3ELNS1_3repE0EEENS1_30default_config_static_selectorELNS0_4arch9wavefront6targetE1EEEvT1_,"axG",@progbits,_ZN7rocprim17ROCPRIM_400000_NS6detail17trampoline_kernelINS0_14default_configENS1_27scan_by_key_config_selectorIllEEZZNS1_16scan_by_key_implILNS1_25lookback_scan_determinismE0ELb0ES3_N6thrust23THRUST_200600_302600_NS16reverse_iteratorIPKlEESD_NSA_IPlEElN6hipcub16HIPCUB_304000_NS3MaxENSH_8EqualityElEE10hipError_tPvRmT2_T3_T4_T5_mT6_T7_P12ihipStream_tbENKUlT_T0_E_clISt17integral_constantIbLb0EESZ_IbLb1EEEEDaSV_SW_EUlSV_E_NS1_11comp_targetILNS1_3genE9ELNS1_11target_archE1100ELNS1_3gpuE3ELNS1_3repE0EEENS1_30default_config_static_selectorELNS0_4arch9wavefront6targetE1EEEvT1_,comdat
.Lfunc_end174:
	.size	_ZN7rocprim17ROCPRIM_400000_NS6detail17trampoline_kernelINS0_14default_configENS1_27scan_by_key_config_selectorIllEEZZNS1_16scan_by_key_implILNS1_25lookback_scan_determinismE0ELb0ES3_N6thrust23THRUST_200600_302600_NS16reverse_iteratorIPKlEESD_NSA_IPlEElN6hipcub16HIPCUB_304000_NS3MaxENSH_8EqualityElEE10hipError_tPvRmT2_T3_T4_T5_mT6_T7_P12ihipStream_tbENKUlT_T0_E_clISt17integral_constantIbLb0EESZ_IbLb1EEEEDaSV_SW_EUlSV_E_NS1_11comp_targetILNS1_3genE9ELNS1_11target_archE1100ELNS1_3gpuE3ELNS1_3repE0EEENS1_30default_config_static_selectorELNS0_4arch9wavefront6targetE1EEEvT1_, .Lfunc_end174-_ZN7rocprim17ROCPRIM_400000_NS6detail17trampoline_kernelINS0_14default_configENS1_27scan_by_key_config_selectorIllEEZZNS1_16scan_by_key_implILNS1_25lookback_scan_determinismE0ELb0ES3_N6thrust23THRUST_200600_302600_NS16reverse_iteratorIPKlEESD_NSA_IPlEElN6hipcub16HIPCUB_304000_NS3MaxENSH_8EqualityElEE10hipError_tPvRmT2_T3_T4_T5_mT6_T7_P12ihipStream_tbENKUlT_T0_E_clISt17integral_constantIbLb0EESZ_IbLb1EEEEDaSV_SW_EUlSV_E_NS1_11comp_targetILNS1_3genE9ELNS1_11target_archE1100ELNS1_3gpuE3ELNS1_3repE0EEENS1_30default_config_static_selectorELNS0_4arch9wavefront6targetE1EEEvT1_
                                        ; -- End function
	.set _ZN7rocprim17ROCPRIM_400000_NS6detail17trampoline_kernelINS0_14default_configENS1_27scan_by_key_config_selectorIllEEZZNS1_16scan_by_key_implILNS1_25lookback_scan_determinismE0ELb0ES3_N6thrust23THRUST_200600_302600_NS16reverse_iteratorIPKlEESD_NSA_IPlEElN6hipcub16HIPCUB_304000_NS3MaxENSH_8EqualityElEE10hipError_tPvRmT2_T3_T4_T5_mT6_T7_P12ihipStream_tbENKUlT_T0_E_clISt17integral_constantIbLb0EESZ_IbLb1EEEEDaSV_SW_EUlSV_E_NS1_11comp_targetILNS1_3genE9ELNS1_11target_archE1100ELNS1_3gpuE3ELNS1_3repE0EEENS1_30default_config_static_selectorELNS0_4arch9wavefront6targetE1EEEvT1_.num_vgpr, 0
	.set _ZN7rocprim17ROCPRIM_400000_NS6detail17trampoline_kernelINS0_14default_configENS1_27scan_by_key_config_selectorIllEEZZNS1_16scan_by_key_implILNS1_25lookback_scan_determinismE0ELb0ES3_N6thrust23THRUST_200600_302600_NS16reverse_iteratorIPKlEESD_NSA_IPlEElN6hipcub16HIPCUB_304000_NS3MaxENSH_8EqualityElEE10hipError_tPvRmT2_T3_T4_T5_mT6_T7_P12ihipStream_tbENKUlT_T0_E_clISt17integral_constantIbLb0EESZ_IbLb1EEEEDaSV_SW_EUlSV_E_NS1_11comp_targetILNS1_3genE9ELNS1_11target_archE1100ELNS1_3gpuE3ELNS1_3repE0EEENS1_30default_config_static_selectorELNS0_4arch9wavefront6targetE1EEEvT1_.num_agpr, 0
	.set _ZN7rocprim17ROCPRIM_400000_NS6detail17trampoline_kernelINS0_14default_configENS1_27scan_by_key_config_selectorIllEEZZNS1_16scan_by_key_implILNS1_25lookback_scan_determinismE0ELb0ES3_N6thrust23THRUST_200600_302600_NS16reverse_iteratorIPKlEESD_NSA_IPlEElN6hipcub16HIPCUB_304000_NS3MaxENSH_8EqualityElEE10hipError_tPvRmT2_T3_T4_T5_mT6_T7_P12ihipStream_tbENKUlT_T0_E_clISt17integral_constantIbLb0EESZ_IbLb1EEEEDaSV_SW_EUlSV_E_NS1_11comp_targetILNS1_3genE9ELNS1_11target_archE1100ELNS1_3gpuE3ELNS1_3repE0EEENS1_30default_config_static_selectorELNS0_4arch9wavefront6targetE1EEEvT1_.numbered_sgpr, 0
	.set _ZN7rocprim17ROCPRIM_400000_NS6detail17trampoline_kernelINS0_14default_configENS1_27scan_by_key_config_selectorIllEEZZNS1_16scan_by_key_implILNS1_25lookback_scan_determinismE0ELb0ES3_N6thrust23THRUST_200600_302600_NS16reverse_iteratorIPKlEESD_NSA_IPlEElN6hipcub16HIPCUB_304000_NS3MaxENSH_8EqualityElEE10hipError_tPvRmT2_T3_T4_T5_mT6_T7_P12ihipStream_tbENKUlT_T0_E_clISt17integral_constantIbLb0EESZ_IbLb1EEEEDaSV_SW_EUlSV_E_NS1_11comp_targetILNS1_3genE9ELNS1_11target_archE1100ELNS1_3gpuE3ELNS1_3repE0EEENS1_30default_config_static_selectorELNS0_4arch9wavefront6targetE1EEEvT1_.num_named_barrier, 0
	.set _ZN7rocprim17ROCPRIM_400000_NS6detail17trampoline_kernelINS0_14default_configENS1_27scan_by_key_config_selectorIllEEZZNS1_16scan_by_key_implILNS1_25lookback_scan_determinismE0ELb0ES3_N6thrust23THRUST_200600_302600_NS16reverse_iteratorIPKlEESD_NSA_IPlEElN6hipcub16HIPCUB_304000_NS3MaxENSH_8EqualityElEE10hipError_tPvRmT2_T3_T4_T5_mT6_T7_P12ihipStream_tbENKUlT_T0_E_clISt17integral_constantIbLb0EESZ_IbLb1EEEEDaSV_SW_EUlSV_E_NS1_11comp_targetILNS1_3genE9ELNS1_11target_archE1100ELNS1_3gpuE3ELNS1_3repE0EEENS1_30default_config_static_selectorELNS0_4arch9wavefront6targetE1EEEvT1_.private_seg_size, 0
	.set _ZN7rocprim17ROCPRIM_400000_NS6detail17trampoline_kernelINS0_14default_configENS1_27scan_by_key_config_selectorIllEEZZNS1_16scan_by_key_implILNS1_25lookback_scan_determinismE0ELb0ES3_N6thrust23THRUST_200600_302600_NS16reverse_iteratorIPKlEESD_NSA_IPlEElN6hipcub16HIPCUB_304000_NS3MaxENSH_8EqualityElEE10hipError_tPvRmT2_T3_T4_T5_mT6_T7_P12ihipStream_tbENKUlT_T0_E_clISt17integral_constantIbLb0EESZ_IbLb1EEEEDaSV_SW_EUlSV_E_NS1_11comp_targetILNS1_3genE9ELNS1_11target_archE1100ELNS1_3gpuE3ELNS1_3repE0EEENS1_30default_config_static_selectorELNS0_4arch9wavefront6targetE1EEEvT1_.uses_vcc, 0
	.set _ZN7rocprim17ROCPRIM_400000_NS6detail17trampoline_kernelINS0_14default_configENS1_27scan_by_key_config_selectorIllEEZZNS1_16scan_by_key_implILNS1_25lookback_scan_determinismE0ELb0ES3_N6thrust23THRUST_200600_302600_NS16reverse_iteratorIPKlEESD_NSA_IPlEElN6hipcub16HIPCUB_304000_NS3MaxENSH_8EqualityElEE10hipError_tPvRmT2_T3_T4_T5_mT6_T7_P12ihipStream_tbENKUlT_T0_E_clISt17integral_constantIbLb0EESZ_IbLb1EEEEDaSV_SW_EUlSV_E_NS1_11comp_targetILNS1_3genE9ELNS1_11target_archE1100ELNS1_3gpuE3ELNS1_3repE0EEENS1_30default_config_static_selectorELNS0_4arch9wavefront6targetE1EEEvT1_.uses_flat_scratch, 0
	.set _ZN7rocprim17ROCPRIM_400000_NS6detail17trampoline_kernelINS0_14default_configENS1_27scan_by_key_config_selectorIllEEZZNS1_16scan_by_key_implILNS1_25lookback_scan_determinismE0ELb0ES3_N6thrust23THRUST_200600_302600_NS16reverse_iteratorIPKlEESD_NSA_IPlEElN6hipcub16HIPCUB_304000_NS3MaxENSH_8EqualityElEE10hipError_tPvRmT2_T3_T4_T5_mT6_T7_P12ihipStream_tbENKUlT_T0_E_clISt17integral_constantIbLb0EESZ_IbLb1EEEEDaSV_SW_EUlSV_E_NS1_11comp_targetILNS1_3genE9ELNS1_11target_archE1100ELNS1_3gpuE3ELNS1_3repE0EEENS1_30default_config_static_selectorELNS0_4arch9wavefront6targetE1EEEvT1_.has_dyn_sized_stack, 0
	.set _ZN7rocprim17ROCPRIM_400000_NS6detail17trampoline_kernelINS0_14default_configENS1_27scan_by_key_config_selectorIllEEZZNS1_16scan_by_key_implILNS1_25lookback_scan_determinismE0ELb0ES3_N6thrust23THRUST_200600_302600_NS16reverse_iteratorIPKlEESD_NSA_IPlEElN6hipcub16HIPCUB_304000_NS3MaxENSH_8EqualityElEE10hipError_tPvRmT2_T3_T4_T5_mT6_T7_P12ihipStream_tbENKUlT_T0_E_clISt17integral_constantIbLb0EESZ_IbLb1EEEEDaSV_SW_EUlSV_E_NS1_11comp_targetILNS1_3genE9ELNS1_11target_archE1100ELNS1_3gpuE3ELNS1_3repE0EEENS1_30default_config_static_selectorELNS0_4arch9wavefront6targetE1EEEvT1_.has_recursion, 0
	.set _ZN7rocprim17ROCPRIM_400000_NS6detail17trampoline_kernelINS0_14default_configENS1_27scan_by_key_config_selectorIllEEZZNS1_16scan_by_key_implILNS1_25lookback_scan_determinismE0ELb0ES3_N6thrust23THRUST_200600_302600_NS16reverse_iteratorIPKlEESD_NSA_IPlEElN6hipcub16HIPCUB_304000_NS3MaxENSH_8EqualityElEE10hipError_tPvRmT2_T3_T4_T5_mT6_T7_P12ihipStream_tbENKUlT_T0_E_clISt17integral_constantIbLb0EESZ_IbLb1EEEEDaSV_SW_EUlSV_E_NS1_11comp_targetILNS1_3genE9ELNS1_11target_archE1100ELNS1_3gpuE3ELNS1_3repE0EEENS1_30default_config_static_selectorELNS0_4arch9wavefront6targetE1EEEvT1_.has_indirect_call, 0
	.section	.AMDGPU.csdata,"",@progbits
; Kernel info:
; codeLenInByte = 0
; TotalNumSgprs: 6
; NumVgprs: 0
; NumAgprs: 0
; TotalNumVgprs: 0
; ScratchSize: 0
; MemoryBound: 0
; FloatMode: 240
; IeeeMode: 1
; LDSByteSize: 0 bytes/workgroup (compile time only)
; SGPRBlocks: 0
; VGPRBlocks: 0
; NumSGPRsForWavesPerEU: 6
; NumVGPRsForWavesPerEU: 1
; AccumOffset: 4
; Occupancy: 8
; WaveLimiterHint : 0
; COMPUTE_PGM_RSRC2:SCRATCH_EN: 0
; COMPUTE_PGM_RSRC2:USER_SGPR: 2
; COMPUTE_PGM_RSRC2:TRAP_HANDLER: 0
; COMPUTE_PGM_RSRC2:TGID_X_EN: 1
; COMPUTE_PGM_RSRC2:TGID_Y_EN: 0
; COMPUTE_PGM_RSRC2:TGID_Z_EN: 0
; COMPUTE_PGM_RSRC2:TIDIG_COMP_CNT: 0
; COMPUTE_PGM_RSRC3_GFX90A:ACCUM_OFFSET: 0
; COMPUTE_PGM_RSRC3_GFX90A:TG_SPLIT: 0
	.section	.text._ZN7rocprim17ROCPRIM_400000_NS6detail17trampoline_kernelINS0_14default_configENS1_27scan_by_key_config_selectorIllEEZZNS1_16scan_by_key_implILNS1_25lookback_scan_determinismE0ELb0ES3_N6thrust23THRUST_200600_302600_NS16reverse_iteratorIPKlEESD_NSA_IPlEElN6hipcub16HIPCUB_304000_NS3MaxENSH_8EqualityElEE10hipError_tPvRmT2_T3_T4_T5_mT6_T7_P12ihipStream_tbENKUlT_T0_E_clISt17integral_constantIbLb0EESZ_IbLb1EEEEDaSV_SW_EUlSV_E_NS1_11comp_targetILNS1_3genE8ELNS1_11target_archE1030ELNS1_3gpuE2ELNS1_3repE0EEENS1_30default_config_static_selectorELNS0_4arch9wavefront6targetE1EEEvT1_,"axG",@progbits,_ZN7rocprim17ROCPRIM_400000_NS6detail17trampoline_kernelINS0_14default_configENS1_27scan_by_key_config_selectorIllEEZZNS1_16scan_by_key_implILNS1_25lookback_scan_determinismE0ELb0ES3_N6thrust23THRUST_200600_302600_NS16reverse_iteratorIPKlEESD_NSA_IPlEElN6hipcub16HIPCUB_304000_NS3MaxENSH_8EqualityElEE10hipError_tPvRmT2_T3_T4_T5_mT6_T7_P12ihipStream_tbENKUlT_T0_E_clISt17integral_constantIbLb0EESZ_IbLb1EEEEDaSV_SW_EUlSV_E_NS1_11comp_targetILNS1_3genE8ELNS1_11target_archE1030ELNS1_3gpuE2ELNS1_3repE0EEENS1_30default_config_static_selectorELNS0_4arch9wavefront6targetE1EEEvT1_,comdat
	.protected	_ZN7rocprim17ROCPRIM_400000_NS6detail17trampoline_kernelINS0_14default_configENS1_27scan_by_key_config_selectorIllEEZZNS1_16scan_by_key_implILNS1_25lookback_scan_determinismE0ELb0ES3_N6thrust23THRUST_200600_302600_NS16reverse_iteratorIPKlEESD_NSA_IPlEElN6hipcub16HIPCUB_304000_NS3MaxENSH_8EqualityElEE10hipError_tPvRmT2_T3_T4_T5_mT6_T7_P12ihipStream_tbENKUlT_T0_E_clISt17integral_constantIbLb0EESZ_IbLb1EEEEDaSV_SW_EUlSV_E_NS1_11comp_targetILNS1_3genE8ELNS1_11target_archE1030ELNS1_3gpuE2ELNS1_3repE0EEENS1_30default_config_static_selectorELNS0_4arch9wavefront6targetE1EEEvT1_ ; -- Begin function _ZN7rocprim17ROCPRIM_400000_NS6detail17trampoline_kernelINS0_14default_configENS1_27scan_by_key_config_selectorIllEEZZNS1_16scan_by_key_implILNS1_25lookback_scan_determinismE0ELb0ES3_N6thrust23THRUST_200600_302600_NS16reverse_iteratorIPKlEESD_NSA_IPlEElN6hipcub16HIPCUB_304000_NS3MaxENSH_8EqualityElEE10hipError_tPvRmT2_T3_T4_T5_mT6_T7_P12ihipStream_tbENKUlT_T0_E_clISt17integral_constantIbLb0EESZ_IbLb1EEEEDaSV_SW_EUlSV_E_NS1_11comp_targetILNS1_3genE8ELNS1_11target_archE1030ELNS1_3gpuE2ELNS1_3repE0EEENS1_30default_config_static_selectorELNS0_4arch9wavefront6targetE1EEEvT1_
	.globl	_ZN7rocprim17ROCPRIM_400000_NS6detail17trampoline_kernelINS0_14default_configENS1_27scan_by_key_config_selectorIllEEZZNS1_16scan_by_key_implILNS1_25lookback_scan_determinismE0ELb0ES3_N6thrust23THRUST_200600_302600_NS16reverse_iteratorIPKlEESD_NSA_IPlEElN6hipcub16HIPCUB_304000_NS3MaxENSH_8EqualityElEE10hipError_tPvRmT2_T3_T4_T5_mT6_T7_P12ihipStream_tbENKUlT_T0_E_clISt17integral_constantIbLb0EESZ_IbLb1EEEEDaSV_SW_EUlSV_E_NS1_11comp_targetILNS1_3genE8ELNS1_11target_archE1030ELNS1_3gpuE2ELNS1_3repE0EEENS1_30default_config_static_selectorELNS0_4arch9wavefront6targetE1EEEvT1_
	.p2align	8
	.type	_ZN7rocprim17ROCPRIM_400000_NS6detail17trampoline_kernelINS0_14default_configENS1_27scan_by_key_config_selectorIllEEZZNS1_16scan_by_key_implILNS1_25lookback_scan_determinismE0ELb0ES3_N6thrust23THRUST_200600_302600_NS16reverse_iteratorIPKlEESD_NSA_IPlEElN6hipcub16HIPCUB_304000_NS3MaxENSH_8EqualityElEE10hipError_tPvRmT2_T3_T4_T5_mT6_T7_P12ihipStream_tbENKUlT_T0_E_clISt17integral_constantIbLb0EESZ_IbLb1EEEEDaSV_SW_EUlSV_E_NS1_11comp_targetILNS1_3genE8ELNS1_11target_archE1030ELNS1_3gpuE2ELNS1_3repE0EEENS1_30default_config_static_selectorELNS0_4arch9wavefront6targetE1EEEvT1_,@function
_ZN7rocprim17ROCPRIM_400000_NS6detail17trampoline_kernelINS0_14default_configENS1_27scan_by_key_config_selectorIllEEZZNS1_16scan_by_key_implILNS1_25lookback_scan_determinismE0ELb0ES3_N6thrust23THRUST_200600_302600_NS16reverse_iteratorIPKlEESD_NSA_IPlEElN6hipcub16HIPCUB_304000_NS3MaxENSH_8EqualityElEE10hipError_tPvRmT2_T3_T4_T5_mT6_T7_P12ihipStream_tbENKUlT_T0_E_clISt17integral_constantIbLb0EESZ_IbLb1EEEEDaSV_SW_EUlSV_E_NS1_11comp_targetILNS1_3genE8ELNS1_11target_archE1030ELNS1_3gpuE2ELNS1_3repE0EEENS1_30default_config_static_selectorELNS0_4arch9wavefront6targetE1EEEvT1_: ; @_ZN7rocprim17ROCPRIM_400000_NS6detail17trampoline_kernelINS0_14default_configENS1_27scan_by_key_config_selectorIllEEZZNS1_16scan_by_key_implILNS1_25lookback_scan_determinismE0ELb0ES3_N6thrust23THRUST_200600_302600_NS16reverse_iteratorIPKlEESD_NSA_IPlEElN6hipcub16HIPCUB_304000_NS3MaxENSH_8EqualityElEE10hipError_tPvRmT2_T3_T4_T5_mT6_T7_P12ihipStream_tbENKUlT_T0_E_clISt17integral_constantIbLb0EESZ_IbLb1EEEEDaSV_SW_EUlSV_E_NS1_11comp_targetILNS1_3genE8ELNS1_11target_archE1030ELNS1_3gpuE2ELNS1_3repE0EEENS1_30default_config_static_selectorELNS0_4arch9wavefront6targetE1EEEvT1_
; %bb.0:
	.section	.rodata,"a",@progbits
	.p2align	6, 0x0
	.amdhsa_kernel _ZN7rocprim17ROCPRIM_400000_NS6detail17trampoline_kernelINS0_14default_configENS1_27scan_by_key_config_selectorIllEEZZNS1_16scan_by_key_implILNS1_25lookback_scan_determinismE0ELb0ES3_N6thrust23THRUST_200600_302600_NS16reverse_iteratorIPKlEESD_NSA_IPlEElN6hipcub16HIPCUB_304000_NS3MaxENSH_8EqualityElEE10hipError_tPvRmT2_T3_T4_T5_mT6_T7_P12ihipStream_tbENKUlT_T0_E_clISt17integral_constantIbLb0EESZ_IbLb1EEEEDaSV_SW_EUlSV_E_NS1_11comp_targetILNS1_3genE8ELNS1_11target_archE1030ELNS1_3gpuE2ELNS1_3repE0EEENS1_30default_config_static_selectorELNS0_4arch9wavefront6targetE1EEEvT1_
		.amdhsa_group_segment_fixed_size 0
		.amdhsa_private_segment_fixed_size 0
		.amdhsa_kernarg_size 136
		.amdhsa_user_sgpr_count 2
		.amdhsa_user_sgpr_dispatch_ptr 0
		.amdhsa_user_sgpr_queue_ptr 0
		.amdhsa_user_sgpr_kernarg_segment_ptr 1
		.amdhsa_user_sgpr_dispatch_id 0
		.amdhsa_user_sgpr_kernarg_preload_length 0
		.amdhsa_user_sgpr_kernarg_preload_offset 0
		.amdhsa_user_sgpr_private_segment_size 0
		.amdhsa_uses_dynamic_stack 0
		.amdhsa_enable_private_segment 0
		.amdhsa_system_sgpr_workgroup_id_x 1
		.amdhsa_system_sgpr_workgroup_id_y 0
		.amdhsa_system_sgpr_workgroup_id_z 0
		.amdhsa_system_sgpr_workgroup_info 0
		.amdhsa_system_vgpr_workitem_id 0
		.amdhsa_next_free_vgpr 1
		.amdhsa_next_free_sgpr 0
		.amdhsa_accum_offset 4
		.amdhsa_reserve_vcc 0
		.amdhsa_float_round_mode_32 0
		.amdhsa_float_round_mode_16_64 0
		.amdhsa_float_denorm_mode_32 3
		.amdhsa_float_denorm_mode_16_64 3
		.amdhsa_dx10_clamp 1
		.amdhsa_ieee_mode 1
		.amdhsa_fp16_overflow 0
		.amdhsa_tg_split 0
		.amdhsa_exception_fp_ieee_invalid_op 0
		.amdhsa_exception_fp_denorm_src 0
		.amdhsa_exception_fp_ieee_div_zero 0
		.amdhsa_exception_fp_ieee_overflow 0
		.amdhsa_exception_fp_ieee_underflow 0
		.amdhsa_exception_fp_ieee_inexact 0
		.amdhsa_exception_int_div_zero 0
	.end_amdhsa_kernel
	.section	.text._ZN7rocprim17ROCPRIM_400000_NS6detail17trampoline_kernelINS0_14default_configENS1_27scan_by_key_config_selectorIllEEZZNS1_16scan_by_key_implILNS1_25lookback_scan_determinismE0ELb0ES3_N6thrust23THRUST_200600_302600_NS16reverse_iteratorIPKlEESD_NSA_IPlEElN6hipcub16HIPCUB_304000_NS3MaxENSH_8EqualityElEE10hipError_tPvRmT2_T3_T4_T5_mT6_T7_P12ihipStream_tbENKUlT_T0_E_clISt17integral_constantIbLb0EESZ_IbLb1EEEEDaSV_SW_EUlSV_E_NS1_11comp_targetILNS1_3genE8ELNS1_11target_archE1030ELNS1_3gpuE2ELNS1_3repE0EEENS1_30default_config_static_selectorELNS0_4arch9wavefront6targetE1EEEvT1_,"axG",@progbits,_ZN7rocprim17ROCPRIM_400000_NS6detail17trampoline_kernelINS0_14default_configENS1_27scan_by_key_config_selectorIllEEZZNS1_16scan_by_key_implILNS1_25lookback_scan_determinismE0ELb0ES3_N6thrust23THRUST_200600_302600_NS16reverse_iteratorIPKlEESD_NSA_IPlEElN6hipcub16HIPCUB_304000_NS3MaxENSH_8EqualityElEE10hipError_tPvRmT2_T3_T4_T5_mT6_T7_P12ihipStream_tbENKUlT_T0_E_clISt17integral_constantIbLb0EESZ_IbLb1EEEEDaSV_SW_EUlSV_E_NS1_11comp_targetILNS1_3genE8ELNS1_11target_archE1030ELNS1_3gpuE2ELNS1_3repE0EEENS1_30default_config_static_selectorELNS0_4arch9wavefront6targetE1EEEvT1_,comdat
.Lfunc_end175:
	.size	_ZN7rocprim17ROCPRIM_400000_NS6detail17trampoline_kernelINS0_14default_configENS1_27scan_by_key_config_selectorIllEEZZNS1_16scan_by_key_implILNS1_25lookback_scan_determinismE0ELb0ES3_N6thrust23THRUST_200600_302600_NS16reverse_iteratorIPKlEESD_NSA_IPlEElN6hipcub16HIPCUB_304000_NS3MaxENSH_8EqualityElEE10hipError_tPvRmT2_T3_T4_T5_mT6_T7_P12ihipStream_tbENKUlT_T0_E_clISt17integral_constantIbLb0EESZ_IbLb1EEEEDaSV_SW_EUlSV_E_NS1_11comp_targetILNS1_3genE8ELNS1_11target_archE1030ELNS1_3gpuE2ELNS1_3repE0EEENS1_30default_config_static_selectorELNS0_4arch9wavefront6targetE1EEEvT1_, .Lfunc_end175-_ZN7rocprim17ROCPRIM_400000_NS6detail17trampoline_kernelINS0_14default_configENS1_27scan_by_key_config_selectorIllEEZZNS1_16scan_by_key_implILNS1_25lookback_scan_determinismE0ELb0ES3_N6thrust23THRUST_200600_302600_NS16reverse_iteratorIPKlEESD_NSA_IPlEElN6hipcub16HIPCUB_304000_NS3MaxENSH_8EqualityElEE10hipError_tPvRmT2_T3_T4_T5_mT6_T7_P12ihipStream_tbENKUlT_T0_E_clISt17integral_constantIbLb0EESZ_IbLb1EEEEDaSV_SW_EUlSV_E_NS1_11comp_targetILNS1_3genE8ELNS1_11target_archE1030ELNS1_3gpuE2ELNS1_3repE0EEENS1_30default_config_static_selectorELNS0_4arch9wavefront6targetE1EEEvT1_
                                        ; -- End function
	.set _ZN7rocprim17ROCPRIM_400000_NS6detail17trampoline_kernelINS0_14default_configENS1_27scan_by_key_config_selectorIllEEZZNS1_16scan_by_key_implILNS1_25lookback_scan_determinismE0ELb0ES3_N6thrust23THRUST_200600_302600_NS16reverse_iteratorIPKlEESD_NSA_IPlEElN6hipcub16HIPCUB_304000_NS3MaxENSH_8EqualityElEE10hipError_tPvRmT2_T3_T4_T5_mT6_T7_P12ihipStream_tbENKUlT_T0_E_clISt17integral_constantIbLb0EESZ_IbLb1EEEEDaSV_SW_EUlSV_E_NS1_11comp_targetILNS1_3genE8ELNS1_11target_archE1030ELNS1_3gpuE2ELNS1_3repE0EEENS1_30default_config_static_selectorELNS0_4arch9wavefront6targetE1EEEvT1_.num_vgpr, 0
	.set _ZN7rocprim17ROCPRIM_400000_NS6detail17trampoline_kernelINS0_14default_configENS1_27scan_by_key_config_selectorIllEEZZNS1_16scan_by_key_implILNS1_25lookback_scan_determinismE0ELb0ES3_N6thrust23THRUST_200600_302600_NS16reverse_iteratorIPKlEESD_NSA_IPlEElN6hipcub16HIPCUB_304000_NS3MaxENSH_8EqualityElEE10hipError_tPvRmT2_T3_T4_T5_mT6_T7_P12ihipStream_tbENKUlT_T0_E_clISt17integral_constantIbLb0EESZ_IbLb1EEEEDaSV_SW_EUlSV_E_NS1_11comp_targetILNS1_3genE8ELNS1_11target_archE1030ELNS1_3gpuE2ELNS1_3repE0EEENS1_30default_config_static_selectorELNS0_4arch9wavefront6targetE1EEEvT1_.num_agpr, 0
	.set _ZN7rocprim17ROCPRIM_400000_NS6detail17trampoline_kernelINS0_14default_configENS1_27scan_by_key_config_selectorIllEEZZNS1_16scan_by_key_implILNS1_25lookback_scan_determinismE0ELb0ES3_N6thrust23THRUST_200600_302600_NS16reverse_iteratorIPKlEESD_NSA_IPlEElN6hipcub16HIPCUB_304000_NS3MaxENSH_8EqualityElEE10hipError_tPvRmT2_T3_T4_T5_mT6_T7_P12ihipStream_tbENKUlT_T0_E_clISt17integral_constantIbLb0EESZ_IbLb1EEEEDaSV_SW_EUlSV_E_NS1_11comp_targetILNS1_3genE8ELNS1_11target_archE1030ELNS1_3gpuE2ELNS1_3repE0EEENS1_30default_config_static_selectorELNS0_4arch9wavefront6targetE1EEEvT1_.numbered_sgpr, 0
	.set _ZN7rocprim17ROCPRIM_400000_NS6detail17trampoline_kernelINS0_14default_configENS1_27scan_by_key_config_selectorIllEEZZNS1_16scan_by_key_implILNS1_25lookback_scan_determinismE0ELb0ES3_N6thrust23THRUST_200600_302600_NS16reverse_iteratorIPKlEESD_NSA_IPlEElN6hipcub16HIPCUB_304000_NS3MaxENSH_8EqualityElEE10hipError_tPvRmT2_T3_T4_T5_mT6_T7_P12ihipStream_tbENKUlT_T0_E_clISt17integral_constantIbLb0EESZ_IbLb1EEEEDaSV_SW_EUlSV_E_NS1_11comp_targetILNS1_3genE8ELNS1_11target_archE1030ELNS1_3gpuE2ELNS1_3repE0EEENS1_30default_config_static_selectorELNS0_4arch9wavefront6targetE1EEEvT1_.num_named_barrier, 0
	.set _ZN7rocprim17ROCPRIM_400000_NS6detail17trampoline_kernelINS0_14default_configENS1_27scan_by_key_config_selectorIllEEZZNS1_16scan_by_key_implILNS1_25lookback_scan_determinismE0ELb0ES3_N6thrust23THRUST_200600_302600_NS16reverse_iteratorIPKlEESD_NSA_IPlEElN6hipcub16HIPCUB_304000_NS3MaxENSH_8EqualityElEE10hipError_tPvRmT2_T3_T4_T5_mT6_T7_P12ihipStream_tbENKUlT_T0_E_clISt17integral_constantIbLb0EESZ_IbLb1EEEEDaSV_SW_EUlSV_E_NS1_11comp_targetILNS1_3genE8ELNS1_11target_archE1030ELNS1_3gpuE2ELNS1_3repE0EEENS1_30default_config_static_selectorELNS0_4arch9wavefront6targetE1EEEvT1_.private_seg_size, 0
	.set _ZN7rocprim17ROCPRIM_400000_NS6detail17trampoline_kernelINS0_14default_configENS1_27scan_by_key_config_selectorIllEEZZNS1_16scan_by_key_implILNS1_25lookback_scan_determinismE0ELb0ES3_N6thrust23THRUST_200600_302600_NS16reverse_iteratorIPKlEESD_NSA_IPlEElN6hipcub16HIPCUB_304000_NS3MaxENSH_8EqualityElEE10hipError_tPvRmT2_T3_T4_T5_mT6_T7_P12ihipStream_tbENKUlT_T0_E_clISt17integral_constantIbLb0EESZ_IbLb1EEEEDaSV_SW_EUlSV_E_NS1_11comp_targetILNS1_3genE8ELNS1_11target_archE1030ELNS1_3gpuE2ELNS1_3repE0EEENS1_30default_config_static_selectorELNS0_4arch9wavefront6targetE1EEEvT1_.uses_vcc, 0
	.set _ZN7rocprim17ROCPRIM_400000_NS6detail17trampoline_kernelINS0_14default_configENS1_27scan_by_key_config_selectorIllEEZZNS1_16scan_by_key_implILNS1_25lookback_scan_determinismE0ELb0ES3_N6thrust23THRUST_200600_302600_NS16reverse_iteratorIPKlEESD_NSA_IPlEElN6hipcub16HIPCUB_304000_NS3MaxENSH_8EqualityElEE10hipError_tPvRmT2_T3_T4_T5_mT6_T7_P12ihipStream_tbENKUlT_T0_E_clISt17integral_constantIbLb0EESZ_IbLb1EEEEDaSV_SW_EUlSV_E_NS1_11comp_targetILNS1_3genE8ELNS1_11target_archE1030ELNS1_3gpuE2ELNS1_3repE0EEENS1_30default_config_static_selectorELNS0_4arch9wavefront6targetE1EEEvT1_.uses_flat_scratch, 0
	.set _ZN7rocprim17ROCPRIM_400000_NS6detail17trampoline_kernelINS0_14default_configENS1_27scan_by_key_config_selectorIllEEZZNS1_16scan_by_key_implILNS1_25lookback_scan_determinismE0ELb0ES3_N6thrust23THRUST_200600_302600_NS16reverse_iteratorIPKlEESD_NSA_IPlEElN6hipcub16HIPCUB_304000_NS3MaxENSH_8EqualityElEE10hipError_tPvRmT2_T3_T4_T5_mT6_T7_P12ihipStream_tbENKUlT_T0_E_clISt17integral_constantIbLb0EESZ_IbLb1EEEEDaSV_SW_EUlSV_E_NS1_11comp_targetILNS1_3genE8ELNS1_11target_archE1030ELNS1_3gpuE2ELNS1_3repE0EEENS1_30default_config_static_selectorELNS0_4arch9wavefront6targetE1EEEvT1_.has_dyn_sized_stack, 0
	.set _ZN7rocprim17ROCPRIM_400000_NS6detail17trampoline_kernelINS0_14default_configENS1_27scan_by_key_config_selectorIllEEZZNS1_16scan_by_key_implILNS1_25lookback_scan_determinismE0ELb0ES3_N6thrust23THRUST_200600_302600_NS16reverse_iteratorIPKlEESD_NSA_IPlEElN6hipcub16HIPCUB_304000_NS3MaxENSH_8EqualityElEE10hipError_tPvRmT2_T3_T4_T5_mT6_T7_P12ihipStream_tbENKUlT_T0_E_clISt17integral_constantIbLb0EESZ_IbLb1EEEEDaSV_SW_EUlSV_E_NS1_11comp_targetILNS1_3genE8ELNS1_11target_archE1030ELNS1_3gpuE2ELNS1_3repE0EEENS1_30default_config_static_selectorELNS0_4arch9wavefront6targetE1EEEvT1_.has_recursion, 0
	.set _ZN7rocprim17ROCPRIM_400000_NS6detail17trampoline_kernelINS0_14default_configENS1_27scan_by_key_config_selectorIllEEZZNS1_16scan_by_key_implILNS1_25lookback_scan_determinismE0ELb0ES3_N6thrust23THRUST_200600_302600_NS16reverse_iteratorIPKlEESD_NSA_IPlEElN6hipcub16HIPCUB_304000_NS3MaxENSH_8EqualityElEE10hipError_tPvRmT2_T3_T4_T5_mT6_T7_P12ihipStream_tbENKUlT_T0_E_clISt17integral_constantIbLb0EESZ_IbLb1EEEEDaSV_SW_EUlSV_E_NS1_11comp_targetILNS1_3genE8ELNS1_11target_archE1030ELNS1_3gpuE2ELNS1_3repE0EEENS1_30default_config_static_selectorELNS0_4arch9wavefront6targetE1EEEvT1_.has_indirect_call, 0
	.section	.AMDGPU.csdata,"",@progbits
; Kernel info:
; codeLenInByte = 0
; TotalNumSgprs: 6
; NumVgprs: 0
; NumAgprs: 0
; TotalNumVgprs: 0
; ScratchSize: 0
; MemoryBound: 0
; FloatMode: 240
; IeeeMode: 1
; LDSByteSize: 0 bytes/workgroup (compile time only)
; SGPRBlocks: 0
; VGPRBlocks: 0
; NumSGPRsForWavesPerEU: 6
; NumVGPRsForWavesPerEU: 1
; AccumOffset: 4
; Occupancy: 8
; WaveLimiterHint : 0
; COMPUTE_PGM_RSRC2:SCRATCH_EN: 0
; COMPUTE_PGM_RSRC2:USER_SGPR: 2
; COMPUTE_PGM_RSRC2:TRAP_HANDLER: 0
; COMPUTE_PGM_RSRC2:TGID_X_EN: 1
; COMPUTE_PGM_RSRC2:TGID_Y_EN: 0
; COMPUTE_PGM_RSRC2:TGID_Z_EN: 0
; COMPUTE_PGM_RSRC2:TIDIG_COMP_CNT: 0
; COMPUTE_PGM_RSRC3_GFX90A:ACCUM_OFFSET: 0
; COMPUTE_PGM_RSRC3_GFX90A:TG_SPLIT: 0
	.section	.text._ZN2at6native12_GLOBAL__N_136embedding_renorm_wrap_indices_kernelIiEEvPKT_PS3_ll,"axG",@progbits,_ZN2at6native12_GLOBAL__N_136embedding_renorm_wrap_indices_kernelIiEEvPKT_PS3_ll,comdat
	.globl	_ZN2at6native12_GLOBAL__N_136embedding_renorm_wrap_indices_kernelIiEEvPKT_PS3_ll ; -- Begin function _ZN2at6native12_GLOBAL__N_136embedding_renorm_wrap_indices_kernelIiEEvPKT_PS3_ll
	.p2align	8
	.type	_ZN2at6native12_GLOBAL__N_136embedding_renorm_wrap_indices_kernelIiEEvPKT_PS3_ll,@function
_ZN2at6native12_GLOBAL__N_136embedding_renorm_wrap_indices_kernelIiEEvPKT_PS3_ll: ; @_ZN2at6native12_GLOBAL__N_136embedding_renorm_wrap_indices_kernelIiEEvPKT_PS3_ll
; %bb.0:
	s_load_dword s3, s[0:1], 0x2c
	s_load_dwordx8 s[4:11], s[0:1], 0x0
	v_mov_b32_e32 v1, 0
	v_mov_b32_e32 v2, s2
	s_waitcnt lgkmcnt(0)
	s_and_b32 s0, s3, 0xffff
	v_mad_u64_u32 v[0:1], s[0:1], s0, v2, v[0:1]
	v_cmp_gt_i64_e32 vcc, s[8:9], v[0:1]
	s_and_saveexec_b64 s[0:1], vcc
	s_cbranch_execz .LBB176_6
; %bb.1:
	v_mov_b32_e32 v2, s4
	v_mov_b32_e32 v3, s5
	v_lshl_add_u64 v[2:3], v[0:1], 2, v[2:3]
	global_load_dword v2, v[2:3], off
	s_sub_u32 s0, 0, s10
	s_subb_u32 s1, 0, s11
	s_mov_b64 s[2:3], -1
	s_waitcnt vmcnt(0)
	v_ashrrev_i32_e32 v3, 31, v2
	v_cmp_le_i64_e32 vcc, s[0:1], v[2:3]
	s_and_saveexec_b64 s[0:1], vcc
	s_cbranch_execz .LBB176_5
; %bb.2:
	s_getpc_b64 s[2:3]
	s_add_u32 s2, s2, .str.4@rel32@lo+4
	s_addc_u32 s3, s3, .str.4@rel32@hi+12
	s_cmp_eq_u64 s[2:3], 0
	v_cmp_le_i64_e32 vcc, s[10:11], v[2:3]
	s_cselect_b64 s[2:3], -1, 0
	s_or_b64 s[2:3], vcc, s[2:3]
	s_xor_b64 s[8:9], s[2:3], -1
	s_and_saveexec_b64 s[4:5], s[8:9]
; %bb.3:
	v_ashrrev_i32_e32 v3, 31, v2
	v_mov_b32_e32 v4, s6
	v_mov_b32_e32 v5, s7
	v_and_b32_e32 v3, s10, v3
	v_add_u32_e32 v2, v3, v2
	v_lshl_add_u64 v[0:1], v[0:1], 2, v[4:5]
	global_store_dword v[0:1], v2, off
; %bb.4:
	s_or_b64 exec, exec, s[4:5]
	s_orn2_b64 s[2:3], s[2:3], exec
.LBB176_5:
	s_or_b64 exec, exec, s[0:1]
	s_and_b64 exec, exec, s[2:3]
	s_cbranch_execnz .LBB176_7
.LBB176_6:
	s_endpgm
.LBB176_7:
	s_trap 2
	; divergent unreachable
	s_endpgm
	.section	.rodata,"a",@progbits
	.p2align	6, 0x0
	.amdhsa_kernel _ZN2at6native12_GLOBAL__N_136embedding_renorm_wrap_indices_kernelIiEEvPKT_PS3_ll
		.amdhsa_group_segment_fixed_size 0
		.amdhsa_private_segment_fixed_size 0
		.amdhsa_kernarg_size 288
		.amdhsa_user_sgpr_count 2
		.amdhsa_user_sgpr_dispatch_ptr 0
		.amdhsa_user_sgpr_queue_ptr 0
		.amdhsa_user_sgpr_kernarg_segment_ptr 1
		.amdhsa_user_sgpr_dispatch_id 0
		.amdhsa_user_sgpr_kernarg_preload_length 0
		.amdhsa_user_sgpr_kernarg_preload_offset 0
		.amdhsa_user_sgpr_private_segment_size 0
		.amdhsa_uses_dynamic_stack 0
		.amdhsa_enable_private_segment 0
		.amdhsa_system_sgpr_workgroup_id_x 1
		.amdhsa_system_sgpr_workgroup_id_y 0
		.amdhsa_system_sgpr_workgroup_id_z 0
		.amdhsa_system_sgpr_workgroup_info 0
		.amdhsa_system_vgpr_workitem_id 0
		.amdhsa_next_free_vgpr 6
		.amdhsa_next_free_sgpr 12
		.amdhsa_accum_offset 8
		.amdhsa_reserve_vcc 1
		.amdhsa_float_round_mode_32 0
		.amdhsa_float_round_mode_16_64 0
		.amdhsa_float_denorm_mode_32 3
		.amdhsa_float_denorm_mode_16_64 3
		.amdhsa_dx10_clamp 1
		.amdhsa_ieee_mode 1
		.amdhsa_fp16_overflow 0
		.amdhsa_tg_split 0
		.amdhsa_exception_fp_ieee_invalid_op 0
		.amdhsa_exception_fp_denorm_src 0
		.amdhsa_exception_fp_ieee_div_zero 0
		.amdhsa_exception_fp_ieee_overflow 0
		.amdhsa_exception_fp_ieee_underflow 0
		.amdhsa_exception_fp_ieee_inexact 0
		.amdhsa_exception_int_div_zero 0
	.end_amdhsa_kernel
	.section	.text._ZN2at6native12_GLOBAL__N_136embedding_renorm_wrap_indices_kernelIiEEvPKT_PS3_ll,"axG",@progbits,_ZN2at6native12_GLOBAL__N_136embedding_renorm_wrap_indices_kernelIiEEvPKT_PS3_ll,comdat
.Lfunc_end176:
	.size	_ZN2at6native12_GLOBAL__N_136embedding_renorm_wrap_indices_kernelIiEEvPKT_PS3_ll, .Lfunc_end176-_ZN2at6native12_GLOBAL__N_136embedding_renorm_wrap_indices_kernelIiEEvPKT_PS3_ll
                                        ; -- End function
	.set _ZN2at6native12_GLOBAL__N_136embedding_renorm_wrap_indices_kernelIiEEvPKT_PS3_ll.num_vgpr, 6
	.set _ZN2at6native12_GLOBAL__N_136embedding_renorm_wrap_indices_kernelIiEEvPKT_PS3_ll.num_agpr, 0
	.set _ZN2at6native12_GLOBAL__N_136embedding_renorm_wrap_indices_kernelIiEEvPKT_PS3_ll.numbered_sgpr, 12
	.set _ZN2at6native12_GLOBAL__N_136embedding_renorm_wrap_indices_kernelIiEEvPKT_PS3_ll.num_named_barrier, 0
	.set _ZN2at6native12_GLOBAL__N_136embedding_renorm_wrap_indices_kernelIiEEvPKT_PS3_ll.private_seg_size, 0
	.set _ZN2at6native12_GLOBAL__N_136embedding_renorm_wrap_indices_kernelIiEEvPKT_PS3_ll.uses_vcc, 1
	.set _ZN2at6native12_GLOBAL__N_136embedding_renorm_wrap_indices_kernelIiEEvPKT_PS3_ll.uses_flat_scratch, 0
	.set _ZN2at6native12_GLOBAL__N_136embedding_renorm_wrap_indices_kernelIiEEvPKT_PS3_ll.has_dyn_sized_stack, 0
	.set _ZN2at6native12_GLOBAL__N_136embedding_renorm_wrap_indices_kernelIiEEvPKT_PS3_ll.has_recursion, 0
	.set _ZN2at6native12_GLOBAL__N_136embedding_renorm_wrap_indices_kernelIiEEvPKT_PS3_ll.has_indirect_call, 0
	.section	.AMDGPU.csdata,"",@progbits
; Kernel info:
; codeLenInByte = 224
; TotalNumSgprs: 18
; NumVgprs: 6
; NumAgprs: 0
; TotalNumVgprs: 6
; ScratchSize: 0
; MemoryBound: 0
; FloatMode: 240
; IeeeMode: 1
; LDSByteSize: 0 bytes/workgroup (compile time only)
; SGPRBlocks: 2
; VGPRBlocks: 0
; NumSGPRsForWavesPerEU: 18
; NumVGPRsForWavesPerEU: 6
; AccumOffset: 8
; Occupancy: 8
; WaveLimiterHint : 0
; COMPUTE_PGM_RSRC2:SCRATCH_EN: 0
; COMPUTE_PGM_RSRC2:USER_SGPR: 2
; COMPUTE_PGM_RSRC2:TRAP_HANDLER: 0
; COMPUTE_PGM_RSRC2:TGID_X_EN: 1
; COMPUTE_PGM_RSRC2:TGID_Y_EN: 0
; COMPUTE_PGM_RSRC2:TGID_Z_EN: 0
; COMPUTE_PGM_RSRC2:TIDIG_COMP_CNT: 0
; COMPUTE_PGM_RSRC3_GFX90A:ACCUM_OFFSET: 1
; COMPUTE_PGM_RSRC3_GFX90A:TG_SPLIT: 0
	.section	.text._ZN7rocprim17ROCPRIM_400000_NS6detail31init_lookback_scan_state_kernelINS1_19lookback_scan_stateIjLb0ELb1EEENS1_16block_id_wrapperIjLb0EEEEEvT_jT0_jPNS7_10value_typeE,"axG",@progbits,_ZN7rocprim17ROCPRIM_400000_NS6detail31init_lookback_scan_state_kernelINS1_19lookback_scan_stateIjLb0ELb1EEENS1_16block_id_wrapperIjLb0EEEEEvT_jT0_jPNS7_10value_typeE,comdat
	.protected	_ZN7rocprim17ROCPRIM_400000_NS6detail31init_lookback_scan_state_kernelINS1_19lookback_scan_stateIjLb0ELb1EEENS1_16block_id_wrapperIjLb0EEEEEvT_jT0_jPNS7_10value_typeE ; -- Begin function _ZN7rocprim17ROCPRIM_400000_NS6detail31init_lookback_scan_state_kernelINS1_19lookback_scan_stateIjLb0ELb1EEENS1_16block_id_wrapperIjLb0EEEEEvT_jT0_jPNS7_10value_typeE
	.globl	_ZN7rocprim17ROCPRIM_400000_NS6detail31init_lookback_scan_state_kernelINS1_19lookback_scan_stateIjLb0ELb1EEENS1_16block_id_wrapperIjLb0EEEEEvT_jT0_jPNS7_10value_typeE
	.p2align	8
	.type	_ZN7rocprim17ROCPRIM_400000_NS6detail31init_lookback_scan_state_kernelINS1_19lookback_scan_stateIjLb0ELb1EEENS1_16block_id_wrapperIjLb0EEEEEvT_jT0_jPNS7_10value_typeE,@function
_ZN7rocprim17ROCPRIM_400000_NS6detail31init_lookback_scan_state_kernelINS1_19lookback_scan_stateIjLb0ELb1EEENS1_16block_id_wrapperIjLb0EEEEEvT_jT0_jPNS7_10value_typeE: ; @_ZN7rocprim17ROCPRIM_400000_NS6detail31init_lookback_scan_state_kernelINS1_19lookback_scan_stateIjLb0ELb1EEENS1_16block_id_wrapperIjLb0EEEEEvT_jT0_jPNS7_10value_typeE
; %bb.0:
	s_load_dword s3, s[0:1], 0x2c
	s_load_dwordx2 s[6:7], s[0:1], 0x18
	s_load_dwordx2 s[4:5], s[0:1], 0x0
	s_load_dword s8, s[0:1], 0x8
	s_waitcnt lgkmcnt(0)
	s_and_b32 s3, s3, 0xffff
	s_mul_i32 s2, s2, s3
	s_cmp_eq_u64 s[6:7], 0
	v_add_u32_e32 v0, s2, v0
	s_cbranch_scc1 .LBB177_6
; %bb.1:
	s_load_dword s2, s[0:1], 0x10
	s_mov_b32 s3, 0
	s_waitcnt lgkmcnt(0)
	s_cmp_lt_u32 s2, s8
	s_cselect_b32 s0, s2, 0
	v_cmp_eq_u32_e32 vcc, s0, v0
	s_and_saveexec_b64 s[0:1], vcc
	s_cbranch_execz .LBB177_5
; %bb.2:
	s_add_i32 s2, s2, 64
	s_lshl_b64 s[2:3], s[2:3], 3
	s_add_u32 s2, s4, s2
	s_addc_u32 s3, s5, s3
	v_mov_b32_e32 v4, 0
	global_load_dwordx2 v[2:3], v4, s[2:3] sc1
	s_waitcnt vmcnt(0)
	v_and_b32_e32 v5, 0xff, v3
	v_cmp_ne_u64_e32 vcc, 0, v[4:5]
	s_cbranch_vccnz .LBB177_4
.LBB177_3:                              ; =>This Inner Loop Header: Depth=1
	global_load_dwordx2 v[2:3], v4, s[2:3] sc1
	s_waitcnt vmcnt(0)
	v_and_b32_e32 v5, 0xff, v3
	v_cmp_eq_u64_e32 vcc, 0, v[4:5]
	s_cbranch_vccnz .LBB177_3
.LBB177_4:
	v_mov_b32_e32 v1, 0
	global_store_dword v1, v2, s[6:7]
.LBB177_5:
	s_or_b64 exec, exec, s[0:1]
.LBB177_6:
	v_cmp_gt_u32_e32 vcc, s8, v0
	s_and_saveexec_b64 s[0:1], vcc
	s_cbranch_execnz .LBB177_9
; %bb.7:
	s_or_b64 exec, exec, s[0:1]
	v_cmp_gt_u32_e32 vcc, 64, v0
	s_and_saveexec_b64 s[0:1], vcc
	s_cbranch_execnz .LBB177_10
.LBB177_8:
	s_endpgm
.LBB177_9:
	v_add_u32_e32 v2, 64, v0
	v_mov_b32_e32 v3, 0
	v_lshl_add_u64 v[4:5], v[2:3], 3, s[4:5]
	v_mov_b32_e32 v2, v3
	global_store_dwordx2 v[4:5], v[2:3], off
	s_or_b64 exec, exec, s[0:1]
	v_cmp_gt_u32_e32 vcc, 64, v0
	s_and_saveexec_b64 s[0:1], vcc
	s_cbranch_execz .LBB177_8
.LBB177_10:
	v_mov_b32_e32 v1, 0
	v_lshl_add_u64 v[2:3], v[0:1], 3, s[4:5]
	v_mov_b32_e32 v5, 0xff
	v_mov_b32_e32 v4, v1
	global_store_dwordx2 v[2:3], v[4:5], off
	s_endpgm
	.section	.rodata,"a",@progbits
	.p2align	6, 0x0
	.amdhsa_kernel _ZN7rocprim17ROCPRIM_400000_NS6detail31init_lookback_scan_state_kernelINS1_19lookback_scan_stateIjLb0ELb1EEENS1_16block_id_wrapperIjLb0EEEEEvT_jT0_jPNS7_10value_typeE
		.amdhsa_group_segment_fixed_size 0
		.amdhsa_private_segment_fixed_size 0
		.amdhsa_kernarg_size 288
		.amdhsa_user_sgpr_count 2
		.amdhsa_user_sgpr_dispatch_ptr 0
		.amdhsa_user_sgpr_queue_ptr 0
		.amdhsa_user_sgpr_kernarg_segment_ptr 1
		.amdhsa_user_sgpr_dispatch_id 0
		.amdhsa_user_sgpr_kernarg_preload_length 0
		.amdhsa_user_sgpr_kernarg_preload_offset 0
		.amdhsa_user_sgpr_private_segment_size 0
		.amdhsa_uses_dynamic_stack 0
		.amdhsa_enable_private_segment 0
		.amdhsa_system_sgpr_workgroup_id_x 1
		.amdhsa_system_sgpr_workgroup_id_y 0
		.amdhsa_system_sgpr_workgroup_id_z 0
		.amdhsa_system_sgpr_workgroup_info 0
		.amdhsa_system_vgpr_workitem_id 0
		.amdhsa_next_free_vgpr 6
		.amdhsa_next_free_sgpr 9
		.amdhsa_accum_offset 8
		.amdhsa_reserve_vcc 1
		.amdhsa_float_round_mode_32 0
		.amdhsa_float_round_mode_16_64 0
		.amdhsa_float_denorm_mode_32 3
		.amdhsa_float_denorm_mode_16_64 3
		.amdhsa_dx10_clamp 1
		.amdhsa_ieee_mode 1
		.amdhsa_fp16_overflow 0
		.amdhsa_tg_split 0
		.amdhsa_exception_fp_ieee_invalid_op 0
		.amdhsa_exception_fp_denorm_src 0
		.amdhsa_exception_fp_ieee_div_zero 0
		.amdhsa_exception_fp_ieee_overflow 0
		.amdhsa_exception_fp_ieee_underflow 0
		.amdhsa_exception_fp_ieee_inexact 0
		.amdhsa_exception_int_div_zero 0
	.end_amdhsa_kernel
	.section	.text._ZN7rocprim17ROCPRIM_400000_NS6detail31init_lookback_scan_state_kernelINS1_19lookback_scan_stateIjLb0ELb1EEENS1_16block_id_wrapperIjLb0EEEEEvT_jT0_jPNS7_10value_typeE,"axG",@progbits,_ZN7rocprim17ROCPRIM_400000_NS6detail31init_lookback_scan_state_kernelINS1_19lookback_scan_stateIjLb0ELb1EEENS1_16block_id_wrapperIjLb0EEEEEvT_jT0_jPNS7_10value_typeE,comdat
.Lfunc_end177:
	.size	_ZN7rocprim17ROCPRIM_400000_NS6detail31init_lookback_scan_state_kernelINS1_19lookback_scan_stateIjLb0ELb1EEENS1_16block_id_wrapperIjLb0EEEEEvT_jT0_jPNS7_10value_typeE, .Lfunc_end177-_ZN7rocprim17ROCPRIM_400000_NS6detail31init_lookback_scan_state_kernelINS1_19lookback_scan_stateIjLb0ELb1EEENS1_16block_id_wrapperIjLb0EEEEEvT_jT0_jPNS7_10value_typeE
                                        ; -- End function
	.set _ZN7rocprim17ROCPRIM_400000_NS6detail31init_lookback_scan_state_kernelINS1_19lookback_scan_stateIjLb0ELb1EEENS1_16block_id_wrapperIjLb0EEEEEvT_jT0_jPNS7_10value_typeE.num_vgpr, 6
	.set _ZN7rocprim17ROCPRIM_400000_NS6detail31init_lookback_scan_state_kernelINS1_19lookback_scan_stateIjLb0ELb1EEENS1_16block_id_wrapperIjLb0EEEEEvT_jT0_jPNS7_10value_typeE.num_agpr, 0
	.set _ZN7rocprim17ROCPRIM_400000_NS6detail31init_lookback_scan_state_kernelINS1_19lookback_scan_stateIjLb0ELb1EEENS1_16block_id_wrapperIjLb0EEEEEvT_jT0_jPNS7_10value_typeE.numbered_sgpr, 9
	.set _ZN7rocprim17ROCPRIM_400000_NS6detail31init_lookback_scan_state_kernelINS1_19lookback_scan_stateIjLb0ELb1EEENS1_16block_id_wrapperIjLb0EEEEEvT_jT0_jPNS7_10value_typeE.num_named_barrier, 0
	.set _ZN7rocprim17ROCPRIM_400000_NS6detail31init_lookback_scan_state_kernelINS1_19lookback_scan_stateIjLb0ELb1EEENS1_16block_id_wrapperIjLb0EEEEEvT_jT0_jPNS7_10value_typeE.private_seg_size, 0
	.set _ZN7rocprim17ROCPRIM_400000_NS6detail31init_lookback_scan_state_kernelINS1_19lookback_scan_stateIjLb0ELb1EEENS1_16block_id_wrapperIjLb0EEEEEvT_jT0_jPNS7_10value_typeE.uses_vcc, 1
	.set _ZN7rocprim17ROCPRIM_400000_NS6detail31init_lookback_scan_state_kernelINS1_19lookback_scan_stateIjLb0ELb1EEENS1_16block_id_wrapperIjLb0EEEEEvT_jT0_jPNS7_10value_typeE.uses_flat_scratch, 0
	.set _ZN7rocprim17ROCPRIM_400000_NS6detail31init_lookback_scan_state_kernelINS1_19lookback_scan_stateIjLb0ELb1EEENS1_16block_id_wrapperIjLb0EEEEEvT_jT0_jPNS7_10value_typeE.has_dyn_sized_stack, 0
	.set _ZN7rocprim17ROCPRIM_400000_NS6detail31init_lookback_scan_state_kernelINS1_19lookback_scan_stateIjLb0ELb1EEENS1_16block_id_wrapperIjLb0EEEEEvT_jT0_jPNS7_10value_typeE.has_recursion, 0
	.set _ZN7rocprim17ROCPRIM_400000_NS6detail31init_lookback_scan_state_kernelINS1_19lookback_scan_stateIjLb0ELb1EEENS1_16block_id_wrapperIjLb0EEEEEvT_jT0_jPNS7_10value_typeE.has_indirect_call, 0
	.section	.AMDGPU.csdata,"",@progbits
; Kernel info:
; codeLenInByte = 300
; TotalNumSgprs: 15
; NumVgprs: 6
; NumAgprs: 0
; TotalNumVgprs: 6
; ScratchSize: 0
; MemoryBound: 0
; FloatMode: 240
; IeeeMode: 1
; LDSByteSize: 0 bytes/workgroup (compile time only)
; SGPRBlocks: 1
; VGPRBlocks: 0
; NumSGPRsForWavesPerEU: 15
; NumVGPRsForWavesPerEU: 6
; AccumOffset: 8
; Occupancy: 8
; WaveLimiterHint : 0
; COMPUTE_PGM_RSRC2:SCRATCH_EN: 0
; COMPUTE_PGM_RSRC2:USER_SGPR: 2
; COMPUTE_PGM_RSRC2:TRAP_HANDLER: 0
; COMPUTE_PGM_RSRC2:TGID_X_EN: 1
; COMPUTE_PGM_RSRC2:TGID_Y_EN: 0
; COMPUTE_PGM_RSRC2:TGID_Z_EN: 0
; COMPUTE_PGM_RSRC2:TIDIG_COMP_CNT: 0
; COMPUTE_PGM_RSRC3_GFX90A:ACCUM_OFFSET: 1
; COMPUTE_PGM_RSRC3_GFX90A:TG_SPLIT: 0
	.section	.text._ZN7rocprim17ROCPRIM_400000_NS6detail17trampoline_kernelINS0_14default_configENS1_25partition_config_selectorILNS1_17partition_subalgoE8EiNS0_10empty_typeEbEEZZNS1_14partition_implILS5_8ELb0ES3_jPKiPS6_PKS6_NS0_5tupleIJPiS6_EEENSE_IJSB_SB_EEENS0_18inequality_wrapperIN6hipcub16HIPCUB_304000_NS8EqualityEEEPlJS6_EEE10hipError_tPvRmT3_T4_T5_T6_T7_T9_mT8_P12ihipStream_tbDpT10_ENKUlT_T0_E_clISt17integral_constantIbLb0EES17_EEDaS12_S13_EUlS12_E_NS1_11comp_targetILNS1_3genE0ELNS1_11target_archE4294967295ELNS1_3gpuE0ELNS1_3repE0EEENS1_30default_config_static_selectorELNS0_4arch9wavefront6targetE1EEEvT1_,"axG",@progbits,_ZN7rocprim17ROCPRIM_400000_NS6detail17trampoline_kernelINS0_14default_configENS1_25partition_config_selectorILNS1_17partition_subalgoE8EiNS0_10empty_typeEbEEZZNS1_14partition_implILS5_8ELb0ES3_jPKiPS6_PKS6_NS0_5tupleIJPiS6_EEENSE_IJSB_SB_EEENS0_18inequality_wrapperIN6hipcub16HIPCUB_304000_NS8EqualityEEEPlJS6_EEE10hipError_tPvRmT3_T4_T5_T6_T7_T9_mT8_P12ihipStream_tbDpT10_ENKUlT_T0_E_clISt17integral_constantIbLb0EES17_EEDaS12_S13_EUlS12_E_NS1_11comp_targetILNS1_3genE0ELNS1_11target_archE4294967295ELNS1_3gpuE0ELNS1_3repE0EEENS1_30default_config_static_selectorELNS0_4arch9wavefront6targetE1EEEvT1_,comdat
	.protected	_ZN7rocprim17ROCPRIM_400000_NS6detail17trampoline_kernelINS0_14default_configENS1_25partition_config_selectorILNS1_17partition_subalgoE8EiNS0_10empty_typeEbEEZZNS1_14partition_implILS5_8ELb0ES3_jPKiPS6_PKS6_NS0_5tupleIJPiS6_EEENSE_IJSB_SB_EEENS0_18inequality_wrapperIN6hipcub16HIPCUB_304000_NS8EqualityEEEPlJS6_EEE10hipError_tPvRmT3_T4_T5_T6_T7_T9_mT8_P12ihipStream_tbDpT10_ENKUlT_T0_E_clISt17integral_constantIbLb0EES17_EEDaS12_S13_EUlS12_E_NS1_11comp_targetILNS1_3genE0ELNS1_11target_archE4294967295ELNS1_3gpuE0ELNS1_3repE0EEENS1_30default_config_static_selectorELNS0_4arch9wavefront6targetE1EEEvT1_ ; -- Begin function _ZN7rocprim17ROCPRIM_400000_NS6detail17trampoline_kernelINS0_14default_configENS1_25partition_config_selectorILNS1_17partition_subalgoE8EiNS0_10empty_typeEbEEZZNS1_14partition_implILS5_8ELb0ES3_jPKiPS6_PKS6_NS0_5tupleIJPiS6_EEENSE_IJSB_SB_EEENS0_18inequality_wrapperIN6hipcub16HIPCUB_304000_NS8EqualityEEEPlJS6_EEE10hipError_tPvRmT3_T4_T5_T6_T7_T9_mT8_P12ihipStream_tbDpT10_ENKUlT_T0_E_clISt17integral_constantIbLb0EES17_EEDaS12_S13_EUlS12_E_NS1_11comp_targetILNS1_3genE0ELNS1_11target_archE4294967295ELNS1_3gpuE0ELNS1_3repE0EEENS1_30default_config_static_selectorELNS0_4arch9wavefront6targetE1EEEvT1_
	.globl	_ZN7rocprim17ROCPRIM_400000_NS6detail17trampoline_kernelINS0_14default_configENS1_25partition_config_selectorILNS1_17partition_subalgoE8EiNS0_10empty_typeEbEEZZNS1_14partition_implILS5_8ELb0ES3_jPKiPS6_PKS6_NS0_5tupleIJPiS6_EEENSE_IJSB_SB_EEENS0_18inequality_wrapperIN6hipcub16HIPCUB_304000_NS8EqualityEEEPlJS6_EEE10hipError_tPvRmT3_T4_T5_T6_T7_T9_mT8_P12ihipStream_tbDpT10_ENKUlT_T0_E_clISt17integral_constantIbLb0EES17_EEDaS12_S13_EUlS12_E_NS1_11comp_targetILNS1_3genE0ELNS1_11target_archE4294967295ELNS1_3gpuE0ELNS1_3repE0EEENS1_30default_config_static_selectorELNS0_4arch9wavefront6targetE1EEEvT1_
	.p2align	8
	.type	_ZN7rocprim17ROCPRIM_400000_NS6detail17trampoline_kernelINS0_14default_configENS1_25partition_config_selectorILNS1_17partition_subalgoE8EiNS0_10empty_typeEbEEZZNS1_14partition_implILS5_8ELb0ES3_jPKiPS6_PKS6_NS0_5tupleIJPiS6_EEENSE_IJSB_SB_EEENS0_18inequality_wrapperIN6hipcub16HIPCUB_304000_NS8EqualityEEEPlJS6_EEE10hipError_tPvRmT3_T4_T5_T6_T7_T9_mT8_P12ihipStream_tbDpT10_ENKUlT_T0_E_clISt17integral_constantIbLb0EES17_EEDaS12_S13_EUlS12_E_NS1_11comp_targetILNS1_3genE0ELNS1_11target_archE4294967295ELNS1_3gpuE0ELNS1_3repE0EEENS1_30default_config_static_selectorELNS0_4arch9wavefront6targetE1EEEvT1_,@function
_ZN7rocprim17ROCPRIM_400000_NS6detail17trampoline_kernelINS0_14default_configENS1_25partition_config_selectorILNS1_17partition_subalgoE8EiNS0_10empty_typeEbEEZZNS1_14partition_implILS5_8ELb0ES3_jPKiPS6_PKS6_NS0_5tupleIJPiS6_EEENSE_IJSB_SB_EEENS0_18inequality_wrapperIN6hipcub16HIPCUB_304000_NS8EqualityEEEPlJS6_EEE10hipError_tPvRmT3_T4_T5_T6_T7_T9_mT8_P12ihipStream_tbDpT10_ENKUlT_T0_E_clISt17integral_constantIbLb0EES17_EEDaS12_S13_EUlS12_E_NS1_11comp_targetILNS1_3genE0ELNS1_11target_archE4294967295ELNS1_3gpuE0ELNS1_3repE0EEENS1_30default_config_static_selectorELNS0_4arch9wavefront6targetE1EEEvT1_: ; @_ZN7rocprim17ROCPRIM_400000_NS6detail17trampoline_kernelINS0_14default_configENS1_25partition_config_selectorILNS1_17partition_subalgoE8EiNS0_10empty_typeEbEEZZNS1_14partition_implILS5_8ELb0ES3_jPKiPS6_PKS6_NS0_5tupleIJPiS6_EEENSE_IJSB_SB_EEENS0_18inequality_wrapperIN6hipcub16HIPCUB_304000_NS8EqualityEEEPlJS6_EEE10hipError_tPvRmT3_T4_T5_T6_T7_T9_mT8_P12ihipStream_tbDpT10_ENKUlT_T0_E_clISt17integral_constantIbLb0EES17_EEDaS12_S13_EUlS12_E_NS1_11comp_targetILNS1_3genE0ELNS1_11target_archE4294967295ELNS1_3gpuE0ELNS1_3repE0EEENS1_30default_config_static_selectorELNS0_4arch9wavefront6targetE1EEEvT1_
; %bb.0:
	s_load_dwordx4 s[4:7], s[0:1], 0x8
	s_load_dwordx4 s[44:47], s[0:1], 0x40
	s_load_dwordx2 s[8:9], s[0:1], 0x50
	s_load_dword s3, s[0:1], 0x68
	s_waitcnt lgkmcnt(0)
	s_lshl_b64 s[10:11], s[6:7], 2
	s_add_u32 s12, s4, s10
	s_addc_u32 s13, s5, s11
	s_mul_i32 s10, s3, 0x1600
	s_add_i32 s14, s3, -1
	s_add_i32 s3, s10, s6
	s_sub_i32 s3, s8, s3
	s_add_u32 s10, s6, s10
	s_addc_u32 s11, s7, 0
	v_mov_b64_e32 v[2:3], s[10:11]
	s_cmp_eq_u32 s2, s14
	s_load_dwordx2 s[46:47], s[46:47], 0x0
	v_cmp_le_u64_e32 vcc, s[8:9], v[2:3]
	s_cselect_b64 s[48:49], -1, 0
	s_mul_i32 s4, s2, 0x1600
	s_mov_b32 s5, 0
	s_and_b64 s[52:53], s[48:49], vcc
	s_xor_b64 s[50:51], s[52:53], -1
	s_lshl_b64 s[4:5], s[4:5], 2
	s_add_u32 s4, s12, s4
	s_mov_b64 s[8:9], -1
	s_addc_u32 s5, s13, s5
	s_and_b64 vcc, exec, s[50:51]
	s_cbranch_vccz .LBB178_2
; %bb.1:
	v_lshlrev_b32_e32 v2, 2, v0
	v_mov_b32_e32 v3, 0
	v_lshl_add_u64 v[4:5], s[4:5], 0, v[2:3]
	v_add_co_u32_e32 v6, vcc, 0x1000, v4
	global_load_dword v1, v2, s[4:5]
	global_load_dword v3, v2, s[4:5] offset:2048
	v_addc_co_u32_e32 v7, vcc, 0, v5, vcc
	v_add_co_u32_e32 v8, vcc, 0x2000, v4
	s_mov_b64 s[8:9], 0
	s_nop 0
	v_addc_co_u32_e32 v9, vcc, 0, v5, vcc
	v_add_co_u32_e32 v10, vcc, 0x3000, v4
	s_nop 1
	v_addc_co_u32_e32 v11, vcc, 0, v5, vcc
	v_add_co_u32_e32 v12, vcc, 0x4000, v4
	s_nop 1
	v_addc_co_u32_e32 v13, vcc, 0, v5, vcc
	global_load_dword v14, v[6:7], off
	global_load_dword v15, v[6:7], off offset:2048
	global_load_dword v16, v[8:9], off
	global_load_dword v17, v[8:9], off offset:2048
	;; [unrolled: 2-line block ×4, first 2 shown]
	v_add_co_u32_e32 v4, vcc, 0x5000, v4
	s_nop 1
	v_addc_co_u32_e32 v5, vcc, 0, v5, vcc
	global_load_dword v4, v[4:5], off
	s_waitcnt vmcnt(9)
	ds_write2st64_b32 v2, v1, v3 offset1:8
	s_waitcnt vmcnt(7)
	ds_write2st64_b32 v2, v14, v15 offset0:16 offset1:24
	s_waitcnt vmcnt(5)
	ds_write2st64_b32 v2, v16, v17 offset0:32 offset1:40
	;; [unrolled: 2-line block ×4, first 2 shown]
	s_waitcnt vmcnt(0)
	ds_write_b32 v2, v4 offset:20480
	s_waitcnt lgkmcnt(0)
	s_barrier
.LBB178_2:
	s_andn2_b64 vcc, exec, s[8:9]
	s_addk_i32 s3, 0x1600
	s_cbranch_vccnz .LBB178_26
; %bb.3:
	v_mov_b32_e32 v2, 0
	v_cmp_gt_u32_e32 vcc, s3, v0
	v_mov_b32_e32 v3, v2
	v_mov_b32_e32 v4, v2
	;; [unrolled: 1-line block ×10, first 2 shown]
	s_and_saveexec_b64 s[8:9], vcc
	s_cbranch_execz .LBB178_5
; %bb.4:
	v_lshlrev_b32_e32 v1, 2, v0
	global_load_dword v4, v1, s[4:5]
	v_mov_b32_e32 v5, v2
	v_mov_b32_e32 v6, v2
	;; [unrolled: 1-line block ×10, first 2 shown]
	s_waitcnt vmcnt(0)
	v_mov_b32_e32 v2, v4
	v_mov_b32_e32 v3, v5
	;; [unrolled: 1-line block ×11, first 2 shown]
.LBB178_5:
	s_or_b64 exec, exec, s[8:9]
	v_or_b32_e32 v1, 0x200, v0
	v_cmp_gt_u32_e32 vcc, s3, v1
	s_and_saveexec_b64 s[8:9], vcc
	s_cbranch_execz .LBB178_7
; %bb.6:
	v_lshlrev_b32_e32 v1, 2, v0
	global_load_dword v3, v1, s[4:5] offset:2048
.LBB178_7:
	s_or_b64 exec, exec, s[8:9]
	v_or_b32_e32 v1, 0x400, v0
	v_cmp_gt_u32_e32 vcc, s3, v1
	s_and_saveexec_b64 s[8:9], vcc
	s_cbranch_execz .LBB178_9
; %bb.8:
	v_lshlrev_b32_e32 v1, 2, v1
	global_load_dword v4, v1, s[4:5]
.LBB178_9:
	s_or_b64 exec, exec, s[8:9]
	v_or_b32_e32 v1, 0x600, v0
	v_cmp_gt_u32_e32 vcc, s3, v1
	s_and_saveexec_b64 s[8:9], vcc
	s_cbranch_execz .LBB178_11
; %bb.10:
	v_lshlrev_b32_e32 v1, 2, v1
	global_load_dword v5, v1, s[4:5]
.LBB178_11:
	;; [unrolled: 9-line block ×9, first 2 shown]
	s_or_b64 exec, exec, s[8:9]
	v_lshlrev_b32_e32 v1, 2, v0
	s_waitcnt vmcnt(0)
	ds_write2st64_b32 v1, v2, v3 offset1:8
	ds_write2st64_b32 v1, v4, v5 offset0:16 offset1:24
	ds_write2st64_b32 v1, v6, v7 offset0:32 offset1:40
	;; [unrolled: 1-line block ×4, first 2 shown]
	ds_write_b32 v1, v12 offset:20480
	s_waitcnt lgkmcnt(0)
	s_barrier
.LBB178_26:
	v_mul_u32_u24_e32 v6, 11, v0
	v_lshlrev_b32_e32 v1, 2, v6
	s_waitcnt lgkmcnt(0)
	ds_read2_b32 v[20:21], v1 offset0:2 offset1:3
	ds_read2_b32 v[22:23], v1 offset1:1
	ds_read2_b32 v[12:13], v1 offset0:3 offset1:4
	ds_read2_b32 v[2:3], v1 offset0:1 offset1:2
	;; [unrolled: 1-line block ×5, first 2 shown]
	s_cmp_lg_u32 s2, 0
	s_cselect_b64 s[54:55], -1, 0
	s_cmp_lg_u64 s[6:7], 0
	s_cselect_b64 s[6:7], -1, 0
	s_or_b64 s[6:7], s[54:55], s[6:7]
	s_mov_b64 s[56:57], 0
	s_and_b64 vcc, exec, s[6:7]
	s_waitcnt lgkmcnt(0)
	s_barrier
	s_cbranch_vccz .LBB178_31
; %bb.27:
	s_add_u32 s4, s4, -4
	s_addc_u32 s5, s5, -1
	s_load_dword s8, s[4:5], 0x0
	v_lshlrev_b32_e32 v10, 2, v0
	s_and_b64 vcc, exec, s[50:51]
	ds_write_b32 v10, v15
	s_cbranch_vccz .LBB178_33
; %bb.28:
	v_cmp_ne_u32_e32 vcc, 0, v0
	s_waitcnt lgkmcnt(0)
	v_mov_b32_e32 v4, s8
	s_barrier
	s_and_saveexec_b64 s[4:5], vcc
; %bb.29:
	v_add_u32_e32 v4, -4, v10
	ds_read_b32 v4, v4
; %bb.30:
	s_or_b64 exec, exec, s[4:5]
	v_cmp_ne_u32_e32 vcc, v23, v22
	v_mov_b32_e32 v25, 8
	s_waitcnt lgkmcnt(0)
	v_cmp_ne_u32_e64 s[4:5], v4, v22
	v_cndmask_b32_e64 v5, 0, 1, vcc
	v_cmp_ne_u32_e32 vcc, v21, v20
	v_lshlrev_b16_e32 v5, 8, v5
	s_nop 0
	v_cndmask_b32_e64 v7, 0, 1, vcc
	v_cmp_ne_u32_e32 vcc, v18, v13
	v_lshlrev_b16_e32 v11, 8, v7
	v_lshrrev_b32_sdwa v4, v25, v11 dst_sel:BYTE_1 dst_unused:UNUSED_PAD src0_sel:DWORD src1_sel:DWORD
	v_cndmask_b32_e64 v7, 0, 1, vcc
	v_cmp_ne_u32_e32 vcc, v16, v17
	v_lshlrev_b16_e32 v8, 8, v7
	v_lshrrev_b32_sdwa v26, v25, v8 dst_sel:BYTE_1 dst_unused:UNUSED_PAD src0_sel:DWORD src1_sel:DWORD
	v_cndmask_b32_e64 v7, 0, 1, vcc
	v_cmp_ne_u32_e32 vcc, v16, v19
	s_nop 1
	v_cndmask_b32_e64 v9, 0, 1, vcc
	v_cmp_ne_u32_e32 vcc, v14, v15
	v_lshlrev_b16_e32 v24, 8, v9
	s_nop 0
	v_cndmask_b32_e64 v8, 0, 1, vcc
	v_cmp_ne_u32_e32 vcc, v14, v17
	v_lshlrev_b16_e32 v9, 8, v8
	s_nop 0
	v_cndmask_b32_e64 v27, 0, 1, vcc
	v_cmp_ne_u32_e32 vcc, v23, v20
	v_or_b32_e32 v9, v27, v9
	s_nop 0
	v_cndmask_b32_e64 v11, 0, 1, vcc
	v_or_b32_sdwa v4, v11, v4 dst_sel:WORD_1 dst_unused:UNUSED_PAD src0_sel:DWORD src1_sel:DWORD
	v_cmp_ne_u32_e32 vcc, v21, v13
	v_lshrrev_b32_sdwa v4, v25, v5 dst_sel:BYTE_1 dst_unused:UNUSED_PRESERVE src0_sel:DWORD src1_sel:DWORD
	s_nop 0
	v_cndmask_b32_e64 v5, 0, 1, vcc
	v_cmp_ne_u32_e32 vcc, v18, v19
	v_or_b32_e32 v5, v5, v26
	s_nop 0
	v_cndmask_b32_e64 v11, 0, 1, vcc
	v_or_b32_sdwa v11, v11, v24 dst_sel:WORD_1 dst_unused:UNUSED_PAD src0_sel:DWORD src1_sel:DWORD
	s_nop 0
	v_or_b32_sdwa v5, v5, v11 dst_sel:DWORD dst_unused:UNUSED_PAD src0_sel:WORD_0 src1_sel:DWORD
	s_branch .LBB178_37
.LBB178_31:
                                        ; implicit-def: $sgpr4_sgpr5
                                        ; implicit-def: $vgpr8
                                        ; implicit-def: $vgpr9
                                        ; implicit-def: $vgpr7
                                        ; implicit-def: $vgpr5
	s_branch .LBB178_38
.LBB178_32:
                                        ; implicit-def: $vgpr24
                                        ; implicit-def: $vgpr37
                                        ; implicit-def: $vgpr35
                                        ; implicit-def: $vgpr26
                                        ; implicit-def: $vgpr36
                                        ; implicit-def: $vgpr34
                                        ; implicit-def: $vgpr31
                                        ; implicit-def: $vgpr33
                                        ; implicit-def: $vgpr27
                                        ; implicit-def: $vgpr1
	s_branch .LBB178_46
.LBB178_33:
                                        ; implicit-def: $sgpr4_sgpr5
                                        ; implicit-def: $vgpr8
                                        ; implicit-def: $vgpr9
                                        ; implicit-def: $vgpr7
                                        ; implicit-def: $vgpr5
	s_cbranch_execz .LBB178_37
; %bb.34:
	v_cmp_ne_u32_e32 vcc, 0, v0
	s_waitcnt lgkmcnt(0)
	v_mov_b32_e32 v4, s8
	s_barrier
	s_and_saveexec_b64 s[4:5], vcc
; %bb.35:
	v_add_u32_e32 v4, -4, v10
	ds_read_b32 v4, v4
; %bb.36:
	s_or_b64 exec, exec, s[4:5]
	v_add_u32_e32 v7, 10, v6
	v_cmp_gt_u32_e32 vcc, s3, v7
	v_add_u32_e32 v7, 8, v6
	v_cmp_gt_u32_e64 s[10:11], s3, v7
	v_add_u32_e32 v7, 5, v6
	v_add_u32_e32 v5, 9, v6
	v_cmp_gt_u32_e64 s[18:19], s3, v7
	v_add_u32_e32 v7, 3, v6
	v_cmp_gt_u32_e64 s[4:5], s3, v5
	;; [unrolled: 2-line block ×3, first 2 shown]
	v_cmp_ne_u32_e64 s[30:31], v21, v20
	v_cmp_gt_u32_e64 s[12:13], s3, v5
	v_add_u32_e32 v5, 6, v6
	v_cmp_ne_u32_e64 s[22:23], v18, v13
	v_add_u32_e32 v7, 1, v6
	s_and_b64 s[26:27], s[26:27], s[30:31]
	v_cmp_gt_u32_e64 s[20:21], s3, v5
	v_add_u32_e32 v5, 4, v6
	v_cmp_gt_u32_e64 s[36:37], s3, v7
	v_cndmask_b32_e64 v7, 0, 1, s[26:27]
	s_and_b64 s[18:19], s[18:19], s[22:23]
	v_cmp_ne_u32_e64 s[6:7], v14, v15
	v_cmp_gt_u32_e64 s[28:29], s3, v5
	v_add_u32_e32 v5, 2, v6
	v_lshlrev_b16_e32 v10, 8, v7
	v_cndmask_b32_e64 v7, 0, 1, s[18:19]
	v_cmp_ne_u32_e64 s[8:9], v14, v17
	v_cmp_gt_u32_e64 s[38:39], s3, v5
	v_cmp_ne_u32_e64 s[40:41], v23, v22
	v_cmp_ne_u32_e64 s[42:43], v23, v20
	v_lshlrev_b16_e32 v8, 8, v7
	v_mov_b32_e32 v24, 8
	s_and_b64 s[6:7], vcc, s[6:7]
	v_cmp_ne_u32_e64 s[14:15], v16, v17
	s_and_b64 s[36:37], s[36:37], s[40:41]
	v_lshrrev_b32_sdwa v25, v24, v8 dst_sel:BYTE_1 dst_unused:UNUSED_PAD src0_sel:DWORD src1_sel:DWORD
	v_cndmask_b32_e64 v8, 0, 1, s[6:7]
	s_and_b64 s[4:5], s[4:5], s[8:9]
	s_and_b64 s[6:7], s[38:39], s[42:43]
	v_cmp_ne_u32_e64 s[16:17], v16, v19
	v_cmp_ne_u32_e64 s[34:35], v21, v13
	v_cndmask_b32_e64 v5, 0, 1, s[36:37]
	s_and_b64 s[10:11], s[10:11], s[14:15]
	v_cndmask_b32_e64 v26, 0, 1, s[4:5]
	s_waitcnt lgkmcnt(0)
	v_cmp_ne_u32_e64 s[4:5], v4, v22
	v_lshrrev_b32_sdwa v4, v24, v10 dst_sel:BYTE_1 dst_unused:UNUSED_PAD src0_sel:DWORD src1_sel:DWORD
	v_cndmask_b32_e64 v10, 0, 1, s[6:7]
	v_cmp_ne_u32_e64 s[24:25], v18, v19
	v_lshlrev_b16_e32 v5, 8, v5
	v_cndmask_b32_e64 v7, 0, 1, s[10:11]
	s_and_b64 s[10:11], s[12:13], s[16:17]
	v_or_b32_sdwa v4, v10, v4 dst_sel:WORD_1 dst_unused:UNUSED_PAD src0_sel:DWORD src1_sel:DWORD
	s_and_b64 s[6:7], s[28:29], s[34:35]
	v_cndmask_b32_e64 v9, 0, 1, s[10:11]
	v_lshrrev_b32_sdwa v4, v24, v5 dst_sel:BYTE_1 dst_unused:UNUSED_PRESERVE src0_sel:DWORD src1_sel:DWORD
	v_cndmask_b32_e64 v5, 0, 1, s[6:7]
	s_and_b64 s[6:7], s[20:21], s[24:25]
	v_lshlrev_b16_e32 v11, 8, v9
	v_cndmask_b32_e64 v10, 0, 1, s[6:7]
	v_lshlrev_b16_e32 v9, 8, v8
	v_cmp_gt_u32_e32 vcc, s3, v6
	v_or_b32_e32 v5, v5, v25
	v_or_b32_sdwa v10, v10, v11 dst_sel:WORD_1 dst_unused:UNUSED_PAD src0_sel:DWORD src1_sel:DWORD
	v_or_b32_e32 v9, v26, v9
	s_and_b64 s[4:5], vcc, s[4:5]
	v_or_b32_sdwa v5, v5, v10 dst_sel:DWORD dst_unused:UNUSED_PAD src0_sel:WORD_0 src1_sel:DWORD
.LBB178_37:
	s_mov_b64 s[56:57], -1
	s_cbranch_execnz .LBB178_32
.LBB178_38:
	s_movk_i32 s4, 0xffd8
	v_mad_i32_i24 v10, v0, s4, v1
	s_and_b64 vcc, exec, s[50:51]
	v_cmp_ne_u32_e64 s[6:7], v14, v15
	v_cmp_ne_u32_e64 s[4:5], v21, v13
	ds_write_b32 v10, v15
	s_cbranch_vccz .LBB178_42
; %bb.39:
	v_cmp_ne_u32_e32 vcc, v23, v20
	v_cndmask_b32_e64 v25, 0, 1, s[4:5]
	v_cndmask_b32_e64 v1, 0, 1, s[6:7]
	v_cndmask_b32_e64 v35, 0, 1, vcc
	v_cmp_ne_u32_e32 vcc, v23, v22
	v_lshlrev_b16_e32 v11, 8, v35
	v_lshlrev_b16_e32 v27, 8, v25
	v_cndmask_b32_e64 v26, 0, 1, vcc
	v_cmp_ne_u32_e32 vcc, v21, v20
	v_lshlrev_b16_e32 v38, 8, v1
	v_mov_b32_e32 v24, 1
	v_cndmask_b32_e64 v28, 0, 1, vcc
	v_cmp_ne_u32_e32 vcc, v18, v19
	s_waitcnt lgkmcnt(0)
	s_barrier
	v_cndmask_b32_e64 v34, 0, 1, vcc
	v_cmp_ne_u32_e32 vcc, v18, v13
	v_lshlrev_b16_e32 v29, 8, v34
	s_nop 0
	v_cndmask_b32_e64 v30, 0, 1, vcc
	v_cmp_ne_u32_e32 vcc, v16, v17
                                        ; implicit-def: $sgpr4_sgpr5
                                        ; implicit-def: $vgpr8
                                        ; implicit-def: $vgpr9
                                        ; implicit-def: $vgpr7
                                        ; implicit-def: $vgpr5
	s_nop 1
	v_cndmask_b32_e64 v33, 0, 1, vcc
	v_cmp_ne_u32_e32 vcc, v16, v19
	v_lshlrev_b16_e32 v31, 8, v33
	s_nop 0
	v_cndmask_b32_e64 v32, 0, 1, vcc
	v_cmp_ne_u32_e32 vcc, v14, v17
	s_nop 1
	v_cndmask_b32_e64 v39, 0, 1, vcc
	v_cmp_ne_u32_e32 vcc, 0, v0
	s_and_saveexec_b64 s[6:7], vcc
	s_xor_b64 s[6:7], exec, s[6:7]
	s_cbranch_execz .LBB178_41
; %bb.40:
	v_lshlrev_b16_e32 v5, 8, v30
	v_mov_b32_e32 v9, 8
	v_lshlrev_b16_e32 v7, 8, v32
	v_lshrrev_b32_sdwa v5, v9, v5 dst_sel:BYTE_1 dst_unused:UNUSED_PAD src0_sel:DWORD src1_sel:DWORD
	v_lshlrev_b16_e32 v36, 8, v39
	v_or_b32_e32 v5, v25, v5
	v_or_b32_sdwa v7, v34, v7 dst_sel:WORD_1 dst_unused:UNUSED_PAD src0_sel:DWORD src1_sel:DWORD
	v_lshlrev_b16_e32 v4, 8, v26
	v_or_b32_sdwa v5, v5, v7 dst_sel:DWORD dst_unused:UNUSED_PAD src0_sel:WORD_0 src1_sel:DWORD
	v_lshrrev_b32_sdwa v7, v9, v36 dst_sel:BYTE_1 dst_unused:UNUSED_PAD src0_sel:DWORD src1_sel:DWORD
	v_add_u32_e32 v36, -4, v10
	ds_read_b32 v36, v36
	v_lshlrev_b16_e32 v8, 8, v28
	v_or_b32_e32 v7, v33, v7
	v_and_b32_e32 v7, 0xffff, v7
	v_lshrrev_b32_sdwa v8, v9, v8 dst_sel:BYTE_1 dst_unused:UNUSED_PAD src0_sel:DWORD src1_sel:DWORD
	v_lshrrev_b32_sdwa v4, v9, v4 dst_sel:BYTE_1 dst_unused:UNUSED_PAD src0_sel:DWORD src1_sel:DWORD
	v_lshl_or_b32 v7, v1, 16, v7
	v_or_b32_sdwa v8, v35, v8 dst_sel:WORD_1 dst_unused:UNUSED_PAD src0_sel:DWORD src1_sel:DWORD
	v_or_b32_e32 v4, 1, v4
	v_or_b32_sdwa v4, v4, v8 dst_sel:DWORD dst_unused:UNUSED_PAD src0_sel:WORD_0 src1_sel:DWORD
	s_waitcnt lgkmcnt(0)
	v_cmp_ne_u32_e64 s[4:5], v36, v22
	v_lshrrev_b32_e32 v9, 8, v7
	v_lshrrev_b32_e32 v8, 16, v7
	s_or_b64 s[56:57], s[56:57], exec
.LBB178_41:
	s_or_b64 exec, exec, s[6:7]
	v_or_b32_e32 v37, v26, v11
	v_or_b32_e32 v26, v28, v27
	;; [unrolled: 1-line block ×5, first 2 shown]
	s_branch .LBB178_46
.LBB178_42:
                                        ; implicit-def: $sgpr4_sgpr5
                                        ; implicit-def: $vgpr8
                                        ; implicit-def: $vgpr9
                                        ; implicit-def: $vgpr7
                                        ; implicit-def: $vgpr5
                                        ; implicit-def: $vgpr24
                                        ; implicit-def: $vgpr37
                                        ; implicit-def: $vgpr35
                                        ; implicit-def: $vgpr26
                                        ; implicit-def: $vgpr36
                                        ; implicit-def: $vgpr34
                                        ; implicit-def: $vgpr31
                                        ; implicit-def: $vgpr33
                                        ; implicit-def: $vgpr27
                                        ; implicit-def: $vgpr1
	s_cbranch_execz .LBB178_46
; %bb.43:
	v_add_u32_e32 v4, 10, v6
	v_cmp_gt_u32_e32 vcc, s3, v4
	v_add_u32_e32 v4, 8, v6
	v_add_u32_e32 v5, 5, v6
	;; [unrolled: 1-line block ×3, first 2 shown]
	v_cmp_gt_u32_e64 s[10:11], s3, v7
	v_cmp_gt_u32_e64 s[12:13], s3, v5
	;; [unrolled: 1-line block ×3, first 2 shown]
	v_pk_mov_b32 v[4:5], v[18:19], v[16:17] op_sel:[1,0]
	v_add_u32_e32 v7, 2, v6
	v_add_u32_e32 v1, 9, v6
	v_pk_mov_b32 v[8:9], v[12:13], v[18:19] op_sel:[1,0]
	v_cmp_ne_u32_e64 s[22:23], v5, v17
	v_add_u32_e32 v5, 1, v6
	v_cmp_ne_u32_e64 s[26:27], v23, v3
	v_cmp_gt_u32_e64 s[36:37], s3, v7
	v_cmp_gt_u32_e64 s[4:5], s3, v1
	v_add_u32_e32 v1, 7, v6
	v_cmp_ne_u32_e64 s[18:19], v9, v19
	v_cmp_ne_u32_e64 s[24:25], v4, v16
	v_add_u32_e32 v4, 4, v6
	v_cmp_ne_u32_e64 s[28:29], v22, v2
	v_cmp_gt_u32_e64 s[38:39], s3, v5
	s_and_b64 s[26:27], s[36:37], s[26:27]
	v_cmp_gt_u32_e64 s[16:17], s3, v1
	v_cmp_ne_u32_e64 s[20:21], v8, v18
	v_add_u32_e32 v1, 3, v6
	v_cmp_ne_u32_e64 s[30:31], v21, v13
	v_cmp_gt_u32_e64 s[40:41], s3, v4
	v_cndmask_b32_e64 v4, 0, 1, s[26:27]
	s_and_b64 s[26:27], s[38:39], s[28:29]
	s_and_b64 s[10:11], s[10:11], s[18:19]
	v_cmp_ne_u32_e64 s[34:35], v20, v12
	v_cmp_gt_u32_e64 s[42:43], s3, v1
	v_cndmask_b32_e64 v3, 0, 1, s[26:27]
	s_and_b64 s[26:27], s[40:41], s[30:31]
	v_cndmask_b32_e64 v34, 0, 1, s[10:11]
	s_and_b64 s[10:11], s[12:13], s[20:21]
	;; [unrolled: 2-line block ×4, first 2 shown]
	v_lshlrev_b16_e32 v1, 8, v33
	v_cndmask_b32_e64 v36, 0, 1, s[26:27]
	v_cndmask_b32_e64 v35, 0, 1, s[10:11]
	s_and_b64 s[10:11], s[16:17], s[24:25]
	v_cmp_ne_u32_e64 s[6:7], v14, v15
	v_or_b32_e32 v26, v36, v1
	v_lshlrev_b16_e32 v1, 8, v35
	v_cndmask_b32_e64 v37, 0, 1, s[10:11]
	s_waitcnt lgkmcnt(0)
	v_cmp_ne_u32_e64 s[8:9], v17, v14
	v_or_b32_e32 v31, v37, v1
	s_and_b64 s[6:7], vcc, s[6:7]
	v_lshlrev_b16_e32 v2, 8, v4
	v_lshlrev_b32_e32 v11, 16, v26
	v_lshlrev_b16_e32 v25, 8, v34
	v_lshlrev_b32_e32 v28, 16, v31
	v_cndmask_b32_e64 v1, 0, 1, s[6:7]
	s_and_b64 s[4:5], s[4:5], s[8:9]
	v_or_b32_e32 v12, v2, v11
	v_or_b32_e32 v29, v25, v28
	v_lshlrev_b16_e32 v30, 8, v1
	v_cndmask_b32_e64 v32, 0, 1, s[4:5]
	v_mov_b32_e32 v24, 1
	v_cmp_ne_u32_e32 vcc, 0, v0
	s_barrier
                                        ; implicit-def: $sgpr4_sgpr5
                                        ; implicit-def: $vgpr8
                                        ; implicit-def: $vgpr9
                                        ; implicit-def: $vgpr7
                                        ; implicit-def: $vgpr5
	s_and_saveexec_b64 s[6:7], vcc
	s_cbranch_execz .LBB178_45
; %bb.44:
	v_lshlrev_b16_e32 v8, 8, v36
	v_mov_b32_e32 v36, 8
	v_lshrrev_b32_sdwa v8, v36, v8 dst_sel:BYTE_1 dst_unused:UNUSED_PAD src0_sel:DWORD src1_sel:DWORD
	v_lshlrev_b16_e32 v7, 8, v27
	v_or_b32_sdwa v4, v4, v8 dst_sel:WORD_1 dst_unused:UNUSED_PAD src0_sel:DWORD src1_sel:DWORD
	v_add_u32_e32 v8, -4, v10
	v_lshlrev_b16_e32 v5, 8, v37
	v_lshrrev_b32_sdwa v7, v36, v7 dst_sel:BYTE_1 dst_unused:UNUSED_PAD src0_sel:DWORD src1_sel:DWORD
	ds_read_b32 v8, v8
	v_lshlrev_b16_e32 v37, 8, v32
	v_or_b32_e32 v7, v33, v7
	v_or_b32_sdwa v5, v34, v5 dst_sel:WORD_1 dst_unused:UNUSED_PAD src0_sel:DWORD src1_sel:DWORD
	v_lshlrev_b16_e32 v9, 8, v3
	v_or_b32_sdwa v5, v7, v5 dst_sel:DWORD dst_unused:UNUSED_PAD src0_sel:WORD_0 src1_sel:DWORD
	v_lshrrev_b32_sdwa v7, v36, v37 dst_sel:BYTE_1 dst_unused:UNUSED_PAD src0_sel:DWORD src1_sel:DWORD
	v_lshrrev_b32_sdwa v9, v36, v9 dst_sel:BYTE_1 dst_unused:UNUSED_PAD src0_sel:DWORD src1_sel:DWORD
	v_or_b32_e32 v7, v35, v7
	v_and_b32_e32 v7, 0xffff, v7
	v_lshl_or_b32 v7, v1, 16, v7
	v_or_b32_e32 v9, 1, v9
	v_cmp_gt_u32_e32 vcc, s3, v6
	s_waitcnt lgkmcnt(0)
	v_cmp_ne_u32_e64 s[4:5], v8, v22
	v_or_b32_sdwa v4, v9, v4 dst_sel:DWORD dst_unused:UNUSED_PAD src0_sel:WORD_0 src1_sel:DWORD
	s_and_b64 s[4:5], vcc, s[4:5]
	v_lshrrev_b32_e32 v9, 8, v7
	v_lshrrev_b32_e32 v8, 16, v7
	s_or_b64 s[56:57], s[56:57], exec
.LBB178_45:
	s_or_b64 exec, exec, s[6:7]
	v_or_b32_e32 v37, v3, v2
	v_or_b32_e32 v36, v27, v25
	;; [unrolled: 1-line block ×3, first 2 shown]
	v_lshrrev_b32_e32 v25, 24, v11
	v_lshrrev_b32_e32 v35, 8, v12
	;; [unrolled: 1-line block ×4, first 2 shown]
.LBB178_46:
	s_and_saveexec_b64 s[6:7], s[56:57]
	s_cbranch_execz .LBB178_48
; %bb.47:
	v_lshrrev_b64 v[26:27], 24, v[4:5]
	v_lshrrev_b32_e32 v36, 8, v5
	v_lshrrev_b32_e32 v34, 16, v5
	v_lshrrev_b32_e32 v31, 24, v5
	v_lshrrev_b32_e32 v35, 16, v4
	v_lshrrev_b32_e32 v37, 8, v4
	v_cndmask_b32_e64 v24, 0, 1, s[4:5]
	v_mov_b32_e32 v25, v5
	v_mov_b32_e32 v33, v7
	;; [unrolled: 1-line block ×4, first 2 shown]
.LBB178_48:
	s_or_b64 exec, exec, s[6:7]
	s_load_dwordx2 s[22:23], s[0:1], 0x60
	s_andn2_b64 vcc, exec, s[52:53]
	s_cbranch_vccnz .LBB178_52
; %bb.49:
	s_mov_b32 s4, 0xc0c0004
	v_perm_b32 v7, v35, v26, s4
	v_perm_b32 v5, v24, v37, s4
	v_lshlrev_b32_e32 v7, 16, v7
	v_and_b32_e32 v1, 0xff, v1
	v_or_b32_e32 v5, v5, v7
	v_perm_b32 v8, v33, v27, s4
	v_lshlrev_b32_e32 v1, 16, v1
	v_lshlrev_b16_e32 v9, 8, v27
	v_cmp_gt_u32_e32 vcc, s3, v6
	v_or_b32_e32 v8, v8, v1
	v_or_b32_e32 v1, v9, v1
	v_cndmask_b32_e32 v7, v7, v5, vcc
	v_add_u32_e32 v9, 1, v6
	v_and_b32_e32 v7, 0xffff00ff, v7
	v_cmp_gt_u32_e32 vcc, s3, v9
	v_perm_b32 v2, v25, v36, s4
	v_perm_b32 v3, v34, v31, s4
	v_cndmask_b32_e32 v7, v7, v5, vcc
	v_add_u32_e32 v9, 2, v6
	v_lshrrev_b32_e32 v10, 24, v7
	s_mov_b32 s4, 0x40c0100
	v_perm_b32 v7, v10, v7, s4
	v_cmp_gt_u32_e32 vcc, s3, v9
	v_lshlrev_b32_e32 v3, 16, v3
	v_add_u32_e32 v9, 3, v6
	v_cndmask_b32_e32 v7, v7, v5, vcc
	s_movk_i32 s5, 0xff00
	v_or_b32_e32 v4, v2, v3
	v_and_b32_e32 v7, 0xffffff, v7
	v_cmp_gt_u32_e32 vcc, s3, v9
	v_bitop3_b32 v2, v2, s5, v3 bitop3:0xc8
	v_add_u32_e32 v3, 4, v6
	v_cndmask_b32_e32 v7, v7, v5, vcc
	v_cmp_gt_u32_e32 vcc, s3, v3
	s_nop 1
	v_cndmask_b32_e32 v2, v2, v4, vcc
	v_cndmask_b32_e32 v3, v7, v5, vcc
	v_add_u32_e32 v7, 5, v6
	v_and_b32_e32 v2, 0xffff00ff, v2
	v_cmp_gt_u32_e32 vcc, s3, v7
	v_add_u32_e32 v7, 6, v6
	s_nop 0
	v_cndmask_b32_e32 v2, v2, v4, vcc
	v_cndmask_b32_e32 v3, v3, v5, vcc
	v_lshrrev_b32_e32 v9, 24, v2
	v_cmp_gt_u32_e32 vcc, s3, v7
	v_add_u32_e32 v7, 7, v6
	v_perm_b32 v2, v9, v2, s4
	v_cmp_gt_u32_e64 s[4:5], s3, v7
	v_add_u32_e32 v7, 8, v6
	v_cmp_gt_u32_e64 s[6:7], s3, v7
	v_add_u32_e32 v7, 9, v6
	s_waitcnt lgkmcnt(0)
	v_cmp_gt_u32_e64 s[8:9], s3, v7
	v_cndmask_b32_e64 v1, v1, v8, s[6:7]
	s_or_b64 s[6:7], s[8:9], s[6:7]
	v_cndmask_b32_e32 v2, v2, v4, vcc
	s_or_b64 s[4:5], s[6:7], s[4:5]
	v_and_b32_e32 v2, 0xffffff, v2
	s_or_b64 vcc, s[4:5], vcc
	v_and_b32_e32 v1, 0xffff00ff, v1
	v_cndmask_b32_e64 v25, v2, v4, s[4:5]
	v_cndmask_b32_e32 v24, v3, v5, vcc
	v_cndmask_b32_e64 v33, v1, v8, s[8:9]
	v_lshrrev_b64 v[26:27], 24, v[24:25]
	v_add_u32_e32 v2, 10, v6
	v_lshrrev_b32_e32 v31, 24, v25
	v_lshrrev_b32_e32 v34, 16, v25
	;; [unrolled: 1-line block ×7, first 2 shown]
	v_cmp_le_u32_e32 vcc, s3, v2
	s_and_saveexec_b64 s[4:5], vcc
; %bb.50:
	v_mov_b32_e32 v1, 0
; %bb.51:
	s_or_b64 exec, exec, s[4:5]
.LBB178_52:
	v_and_b32_e32 v32, 0xff, v24
	v_and_b32_e32 v38, 0xff, v37
	;; [unrolled: 1-line block ×5, first 2 shown]
	v_add3_u32 v3, v38, v32, v39
	v_and_b32_e32 v42, 0xff, v36
	v_and_b32_e32 v43, 0xff, v34
	v_add3_u32 v3, v3, v40, v41
	v_and_b32_e32 v44, 0xff, v31
	v_and_b32_e32 v45, 0xff, v33
	;; [unrolled: 3-line block ×3, first 2 shown]
	v_add3_u32 v3, v3, v44, v45
	v_add3_u32 v49, v3, v46, v2
	v_mbcnt_lo_u32_b32 v2, -1, 0
	v_mbcnt_hi_u32_b32 v47, -1, v2
	v_and_b32_e32 v2, 15, v47
	v_cmp_eq_u32_e64 s[14:15], 0, v2
	v_cmp_lt_u32_e64 s[12:13], 1, v2
	v_cmp_lt_u32_e64 s[10:11], 3, v2
	s_waitcnt lgkmcnt(0)
	v_cmp_lt_u32_e64 s[8:9], 7, v2
	v_and_b32_e32 v2, 16, v47
	v_cmp_eq_u32_e64 s[6:7], 0, v2
	v_or_b32_e32 v2, 63, v0
	v_cmp_lt_u32_e64 s[18:19], 31, v47
	v_lshrrev_b32_e32 v48, 6, v0
	v_cmp_eq_u32_e64 s[4:5], v0, v2
	s_and_b64 vcc, exec, s[54:55]
	s_barrier
	s_cbranch_vccz .LBB178_74
; %bb.53:
	v_mov_b32_dpp v2, v49 row_shr:1 row_mask:0xf bank_mask:0xf
	v_cndmask_b32_e64 v2, v2, 0, s[14:15]
	v_add_u32_e32 v2, v2, v49
	s_nop 1
	v_mov_b32_dpp v3, v2 row_shr:2 row_mask:0xf bank_mask:0xf
	v_cndmask_b32_e64 v3, 0, v3, s[12:13]
	v_add_u32_e32 v2, v2, v3
	s_nop 1
	;; [unrolled: 4-line block ×4, first 2 shown]
	v_mov_b32_dpp v3, v2 row_bcast:15 row_mask:0xf bank_mask:0xf
	v_cndmask_b32_e64 v3, v3, 0, s[6:7]
	v_add_u32_e32 v2, v2, v3
	s_nop 1
	v_mov_b32_dpp v3, v2 row_bcast:31 row_mask:0xf bank_mask:0xf
	v_cndmask_b32_e64 v3, 0, v3, s[18:19]
	v_add_u32_e32 v2, v2, v3
	s_and_saveexec_b64 s[16:17], s[4:5]
; %bb.54:
	v_lshlrev_b32_e32 v3, 2, v48
	ds_write_b32 v3, v2
; %bb.55:
	s_or_b64 exec, exec, s[16:17]
	v_cmp_gt_u32_e32 vcc, 8, v0
	s_waitcnt lgkmcnt(0)
	s_barrier
	s_and_saveexec_b64 s[16:17], vcc
	s_cbranch_execz .LBB178_57
; %bb.56:
	v_lshlrev_b32_e32 v3, 2, v0
	ds_read_b32 v4, v3
	v_and_b32_e32 v5, 7, v47
	v_cmp_ne_u32_e32 vcc, 0, v5
	s_waitcnt lgkmcnt(0)
	v_mov_b32_dpp v6, v4 row_shr:1 row_mask:0xf bank_mask:0xf
	v_cndmask_b32_e32 v6, 0, v6, vcc
	v_add_u32_e32 v4, v6, v4
	v_cmp_lt_u32_e32 vcc, 1, v5
	s_nop 0
	v_mov_b32_dpp v6, v4 row_shr:2 row_mask:0xf bank_mask:0xf
	v_cndmask_b32_e32 v6, 0, v6, vcc
	v_add_u32_e32 v4, v4, v6
	v_cmp_lt_u32_e32 vcc, 3, v5
	s_nop 0
	v_mov_b32_dpp v6, v4 row_shr:4 row_mask:0xf bank_mask:0xf
	v_cndmask_b32_e32 v5, 0, v6, vcc
	v_add_u32_e32 v4, v4, v5
	ds_write_b32 v3, v4
.LBB178_57:
	s_or_b64 exec, exec, s[16:17]
	v_cmp_gt_u32_e32 vcc, 64, v0
	v_cmp_lt_u32_e64 s[16:17], 63, v0
	s_waitcnt lgkmcnt(0)
	s_barrier
                                        ; implicit-def: $vgpr12
	s_and_saveexec_b64 s[20:21], s[16:17]
	s_cbranch_execz .LBB178_59
; %bb.58:
	v_lshl_add_u32 v3, v48, 2, -4
	ds_read_b32 v12, v3
	s_waitcnt lgkmcnt(0)
	v_add_u32_e32 v2, v12, v2
.LBB178_59:
	s_or_b64 exec, exec, s[20:21]
	v_subrev_co_u32_e64 v3, s[16:17], 1, v47
	v_and_b32_e32 v4, 64, v47
	v_cmp_lt_i32_e64 s[20:21], v3, v4
	s_nop 1
	v_cndmask_b32_e64 v3, v3, v47, s[20:21]
	v_lshlrev_b32_e32 v3, 2, v3
	ds_bpermute_b32 v28, v3, v2
	s_and_saveexec_b64 s[20:21], vcc
	s_cbranch_execz .LBB178_79
; %bb.60:
	v_mov_b32_e32 v9, 0
	ds_read_b32 v2, v9 offset:28
	s_and_saveexec_b64 s[24:25], s[16:17]
	s_cbranch_execz .LBB178_62
; %bb.61:
	s_add_i32 s26, s2, 64
	s_mov_b32 s27, 0
	s_lshl_b64 s[26:27], s[26:27], 3
	s_add_u32 s26, s22, s26
	v_mov_b32_e32 v3, 1
	s_addc_u32 s27, s23, s27
	s_waitcnt lgkmcnt(0)
	global_store_dwordx2 v9, v[2:3], s[26:27] sc1
.LBB178_62:
	s_or_b64 exec, exec, s[24:25]
	v_xad_u32 v4, v47, -1, s2
	v_add_u32_e32 v8, 64, v4
	v_lshl_add_u64 v[10:11], v[8:9], 3, s[22:23]
	global_load_dwordx2 v[6:7], v[10:11], off sc1
	s_waitcnt vmcnt(0)
	v_cmp_eq_u16_sdwa s[26:27], v7, v9 src0_sel:BYTE_0 src1_sel:DWORD
	s_and_saveexec_b64 s[24:25], s[26:27]
	s_cbranch_execz .LBB178_66
; %bb.63:
	s_mov_b64 s[26:27], 0
	v_mov_b32_e32 v3, 0
.LBB178_64:                             ; =>This Inner Loop Header: Depth=1
	global_load_dwordx2 v[6:7], v[10:11], off sc1
	s_waitcnt vmcnt(0)
	v_cmp_ne_u16_sdwa s[28:29], v7, v3 src0_sel:BYTE_0 src1_sel:DWORD
	s_or_b64 s[26:27], s[28:29], s[26:27]
	s_andn2_b64 exec, exec, s[26:27]
	s_cbranch_execnz .LBB178_64
; %bb.65:
	s_or_b64 exec, exec, s[26:27]
.LBB178_66:
	s_or_b64 exec, exec, s[24:25]
	v_and_b32_e32 v30, 63, v47
	v_mov_b32_e32 v29, 2
	v_cmp_ne_u32_e32 vcc, 63, v30
	v_cmp_eq_u16_sdwa s[24:25], v7, v29 src0_sel:BYTE_0 src1_sel:DWORD
	v_lshlrev_b64 v[8:9], v47, -1
	v_addc_co_u32_e32 v10, vcc, 0, v47, vcc
	v_and_b32_e32 v3, s25, v9
	v_lshlrev_b32_e32 v50, 2, v10
	v_or_b32_e32 v3, 0x80000000, v3
	ds_bpermute_b32 v10, v50, v6
	v_and_b32_e32 v5, s24, v8
	v_ffbl_b32_e32 v3, v3
	v_add_u32_e32 v3, 32, v3
	v_ffbl_b32_e32 v5, v5
	v_min_u32_e32 v3, v5, v3
	v_cmp_lt_u32_e32 vcc, v30, v3
	v_add_u32_e32 v52, 2, v30
	v_add_u32_e32 v54, 4, v30
	s_waitcnt lgkmcnt(0)
	v_cndmask_b32_e32 v5, 0, v10, vcc
	v_cmp_gt_u32_e32 vcc, 62, v30
	v_add_u32_e32 v5, v5, v6
	v_add_u32_e32 v56, 8, v30
	v_cndmask_b32_e64 v6, 0, 2, vcc
	v_add_lshl_u32 v51, v6, v47, 2
	ds_bpermute_b32 v6, v51, v5
	v_cmp_le_u32_e32 vcc, v52, v3
	v_add_u32_e32 v58, 16, v30
	v_add_u32_e32 v60, 32, v30
	s_waitcnt lgkmcnt(0)
	v_cndmask_b32_e32 v6, 0, v6, vcc
	v_cmp_gt_u32_e32 vcc, 60, v30
	v_add_u32_e32 v5, v5, v6
	s_nop 0
	v_cndmask_b32_e64 v6, 0, 4, vcc
	v_add_lshl_u32 v53, v6, v47, 2
	ds_bpermute_b32 v6, v53, v5
	v_cmp_le_u32_e32 vcc, v54, v3
	s_waitcnt lgkmcnt(0)
	s_nop 0
	v_cndmask_b32_e32 v6, 0, v6, vcc
	v_cmp_gt_u32_e32 vcc, 56, v30
	v_add_u32_e32 v5, v5, v6
	s_nop 0
	v_cndmask_b32_e64 v6, 0, 8, vcc
	v_add_lshl_u32 v55, v6, v47, 2
	ds_bpermute_b32 v6, v55, v5
	v_cmp_le_u32_e32 vcc, v56, v3
	s_waitcnt lgkmcnt(0)
	s_nop 0
	;; [unrolled: 10-line block ×3, first 2 shown]
	v_cndmask_b32_e32 v6, 0, v6, vcc
	v_add_u32_e32 v5, v5, v6
	v_mov_b32_e32 v6, 0x80
	v_lshl_or_b32 v59, v47, 2, v6
	ds_bpermute_b32 v6, v59, v5
	v_cmp_le_u32_e32 vcc, v60, v3
	s_waitcnt lgkmcnt(0)
	s_nop 0
	v_cndmask_b32_e32 v3, 0, v6, vcc
	v_add_u32_e32 v6, v5, v3
	v_mov_b32_e32 v5, 0
	s_branch .LBB178_69
.LBB178_67:                             ;   in Loop: Header=BB178_69 Depth=1
	s_or_b64 exec, exec, s[24:25]
	v_cmp_eq_u16_sdwa s[24:25], v7, v29 src0_sel:BYTE_0 src1_sel:DWORD
	ds_bpermute_b32 v61, v50, v6
	v_subrev_u32_e32 v4, 64, v4
	v_and_b32_e32 v10, s25, v9
	v_or_b32_e32 v10, 0x80000000, v10
	v_and_b32_e32 v11, s24, v8
	v_ffbl_b32_e32 v10, v10
	v_add_u32_e32 v10, 32, v10
	v_ffbl_b32_e32 v11, v11
	v_min_u32_e32 v10, v11, v10
	v_cmp_lt_u32_e32 vcc, v30, v10
	s_mov_b64 s[24:25], 0
	s_waitcnt lgkmcnt(0)
	v_cndmask_b32_e32 v11, 0, v61, vcc
	v_add_u32_e32 v6, v11, v6
	ds_bpermute_b32 v11, v51, v6
	v_cmp_le_u32_e32 vcc, v52, v10
	s_waitcnt lgkmcnt(0)
	s_nop 0
	v_cndmask_b32_e32 v11, 0, v11, vcc
	v_add_u32_e32 v6, v6, v11
	ds_bpermute_b32 v11, v53, v6
	v_cmp_le_u32_e32 vcc, v54, v10
	s_waitcnt lgkmcnt(0)
	s_nop 0
	;; [unrolled: 6-line block ×5, first 2 shown]
	v_cndmask_b32_e32 v10, 0, v11, vcc
	v_add3_u32 v6, v10, v3, v6
.LBB178_68:                             ;   in Loop: Header=BB178_69 Depth=1
	s_and_b64 vcc, exec, s[24:25]
	s_cbranch_vccnz .LBB178_75
.LBB178_69:                             ; =>This Loop Header: Depth=1
                                        ;     Child Loop BB178_72 Depth 2
	v_cmp_ne_u16_sdwa s[24:25], v7, v29 src0_sel:BYTE_0 src1_sel:DWORD
	v_mov_b32_e32 v3, v6
	s_cmp_lg_u64 s[24:25], exec
	s_mov_b64 s[24:25], -1
                                        ; implicit-def: $vgpr6
                                        ; implicit-def: $vgpr7
	s_cbranch_scc1 .LBB178_68
; %bb.70:                               ;   in Loop: Header=BB178_69 Depth=1
	v_lshl_add_u64 v[10:11], v[4:5], 3, s[22:23]
	global_load_dwordx2 v[6:7], v[10:11], off sc1
	s_waitcnt vmcnt(0)
	v_cmp_eq_u16_sdwa s[26:27], v7, v5 src0_sel:BYTE_0 src1_sel:DWORD
	s_and_saveexec_b64 s[24:25], s[26:27]
	s_cbranch_execz .LBB178_67
; %bb.71:                               ;   in Loop: Header=BB178_69 Depth=1
	s_mov_b64 s[26:27], 0
.LBB178_72:                             ;   Parent Loop BB178_69 Depth=1
                                        ; =>  This Inner Loop Header: Depth=2
	global_load_dwordx2 v[6:7], v[10:11], off sc1
	s_waitcnt vmcnt(0)
	v_cmp_ne_u16_sdwa s[28:29], v7, v5 src0_sel:BYTE_0 src1_sel:DWORD
	s_or_b64 s[26:27], s[28:29], s[26:27]
	s_andn2_b64 exec, exec, s[26:27]
	s_cbranch_execnz .LBB178_72
; %bb.73:                               ;   in Loop: Header=BB178_69 Depth=1
	s_or_b64 exec, exec, s[26:27]
	s_branch .LBB178_67
.LBB178_74:
                                        ; implicit-def: $vgpr30
                                        ; implicit-def: $vgpr28
                                        ; implicit-def: $vgpr2_vgpr3_vgpr4_vgpr5_vgpr6_vgpr7_vgpr8_vgpr9_vgpr10_vgpr11_vgpr12
	s_load_dwordx2 s[2:3], s[0:1], 0x28
	s_cbranch_execnz .LBB178_80
	s_branch .LBB178_89
.LBB178_75:
	s_and_saveexec_b64 s[24:25], s[16:17]
	s_cbranch_execz .LBB178_77
; %bb.76:
	s_add_i32 s2, s2, 64
	s_mov_b32 s3, 0
	s_lshl_b64 s[2:3], s[2:3], 3
	s_add_u32 s2, s22, s2
	v_add_u32_e32 v4, v3, v2
	v_mov_b32_e32 v5, 2
	s_addc_u32 s3, s23, s3
	v_mov_b32_e32 v6, 0
	global_store_dwordx2 v6, v[4:5], s[2:3] sc1
	ds_write_b64 v6, v[2:3] offset:22528
.LBB178_77:
	s_or_b64 exec, exec, s[24:25]
	v_cmp_eq_u32_e32 vcc, 0, v0
	s_and_b64 exec, exec, vcc
; %bb.78:
	v_mov_b32_e32 v2, 0
	ds_write_b32 v2, v3 offset:28
.LBB178_79:
	s_or_b64 exec, exec, s[20:21]
	v_mov_b32_e32 v10, 0
	s_waitcnt lgkmcnt(0)
	s_barrier
	ds_read_b32 v2, v10 offset:28
	v_cndmask_b32_e64 v3, v28, v12, s[16:17]
	v_cmp_ne_u32_e32 vcc, 0, v0
	s_waitcnt lgkmcnt(0)
	s_barrier
	v_cndmask_b32_e32 v3, 0, v3, vcc
	v_add_u32_e32 v2, v2, v3
	v_add_u32_e32 v3, v2, v32
	;; [unrolled: 1-line block ×6, first 2 shown]
	ds_read_b64 v[28:29], v10 offset:22528
	v_add_u32_e32 v8, v7, v42
	v_add_u32_e32 v9, v8, v43
	v_add_u32_e32 v10, v9, v44
	v_add_u32_e32 v11, v10, v45
	v_add_u32_e32 v12, v11, v46
	s_waitcnt lgkmcnt(0)
	v_mov_b32_e32 v30, v29
	s_load_dwordx2 s[2:3], s[0:1], 0x28
	s_branch .LBB178_89
.LBB178_80:
	v_mov_b32_dpp v2, v49 row_shr:1 row_mask:0xf bank_mask:0xf
	v_cndmask_b32_e64 v2, v2, 0, s[14:15]
	v_add_u32_e32 v2, v2, v49
	s_nop 1
	v_mov_b32_dpp v3, v2 row_shr:2 row_mask:0xf bank_mask:0xf
	v_cndmask_b32_e64 v3, 0, v3, s[12:13]
	v_add_u32_e32 v2, v2, v3
	s_nop 1
	;; [unrolled: 4-line block ×4, first 2 shown]
	v_mov_b32_dpp v3, v2 row_bcast:15 row_mask:0xf bank_mask:0xf
	v_cndmask_b32_e64 v3, v3, 0, s[6:7]
	v_add_u32_e32 v2, v2, v3
	s_nop 1
	v_mov_b32_dpp v3, v2 row_bcast:31 row_mask:0xf bank_mask:0xf
	v_cndmask_b32_e64 v3, 0, v3, s[18:19]
	v_add_u32_e32 v2, v2, v3
	s_and_saveexec_b64 s[0:1], s[4:5]
; %bb.81:
	v_lshlrev_b32_e32 v3, 2, v48
	ds_write_b32 v3, v2
; %bb.82:
	s_or_b64 exec, exec, s[0:1]
	v_cmp_gt_u32_e32 vcc, 8, v0
	s_waitcnt lgkmcnt(0)
	s_barrier
	s_and_saveexec_b64 s[0:1], vcc
	s_cbranch_execz .LBB178_84
; %bb.83:
	v_lshlrev_b32_e32 v3, 2, v0
	ds_read_b32 v4, v3
	v_and_b32_e32 v5, 7, v47
	v_cmp_ne_u32_e32 vcc, 0, v5
	s_waitcnt lgkmcnt(0)
	v_mov_b32_dpp v6, v4 row_shr:1 row_mask:0xf bank_mask:0xf
	v_cndmask_b32_e32 v6, 0, v6, vcc
	v_add_u32_e32 v4, v6, v4
	v_cmp_lt_u32_e32 vcc, 1, v5
	s_nop 0
	v_mov_b32_dpp v6, v4 row_shr:2 row_mask:0xf bank_mask:0xf
	v_cndmask_b32_e32 v6, 0, v6, vcc
	v_add_u32_e32 v4, v4, v6
	v_cmp_lt_u32_e32 vcc, 3, v5
	s_nop 0
	v_mov_b32_dpp v6, v4 row_shr:4 row_mask:0xf bank_mask:0xf
	v_cndmask_b32_e32 v5, 0, v6, vcc
	v_add_u32_e32 v4, v4, v5
	ds_write_b32 v3, v4
.LBB178_84:
	s_or_b64 exec, exec, s[0:1]
	v_cmp_lt_u32_e32 vcc, 63, v0
	v_mov_b32_e32 v4, 0
	v_mov_b32_e32 v3, 0
	s_waitcnt lgkmcnt(0)
	s_barrier
	s_and_saveexec_b64 s[0:1], vcc
; %bb.85:
	v_lshl_add_u32 v3, v48, 2, -4
	ds_read_b32 v3, v3
; %bb.86:
	s_or_b64 exec, exec, s[0:1]
	v_subrev_co_u32_e32 v5, vcc, 1, v47
	v_and_b32_e32 v6, 64, v47
	v_cmp_lt_i32_e64 s[0:1], v5, v6
	s_waitcnt lgkmcnt(0)
	v_add_u32_e32 v2, v3, v2
	ds_read_b32 v28, v4 offset:28
	v_cndmask_b32_e64 v5, v5, v47, s[0:1]
	v_lshlrev_b32_e32 v5, 2, v5
	ds_bpermute_b32 v2, v5, v2
	v_cmp_eq_u32_e64 s[0:1], 0, v0
	s_and_saveexec_b64 s[4:5], s[0:1]
	s_cbranch_execz .LBB178_88
; %bb.87:
	v_mov_b32_e32 v4, 0
	v_mov_b32_e32 v29, 2
	s_waitcnt lgkmcnt(1)
	global_store_dwordx2 v4, v[28:29], s[22:23] offset:512 sc1
.LBB178_88:
	s_or_b64 exec, exec, s[4:5]
	s_waitcnt lgkmcnt(0)
	v_cndmask_b32_e32 v2, v2, v3, vcc
	v_cndmask_b32_e64 v2, v2, 0, s[0:1]
	v_add_u32_e32 v3, v2, v32
	v_add_u32_e32 v4, v3, v38
	;; [unrolled: 1-line block ×10, first 2 shown]
	s_barrier
	v_mov_b32_e32 v30, 0
.LBB178_89:
	s_movk_i32 s0, 0x201
	v_cmp_gt_u32_e32 vcc, s0, v28
	v_and_b32_e32 v24, 1, v24
	v_mov_b32_e32 v32, v0
	s_mov_b64 s[4:5], -1
	v_cmp_eq_u32_e64 s[0:1], 1, v24
	s_cbranch_vccnz .LBB178_93
; %bb.90:
	s_and_b64 vcc, exec, s[4:5]
	s_cbranch_vccnz .LBB178_116
.LBB178_91:
	v_cmp_eq_u32_e32 vcc, 0, v0
	s_and_b64 s[0:1], vcc, s[48:49]
	s_waitcnt lgkmcnt(0)
	s_and_saveexec_b64 s[2:3], s[0:1]
	s_cbranch_execnz .LBB178_151
.LBB178_92:
	s_endpgm
.LBB178_93:
	v_add_u32_e32 v29, v30, v28
	s_lshl_b64 s[4:5], s[46:47], 2
	s_waitcnt lgkmcnt(0)
	s_add_u32 s4, s2, s4
	v_cmp_lt_u32_e32 vcc, v2, v29
	s_addc_u32 s5, s3, s5
	s_or_b64 s[6:7], s[50:51], vcc
	s_and_b64 s[6:7], s[6:7], s[0:1]
	s_and_saveexec_b64 s[0:1], s[6:7]
	s_cbranch_execz .LBB178_95
; %bb.94:
	v_mov_b32_e32 v39, 0
	v_mov_b32_e32 v38, v2
	v_lshl_add_u64 v[38:39], v[38:39], 2, s[4:5]
	global_store_dword v[38:39], v22, off
.LBB178_95:
	s_or_b64 exec, exec, s[0:1]
	v_cmp_lt_u32_e32 vcc, v3, v29
	v_and_b32_e32 v38, 1, v37
	s_or_b64 s[0:1], s[50:51], vcc
	v_cmp_eq_u32_e32 vcc, 1, v38
	s_and_b64 s[6:7], s[0:1], vcc
	s_and_saveexec_b64 s[0:1], s[6:7]
	s_cbranch_execz .LBB178_97
; %bb.96:
	v_mov_b32_e32 v39, 0
	v_mov_b32_e32 v38, v3
	v_lshl_add_u64 v[38:39], v[38:39], 2, s[4:5]
	global_store_dword v[38:39], v23, off
.LBB178_97:
	s_or_b64 exec, exec, s[0:1]
	v_cmp_lt_u32_e32 vcc, v4, v29
	v_and_b32_e32 v38, 1, v35
	s_or_b64 s[0:1], s[50:51], vcc
	v_cmp_eq_u32_e32 vcc, 1, v38
	s_and_b64 s[6:7], s[0:1], vcc
	;; [unrolled: 14-line block ×10, first 2 shown]
	s_and_saveexec_b64 s[0:1], s[6:7]
	s_cbranch_execz .LBB178_115
; %bb.114:
	v_mov_b32_e32 v39, 0
	v_mov_b32_e32 v38, v12
	v_lshl_add_u64 v[38:39], v[38:39], 2, s[4:5]
	global_store_dword v[38:39], v15, off
.LBB178_115:
	s_or_b64 exec, exec, s[0:1]
	s_branch .LBB178_91
.LBB178_116:
	v_cmp_eq_u32_e32 vcc, 1, v24
	s_and_saveexec_b64 s[0:1], vcc
; %bb.117:
	v_sub_u32_e32 v2, v2, v30
	v_lshlrev_b32_e32 v2, 2, v2
	ds_write_b32 v2, v22
; %bb.118:
	s_or_b64 exec, exec, s[0:1]
	v_and_b32_e32 v2, 1, v37
	v_cmp_eq_u32_e32 vcc, 1, v2
	s_and_saveexec_b64 s[0:1], vcc
; %bb.119:
	v_sub_u32_e32 v2, v3, v30
	v_lshlrev_b32_e32 v2, 2, v2
	ds_write_b32 v2, v23
; %bb.120:
	s_or_b64 exec, exec, s[0:1]
	v_and_b32_e32 v2, 1, v35
	;; [unrolled: 9-line block ×10, first 2 shown]
	v_cmp_eq_u32_e32 vcc, 1, v1
	s_and_saveexec_b64 s[0:1], vcc
; %bb.137:
	v_sub_u32_e32 v1, v12, v30
	v_lshlrev_b32_e32 v1, 2, v1
	ds_write_b32 v1, v15
; %bb.138:
	s_or_b64 exec, exec, s[0:1]
	v_or_b32_e32 v1, 0x200, v0
	v_max_u32_e32 v2, v28, v1
	v_mov_b32_e32 v31, 0
	v_xad_u32 v6, v0, -1, v2
	s_movk_i32 s0, 0x1ff
	v_cmp_lt_u32_e32 vcc, s0, v6
	s_mov_b64 s[4:5], -1
	v_lshlrev_b64 v[2:3], 2, v[30:31]
	s_waitcnt lgkmcnt(0)
	s_barrier
	s_and_saveexec_b64 s[0:1], vcc
	s_cbranch_execz .LBB178_147
; %bb.139:
	s_lshl_b64 s[4:5], s[46:47], 2
	v_lshrrev_b32_e32 v10, 9, v6
	s_add_u32 s4, s2, s4
	v_add_u32_e32 v6, -1, v10
	s_addc_u32 s5, s3, s5
	v_lshrrev_b32_e32 v7, 1, v6
	v_lshl_add_u64 v[4:5], s[4:5], 0, v[2:3]
	s_mov_b32 s8, 0
	v_add_u32_e32 v12, 1, v7
	v_cmp_lt_u32_e32 vcc, 13, v6
	v_lshlrev_b32_e32 v11, 2, v0
	v_mov_b64_e32 v[6:7], v[0:1]
	s_and_saveexec_b64 s[4:5], vcc
	s_cbranch_execz .LBB178_143
; %bb.140:
	v_and_b32_e32 v13, -8, v12
	s_mov_b64 s[6:7], 0
	v_mov_b32_e32 v9, 0
	v_mov_b32_e32 v14, v11
	v_mov_b64_e32 v[6:7], v[0:1]
.LBB178_141:                            ; =>This Inner Loop Header: Depth=1
	ds_read2st64_b32 v[16:17], v14 offset1:8
	v_mov_b32_e32 v8, v6
	ds_read2st64_b32 v[32:33], v14 offset0:48 offset1:56
	v_lshl_add_u64 v[50:51], v[8:9], 2, v[4:5]
	v_mov_b32_e32 v8, v7
	ds_read2st64_b32 v[20:21], v14 offset0:16 offset1:24
	ds_read2st64_b32 v[36:37], v14 offset0:64 offset1:72
	v_lshl_add_u64 v[52:53], v[8:9], 2, v[4:5]
	v_add_u32_e32 v8, 0x400, v6
	ds_read2st64_b32 v[40:41], v14 offset0:80 offset1:88
	v_lshl_add_u64 v[54:55], v[8:9], 2, v[4:5]
	v_add_u32_e32 v8, 0x800, v6
	v_add_u32_e32 v18, 0x400, v7
	v_mov_b32_e32 v19, v9
	v_add_u32_e32 v22, 0x800, v7
	ds_read2st64_b32 v[24:25], v14 offset0:32 offset1:40
	v_mov_b32_e32 v23, v9
	ds_read2st64_b32 v[44:45], v14 offset0:96 offset1:104
	v_lshl_add_u64 v[56:57], v[8:9], 2, v[4:5]
	v_add_u32_e32 v8, 0xc00, v6
	v_add_u32_e32 v26, 0xc00, v7
	v_mov_b32_e32 v27, v9
	ds_read2st64_b32 v[48:49], v14 offset0:112 offset1:120
	v_lshl_add_u64 v[18:19], v[18:19], 2, v[4:5]
	v_lshl_add_u64 v[22:23], v[22:23], 2, v[4:5]
	s_waitcnt lgkmcnt(7)
	global_store_dword v[50:51], v16, off
	global_store_dword v[52:53], v17, off
	s_waitcnt lgkmcnt(5)
	global_store_dword v[54:55], v20, off
	global_store_dword v[18:19], v21, off
	;; [unrolled: 3-line block ×3, first 2 shown]
	v_lshl_add_u64 v[16:17], v[8:9], 2, v[4:5]
	v_add_u32_e32 v8, 0x1000, v6
	v_add_u32_e32 v34, 0x1000, v7
	v_mov_b32_e32 v35, v9
	v_lshl_add_u64 v[26:27], v[26:27], 2, v[4:5]
	global_store_dword v[16:17], v32, off
	global_store_dword v[26:27], v33, off
	v_lshl_add_u64 v[16:17], v[8:9], 2, v[4:5]
	v_add_u32_e32 v8, 0x1400, v6
	v_add_u32_e32 v38, 0x1400, v7
	v_mov_b32_e32 v39, v9
	v_add_u32_e32 v13, -8, v13
	v_lshl_add_u64 v[34:35], v[34:35], 2, v[4:5]
	global_store_dword v[16:17], v36, off
	global_store_dword v[34:35], v37, off
	v_lshl_add_u64 v[16:17], v[8:9], 2, v[4:5]
	v_add_u32_e32 v8, 0x1800, v6
	v_add_u32_e32 v42, 0x1800, v7
	v_mov_b32_e32 v43, v9
	s_add_i32 s8, s8, 16
	v_lshl_add_u64 v[38:39], v[38:39], 2, v[4:5]
	v_cmp_eq_u32_e32 vcc, 0, v13
	global_store_dword v[16:17], v40, off
	global_store_dword v[38:39], v41, off
	v_lshl_add_u64 v[16:17], v[8:9], 2, v[4:5]
	v_add_u32_e32 v8, 0x1c00, v6
	v_add_u32_e32 v46, 0x1c00, v7
	v_mov_b32_e32 v47, v9
	v_add_u32_e32 v14, 0x8000, v14
	v_lshl_add_u64 v[42:43], v[42:43], 2, v[4:5]
	v_add_u32_e32 v7, 0x2000, v7
	v_mov_b32_e32 v31, s8
	s_or_b64 s[6:7], vcc, s[6:7]
	v_add_u32_e32 v6, 0x2000, v6
	s_waitcnt lgkmcnt(1)
	global_store_dword v[16:17], v44, off
	global_store_dword v[42:43], v45, off
	v_lshl_add_u64 v[16:17], v[8:9], 2, v[4:5]
	v_lshl_add_u64 v[46:47], v[46:47], 2, v[4:5]
	s_waitcnt lgkmcnt(0)
	global_store_dword v[16:17], v48, off
	global_store_dword v[46:47], v49, off
	s_andn2_b64 exec, exec, s[6:7]
	s_cbranch_execnz .LBB178_141
; %bb.142:
	s_or_b64 exec, exec, s[6:7]
.LBB178_143:
	s_or_b64 exec, exec, s[4:5]
	v_and_b32_e32 v1, 7, v12
	v_cmp_ne_u32_e32 vcc, 0, v1
	s_and_saveexec_b64 s[4:5], vcc
	s_cbranch_execz .LBB178_146
; %bb.144:
	v_lshl_or_b32 v11, v31, 11, v11
	s_mov_b64 s[6:7], 0
	v_mov_b32_e32 v9, 0
.LBB178_145:                            ; =>This Inner Loop Header: Depth=1
	ds_read2st64_b32 v[12:13], v11 offset1:8
	v_add_u32_e32 v1, -1, v1
	v_mov_b32_e32 v8, v6
	v_cmp_eq_u32_e32 vcc, 0, v1
	v_add_u32_e32 v6, 0x400, v6
	v_add_u32_e32 v11, 0x1000, v11
	v_lshl_add_u64 v[14:15], v[8:9], 2, v[4:5]
	v_mov_b32_e32 v8, v7
	v_add_u32_e32 v7, 0x400, v7
	s_or_b64 s[6:7], vcc, s[6:7]
	v_lshl_add_u64 v[16:17], v[8:9], 2, v[4:5]
	s_waitcnt lgkmcnt(0)
	global_store_dword v[14:15], v12, off
	global_store_dword v[16:17], v13, off
	s_andn2_b64 exec, exec, s[6:7]
	s_cbranch_execnz .LBB178_145
.LBB178_146:
	s_or_b64 exec, exec, s[4:5]
	v_add_u32_e32 v1, 1, v10
	v_and_b32_e32 v4, 0xfffffe, v1
	v_cmp_ne_u32_e32 vcc, v1, v4
	v_lshl_or_b32 v32, v4, 9, v0
	s_orn2_b64 s[4:5], vcc, exec
.LBB178_147:
	s_or_b64 exec, exec, s[0:1]
	s_and_saveexec_b64 s[0:1], s[4:5]
	s_cbranch_execz .LBB178_150
; %bb.148:
	s_lshl_b64 s[4:5], s[46:47], 2
	v_lshl_add_u64 v[2:3], s[4:5], 0, v[2:3]
	v_mov_b32_e32 v33, 0
	v_lshl_add_u64 v[2:3], s[2:3], 0, v[2:3]
	v_lshlrev_b32_e32 v1, 2, v32
	v_lshl_add_u64 v[2:3], v[32:33], 2, v[2:3]
	s_mov_b64 s[2:3], 0
	s_mov_b64 s[4:5], 0x800
.LBB178_149:                            ; =>This Inner Loop Header: Depth=1
	ds_read_b32 v4, v1
	v_add_u32_e32 v32, 0x200, v32
	v_cmp_ge_u32_e32 vcc, v32, v28
	v_add_u32_e32 v1, 0x800, v1
	s_or_b64 s[2:3], vcc, s[2:3]
	s_waitcnt lgkmcnt(0)
	global_store_dword v[2:3], v4, off
	v_lshl_add_u64 v[2:3], v[2:3], 0, s[4:5]
	s_andn2_b64 exec, exec, s[2:3]
	s_cbranch_execnz .LBB178_149
.LBB178_150:
	s_or_b64 exec, exec, s[0:1]
	v_cmp_eq_u32_e32 vcc, 0, v0
	s_and_b64 s[0:1], vcc, s[48:49]
	s_and_saveexec_b64 s[2:3], s[0:1]
	s_cbranch_execz .LBB178_92
.LBB178_151:
	v_mov_b32_e32 v29, 0
	v_lshl_add_u64 v[0:1], s[46:47], 0, v[28:29]
	v_mov_b32_e32 v31, v29
	v_lshl_add_u64 v[0:1], v[0:1], 0, v[30:31]
	global_store_dwordx2 v29, v[0:1], s[44:45]
	s_endpgm
	.section	.rodata,"a",@progbits
	.p2align	6, 0x0
	.amdhsa_kernel _ZN7rocprim17ROCPRIM_400000_NS6detail17trampoline_kernelINS0_14default_configENS1_25partition_config_selectorILNS1_17partition_subalgoE8EiNS0_10empty_typeEbEEZZNS1_14partition_implILS5_8ELb0ES3_jPKiPS6_PKS6_NS0_5tupleIJPiS6_EEENSE_IJSB_SB_EEENS0_18inequality_wrapperIN6hipcub16HIPCUB_304000_NS8EqualityEEEPlJS6_EEE10hipError_tPvRmT3_T4_T5_T6_T7_T9_mT8_P12ihipStream_tbDpT10_ENKUlT_T0_E_clISt17integral_constantIbLb0EES17_EEDaS12_S13_EUlS12_E_NS1_11comp_targetILNS1_3genE0ELNS1_11target_archE4294967295ELNS1_3gpuE0ELNS1_3repE0EEENS1_30default_config_static_selectorELNS0_4arch9wavefront6targetE1EEEvT1_
		.amdhsa_group_segment_fixed_size 22536
		.amdhsa_private_segment_fixed_size 0
		.amdhsa_kernarg_size 112
		.amdhsa_user_sgpr_count 2
		.amdhsa_user_sgpr_dispatch_ptr 0
		.amdhsa_user_sgpr_queue_ptr 0
		.amdhsa_user_sgpr_kernarg_segment_ptr 1
		.amdhsa_user_sgpr_dispatch_id 0
		.amdhsa_user_sgpr_kernarg_preload_length 0
		.amdhsa_user_sgpr_kernarg_preload_offset 0
		.amdhsa_user_sgpr_private_segment_size 0
		.amdhsa_uses_dynamic_stack 0
		.amdhsa_enable_private_segment 0
		.amdhsa_system_sgpr_workgroup_id_x 1
		.amdhsa_system_sgpr_workgroup_id_y 0
		.amdhsa_system_sgpr_workgroup_id_z 0
		.amdhsa_system_sgpr_workgroup_info 0
		.amdhsa_system_vgpr_workitem_id 0
		.amdhsa_next_free_vgpr 62
		.amdhsa_next_free_sgpr 58
		.amdhsa_accum_offset 64
		.amdhsa_reserve_vcc 1
		.amdhsa_float_round_mode_32 0
		.amdhsa_float_round_mode_16_64 0
		.amdhsa_float_denorm_mode_32 3
		.amdhsa_float_denorm_mode_16_64 3
		.amdhsa_dx10_clamp 1
		.amdhsa_ieee_mode 1
		.amdhsa_fp16_overflow 0
		.amdhsa_tg_split 0
		.amdhsa_exception_fp_ieee_invalid_op 0
		.amdhsa_exception_fp_denorm_src 0
		.amdhsa_exception_fp_ieee_div_zero 0
		.amdhsa_exception_fp_ieee_overflow 0
		.amdhsa_exception_fp_ieee_underflow 0
		.amdhsa_exception_fp_ieee_inexact 0
		.amdhsa_exception_int_div_zero 0
	.end_amdhsa_kernel
	.section	.text._ZN7rocprim17ROCPRIM_400000_NS6detail17trampoline_kernelINS0_14default_configENS1_25partition_config_selectorILNS1_17partition_subalgoE8EiNS0_10empty_typeEbEEZZNS1_14partition_implILS5_8ELb0ES3_jPKiPS6_PKS6_NS0_5tupleIJPiS6_EEENSE_IJSB_SB_EEENS0_18inequality_wrapperIN6hipcub16HIPCUB_304000_NS8EqualityEEEPlJS6_EEE10hipError_tPvRmT3_T4_T5_T6_T7_T9_mT8_P12ihipStream_tbDpT10_ENKUlT_T0_E_clISt17integral_constantIbLb0EES17_EEDaS12_S13_EUlS12_E_NS1_11comp_targetILNS1_3genE0ELNS1_11target_archE4294967295ELNS1_3gpuE0ELNS1_3repE0EEENS1_30default_config_static_selectorELNS0_4arch9wavefront6targetE1EEEvT1_,"axG",@progbits,_ZN7rocprim17ROCPRIM_400000_NS6detail17trampoline_kernelINS0_14default_configENS1_25partition_config_selectorILNS1_17partition_subalgoE8EiNS0_10empty_typeEbEEZZNS1_14partition_implILS5_8ELb0ES3_jPKiPS6_PKS6_NS0_5tupleIJPiS6_EEENSE_IJSB_SB_EEENS0_18inequality_wrapperIN6hipcub16HIPCUB_304000_NS8EqualityEEEPlJS6_EEE10hipError_tPvRmT3_T4_T5_T6_T7_T9_mT8_P12ihipStream_tbDpT10_ENKUlT_T0_E_clISt17integral_constantIbLb0EES17_EEDaS12_S13_EUlS12_E_NS1_11comp_targetILNS1_3genE0ELNS1_11target_archE4294967295ELNS1_3gpuE0ELNS1_3repE0EEENS1_30default_config_static_selectorELNS0_4arch9wavefront6targetE1EEEvT1_,comdat
.Lfunc_end178:
	.size	_ZN7rocprim17ROCPRIM_400000_NS6detail17trampoline_kernelINS0_14default_configENS1_25partition_config_selectorILNS1_17partition_subalgoE8EiNS0_10empty_typeEbEEZZNS1_14partition_implILS5_8ELb0ES3_jPKiPS6_PKS6_NS0_5tupleIJPiS6_EEENSE_IJSB_SB_EEENS0_18inequality_wrapperIN6hipcub16HIPCUB_304000_NS8EqualityEEEPlJS6_EEE10hipError_tPvRmT3_T4_T5_T6_T7_T9_mT8_P12ihipStream_tbDpT10_ENKUlT_T0_E_clISt17integral_constantIbLb0EES17_EEDaS12_S13_EUlS12_E_NS1_11comp_targetILNS1_3genE0ELNS1_11target_archE4294967295ELNS1_3gpuE0ELNS1_3repE0EEENS1_30default_config_static_selectorELNS0_4arch9wavefront6targetE1EEEvT1_, .Lfunc_end178-_ZN7rocprim17ROCPRIM_400000_NS6detail17trampoline_kernelINS0_14default_configENS1_25partition_config_selectorILNS1_17partition_subalgoE8EiNS0_10empty_typeEbEEZZNS1_14partition_implILS5_8ELb0ES3_jPKiPS6_PKS6_NS0_5tupleIJPiS6_EEENSE_IJSB_SB_EEENS0_18inequality_wrapperIN6hipcub16HIPCUB_304000_NS8EqualityEEEPlJS6_EEE10hipError_tPvRmT3_T4_T5_T6_T7_T9_mT8_P12ihipStream_tbDpT10_ENKUlT_T0_E_clISt17integral_constantIbLb0EES17_EEDaS12_S13_EUlS12_E_NS1_11comp_targetILNS1_3genE0ELNS1_11target_archE4294967295ELNS1_3gpuE0ELNS1_3repE0EEENS1_30default_config_static_selectorELNS0_4arch9wavefront6targetE1EEEvT1_
                                        ; -- End function
	.set _ZN7rocprim17ROCPRIM_400000_NS6detail17trampoline_kernelINS0_14default_configENS1_25partition_config_selectorILNS1_17partition_subalgoE8EiNS0_10empty_typeEbEEZZNS1_14partition_implILS5_8ELb0ES3_jPKiPS6_PKS6_NS0_5tupleIJPiS6_EEENSE_IJSB_SB_EEENS0_18inequality_wrapperIN6hipcub16HIPCUB_304000_NS8EqualityEEEPlJS6_EEE10hipError_tPvRmT3_T4_T5_T6_T7_T9_mT8_P12ihipStream_tbDpT10_ENKUlT_T0_E_clISt17integral_constantIbLb0EES17_EEDaS12_S13_EUlS12_E_NS1_11comp_targetILNS1_3genE0ELNS1_11target_archE4294967295ELNS1_3gpuE0ELNS1_3repE0EEENS1_30default_config_static_selectorELNS0_4arch9wavefront6targetE1EEEvT1_.num_vgpr, 62
	.set _ZN7rocprim17ROCPRIM_400000_NS6detail17trampoline_kernelINS0_14default_configENS1_25partition_config_selectorILNS1_17partition_subalgoE8EiNS0_10empty_typeEbEEZZNS1_14partition_implILS5_8ELb0ES3_jPKiPS6_PKS6_NS0_5tupleIJPiS6_EEENSE_IJSB_SB_EEENS0_18inequality_wrapperIN6hipcub16HIPCUB_304000_NS8EqualityEEEPlJS6_EEE10hipError_tPvRmT3_T4_T5_T6_T7_T9_mT8_P12ihipStream_tbDpT10_ENKUlT_T0_E_clISt17integral_constantIbLb0EES17_EEDaS12_S13_EUlS12_E_NS1_11comp_targetILNS1_3genE0ELNS1_11target_archE4294967295ELNS1_3gpuE0ELNS1_3repE0EEENS1_30default_config_static_selectorELNS0_4arch9wavefront6targetE1EEEvT1_.num_agpr, 0
	.set _ZN7rocprim17ROCPRIM_400000_NS6detail17trampoline_kernelINS0_14default_configENS1_25partition_config_selectorILNS1_17partition_subalgoE8EiNS0_10empty_typeEbEEZZNS1_14partition_implILS5_8ELb0ES3_jPKiPS6_PKS6_NS0_5tupleIJPiS6_EEENSE_IJSB_SB_EEENS0_18inequality_wrapperIN6hipcub16HIPCUB_304000_NS8EqualityEEEPlJS6_EEE10hipError_tPvRmT3_T4_T5_T6_T7_T9_mT8_P12ihipStream_tbDpT10_ENKUlT_T0_E_clISt17integral_constantIbLb0EES17_EEDaS12_S13_EUlS12_E_NS1_11comp_targetILNS1_3genE0ELNS1_11target_archE4294967295ELNS1_3gpuE0ELNS1_3repE0EEENS1_30default_config_static_selectorELNS0_4arch9wavefront6targetE1EEEvT1_.numbered_sgpr, 58
	.set _ZN7rocprim17ROCPRIM_400000_NS6detail17trampoline_kernelINS0_14default_configENS1_25partition_config_selectorILNS1_17partition_subalgoE8EiNS0_10empty_typeEbEEZZNS1_14partition_implILS5_8ELb0ES3_jPKiPS6_PKS6_NS0_5tupleIJPiS6_EEENSE_IJSB_SB_EEENS0_18inequality_wrapperIN6hipcub16HIPCUB_304000_NS8EqualityEEEPlJS6_EEE10hipError_tPvRmT3_T4_T5_T6_T7_T9_mT8_P12ihipStream_tbDpT10_ENKUlT_T0_E_clISt17integral_constantIbLb0EES17_EEDaS12_S13_EUlS12_E_NS1_11comp_targetILNS1_3genE0ELNS1_11target_archE4294967295ELNS1_3gpuE0ELNS1_3repE0EEENS1_30default_config_static_selectorELNS0_4arch9wavefront6targetE1EEEvT1_.num_named_barrier, 0
	.set _ZN7rocprim17ROCPRIM_400000_NS6detail17trampoline_kernelINS0_14default_configENS1_25partition_config_selectorILNS1_17partition_subalgoE8EiNS0_10empty_typeEbEEZZNS1_14partition_implILS5_8ELb0ES3_jPKiPS6_PKS6_NS0_5tupleIJPiS6_EEENSE_IJSB_SB_EEENS0_18inequality_wrapperIN6hipcub16HIPCUB_304000_NS8EqualityEEEPlJS6_EEE10hipError_tPvRmT3_T4_T5_T6_T7_T9_mT8_P12ihipStream_tbDpT10_ENKUlT_T0_E_clISt17integral_constantIbLb0EES17_EEDaS12_S13_EUlS12_E_NS1_11comp_targetILNS1_3genE0ELNS1_11target_archE4294967295ELNS1_3gpuE0ELNS1_3repE0EEENS1_30default_config_static_selectorELNS0_4arch9wavefront6targetE1EEEvT1_.private_seg_size, 0
	.set _ZN7rocprim17ROCPRIM_400000_NS6detail17trampoline_kernelINS0_14default_configENS1_25partition_config_selectorILNS1_17partition_subalgoE8EiNS0_10empty_typeEbEEZZNS1_14partition_implILS5_8ELb0ES3_jPKiPS6_PKS6_NS0_5tupleIJPiS6_EEENSE_IJSB_SB_EEENS0_18inequality_wrapperIN6hipcub16HIPCUB_304000_NS8EqualityEEEPlJS6_EEE10hipError_tPvRmT3_T4_T5_T6_T7_T9_mT8_P12ihipStream_tbDpT10_ENKUlT_T0_E_clISt17integral_constantIbLb0EES17_EEDaS12_S13_EUlS12_E_NS1_11comp_targetILNS1_3genE0ELNS1_11target_archE4294967295ELNS1_3gpuE0ELNS1_3repE0EEENS1_30default_config_static_selectorELNS0_4arch9wavefront6targetE1EEEvT1_.uses_vcc, 1
	.set _ZN7rocprim17ROCPRIM_400000_NS6detail17trampoline_kernelINS0_14default_configENS1_25partition_config_selectorILNS1_17partition_subalgoE8EiNS0_10empty_typeEbEEZZNS1_14partition_implILS5_8ELb0ES3_jPKiPS6_PKS6_NS0_5tupleIJPiS6_EEENSE_IJSB_SB_EEENS0_18inequality_wrapperIN6hipcub16HIPCUB_304000_NS8EqualityEEEPlJS6_EEE10hipError_tPvRmT3_T4_T5_T6_T7_T9_mT8_P12ihipStream_tbDpT10_ENKUlT_T0_E_clISt17integral_constantIbLb0EES17_EEDaS12_S13_EUlS12_E_NS1_11comp_targetILNS1_3genE0ELNS1_11target_archE4294967295ELNS1_3gpuE0ELNS1_3repE0EEENS1_30default_config_static_selectorELNS0_4arch9wavefront6targetE1EEEvT1_.uses_flat_scratch, 0
	.set _ZN7rocprim17ROCPRIM_400000_NS6detail17trampoline_kernelINS0_14default_configENS1_25partition_config_selectorILNS1_17partition_subalgoE8EiNS0_10empty_typeEbEEZZNS1_14partition_implILS5_8ELb0ES3_jPKiPS6_PKS6_NS0_5tupleIJPiS6_EEENSE_IJSB_SB_EEENS0_18inequality_wrapperIN6hipcub16HIPCUB_304000_NS8EqualityEEEPlJS6_EEE10hipError_tPvRmT3_T4_T5_T6_T7_T9_mT8_P12ihipStream_tbDpT10_ENKUlT_T0_E_clISt17integral_constantIbLb0EES17_EEDaS12_S13_EUlS12_E_NS1_11comp_targetILNS1_3genE0ELNS1_11target_archE4294967295ELNS1_3gpuE0ELNS1_3repE0EEENS1_30default_config_static_selectorELNS0_4arch9wavefront6targetE1EEEvT1_.has_dyn_sized_stack, 0
	.set _ZN7rocprim17ROCPRIM_400000_NS6detail17trampoline_kernelINS0_14default_configENS1_25partition_config_selectorILNS1_17partition_subalgoE8EiNS0_10empty_typeEbEEZZNS1_14partition_implILS5_8ELb0ES3_jPKiPS6_PKS6_NS0_5tupleIJPiS6_EEENSE_IJSB_SB_EEENS0_18inequality_wrapperIN6hipcub16HIPCUB_304000_NS8EqualityEEEPlJS6_EEE10hipError_tPvRmT3_T4_T5_T6_T7_T9_mT8_P12ihipStream_tbDpT10_ENKUlT_T0_E_clISt17integral_constantIbLb0EES17_EEDaS12_S13_EUlS12_E_NS1_11comp_targetILNS1_3genE0ELNS1_11target_archE4294967295ELNS1_3gpuE0ELNS1_3repE0EEENS1_30default_config_static_selectorELNS0_4arch9wavefront6targetE1EEEvT1_.has_recursion, 0
	.set _ZN7rocprim17ROCPRIM_400000_NS6detail17trampoline_kernelINS0_14default_configENS1_25partition_config_selectorILNS1_17partition_subalgoE8EiNS0_10empty_typeEbEEZZNS1_14partition_implILS5_8ELb0ES3_jPKiPS6_PKS6_NS0_5tupleIJPiS6_EEENSE_IJSB_SB_EEENS0_18inequality_wrapperIN6hipcub16HIPCUB_304000_NS8EqualityEEEPlJS6_EEE10hipError_tPvRmT3_T4_T5_T6_T7_T9_mT8_P12ihipStream_tbDpT10_ENKUlT_T0_E_clISt17integral_constantIbLb0EES17_EEDaS12_S13_EUlS12_E_NS1_11comp_targetILNS1_3genE0ELNS1_11target_archE4294967295ELNS1_3gpuE0ELNS1_3repE0EEENS1_30default_config_static_selectorELNS0_4arch9wavefront6targetE1EEEvT1_.has_indirect_call, 0
	.section	.AMDGPU.csdata,"",@progbits
; Kernel info:
; codeLenInByte = 7620
; TotalNumSgprs: 64
; NumVgprs: 62
; NumAgprs: 0
; TotalNumVgprs: 62
; ScratchSize: 0
; MemoryBound: 0
; FloatMode: 240
; IeeeMode: 1
; LDSByteSize: 22536 bytes/workgroup (compile time only)
; SGPRBlocks: 7
; VGPRBlocks: 7
; NumSGPRsForWavesPerEU: 64
; NumVGPRsForWavesPerEU: 62
; AccumOffset: 64
; Occupancy: 8
; WaveLimiterHint : 1
; COMPUTE_PGM_RSRC2:SCRATCH_EN: 0
; COMPUTE_PGM_RSRC2:USER_SGPR: 2
; COMPUTE_PGM_RSRC2:TRAP_HANDLER: 0
; COMPUTE_PGM_RSRC2:TGID_X_EN: 1
; COMPUTE_PGM_RSRC2:TGID_Y_EN: 0
; COMPUTE_PGM_RSRC2:TGID_Z_EN: 0
; COMPUTE_PGM_RSRC2:TIDIG_COMP_CNT: 0
; COMPUTE_PGM_RSRC3_GFX90A:ACCUM_OFFSET: 15
; COMPUTE_PGM_RSRC3_GFX90A:TG_SPLIT: 0
	.section	.text._ZN7rocprim17ROCPRIM_400000_NS6detail17trampoline_kernelINS0_14default_configENS1_25partition_config_selectorILNS1_17partition_subalgoE8EiNS0_10empty_typeEbEEZZNS1_14partition_implILS5_8ELb0ES3_jPKiPS6_PKS6_NS0_5tupleIJPiS6_EEENSE_IJSB_SB_EEENS0_18inequality_wrapperIN6hipcub16HIPCUB_304000_NS8EqualityEEEPlJS6_EEE10hipError_tPvRmT3_T4_T5_T6_T7_T9_mT8_P12ihipStream_tbDpT10_ENKUlT_T0_E_clISt17integral_constantIbLb0EES17_EEDaS12_S13_EUlS12_E_NS1_11comp_targetILNS1_3genE5ELNS1_11target_archE942ELNS1_3gpuE9ELNS1_3repE0EEENS1_30default_config_static_selectorELNS0_4arch9wavefront6targetE1EEEvT1_,"axG",@progbits,_ZN7rocprim17ROCPRIM_400000_NS6detail17trampoline_kernelINS0_14default_configENS1_25partition_config_selectorILNS1_17partition_subalgoE8EiNS0_10empty_typeEbEEZZNS1_14partition_implILS5_8ELb0ES3_jPKiPS6_PKS6_NS0_5tupleIJPiS6_EEENSE_IJSB_SB_EEENS0_18inequality_wrapperIN6hipcub16HIPCUB_304000_NS8EqualityEEEPlJS6_EEE10hipError_tPvRmT3_T4_T5_T6_T7_T9_mT8_P12ihipStream_tbDpT10_ENKUlT_T0_E_clISt17integral_constantIbLb0EES17_EEDaS12_S13_EUlS12_E_NS1_11comp_targetILNS1_3genE5ELNS1_11target_archE942ELNS1_3gpuE9ELNS1_3repE0EEENS1_30default_config_static_selectorELNS0_4arch9wavefront6targetE1EEEvT1_,comdat
	.protected	_ZN7rocprim17ROCPRIM_400000_NS6detail17trampoline_kernelINS0_14default_configENS1_25partition_config_selectorILNS1_17partition_subalgoE8EiNS0_10empty_typeEbEEZZNS1_14partition_implILS5_8ELb0ES3_jPKiPS6_PKS6_NS0_5tupleIJPiS6_EEENSE_IJSB_SB_EEENS0_18inequality_wrapperIN6hipcub16HIPCUB_304000_NS8EqualityEEEPlJS6_EEE10hipError_tPvRmT3_T4_T5_T6_T7_T9_mT8_P12ihipStream_tbDpT10_ENKUlT_T0_E_clISt17integral_constantIbLb0EES17_EEDaS12_S13_EUlS12_E_NS1_11comp_targetILNS1_3genE5ELNS1_11target_archE942ELNS1_3gpuE9ELNS1_3repE0EEENS1_30default_config_static_selectorELNS0_4arch9wavefront6targetE1EEEvT1_ ; -- Begin function _ZN7rocprim17ROCPRIM_400000_NS6detail17trampoline_kernelINS0_14default_configENS1_25partition_config_selectorILNS1_17partition_subalgoE8EiNS0_10empty_typeEbEEZZNS1_14partition_implILS5_8ELb0ES3_jPKiPS6_PKS6_NS0_5tupleIJPiS6_EEENSE_IJSB_SB_EEENS0_18inequality_wrapperIN6hipcub16HIPCUB_304000_NS8EqualityEEEPlJS6_EEE10hipError_tPvRmT3_T4_T5_T6_T7_T9_mT8_P12ihipStream_tbDpT10_ENKUlT_T0_E_clISt17integral_constantIbLb0EES17_EEDaS12_S13_EUlS12_E_NS1_11comp_targetILNS1_3genE5ELNS1_11target_archE942ELNS1_3gpuE9ELNS1_3repE0EEENS1_30default_config_static_selectorELNS0_4arch9wavefront6targetE1EEEvT1_
	.globl	_ZN7rocprim17ROCPRIM_400000_NS6detail17trampoline_kernelINS0_14default_configENS1_25partition_config_selectorILNS1_17partition_subalgoE8EiNS0_10empty_typeEbEEZZNS1_14partition_implILS5_8ELb0ES3_jPKiPS6_PKS6_NS0_5tupleIJPiS6_EEENSE_IJSB_SB_EEENS0_18inequality_wrapperIN6hipcub16HIPCUB_304000_NS8EqualityEEEPlJS6_EEE10hipError_tPvRmT3_T4_T5_T6_T7_T9_mT8_P12ihipStream_tbDpT10_ENKUlT_T0_E_clISt17integral_constantIbLb0EES17_EEDaS12_S13_EUlS12_E_NS1_11comp_targetILNS1_3genE5ELNS1_11target_archE942ELNS1_3gpuE9ELNS1_3repE0EEENS1_30default_config_static_selectorELNS0_4arch9wavefront6targetE1EEEvT1_
	.p2align	8
	.type	_ZN7rocprim17ROCPRIM_400000_NS6detail17trampoline_kernelINS0_14default_configENS1_25partition_config_selectorILNS1_17partition_subalgoE8EiNS0_10empty_typeEbEEZZNS1_14partition_implILS5_8ELb0ES3_jPKiPS6_PKS6_NS0_5tupleIJPiS6_EEENSE_IJSB_SB_EEENS0_18inequality_wrapperIN6hipcub16HIPCUB_304000_NS8EqualityEEEPlJS6_EEE10hipError_tPvRmT3_T4_T5_T6_T7_T9_mT8_P12ihipStream_tbDpT10_ENKUlT_T0_E_clISt17integral_constantIbLb0EES17_EEDaS12_S13_EUlS12_E_NS1_11comp_targetILNS1_3genE5ELNS1_11target_archE942ELNS1_3gpuE9ELNS1_3repE0EEENS1_30default_config_static_selectorELNS0_4arch9wavefront6targetE1EEEvT1_,@function
_ZN7rocprim17ROCPRIM_400000_NS6detail17trampoline_kernelINS0_14default_configENS1_25partition_config_selectorILNS1_17partition_subalgoE8EiNS0_10empty_typeEbEEZZNS1_14partition_implILS5_8ELb0ES3_jPKiPS6_PKS6_NS0_5tupleIJPiS6_EEENSE_IJSB_SB_EEENS0_18inequality_wrapperIN6hipcub16HIPCUB_304000_NS8EqualityEEEPlJS6_EEE10hipError_tPvRmT3_T4_T5_T6_T7_T9_mT8_P12ihipStream_tbDpT10_ENKUlT_T0_E_clISt17integral_constantIbLb0EES17_EEDaS12_S13_EUlS12_E_NS1_11comp_targetILNS1_3genE5ELNS1_11target_archE942ELNS1_3gpuE9ELNS1_3repE0EEENS1_30default_config_static_selectorELNS0_4arch9wavefront6targetE1EEEvT1_: ; @_ZN7rocprim17ROCPRIM_400000_NS6detail17trampoline_kernelINS0_14default_configENS1_25partition_config_selectorILNS1_17partition_subalgoE8EiNS0_10empty_typeEbEEZZNS1_14partition_implILS5_8ELb0ES3_jPKiPS6_PKS6_NS0_5tupleIJPiS6_EEENSE_IJSB_SB_EEENS0_18inequality_wrapperIN6hipcub16HIPCUB_304000_NS8EqualityEEEPlJS6_EEE10hipError_tPvRmT3_T4_T5_T6_T7_T9_mT8_P12ihipStream_tbDpT10_ENKUlT_T0_E_clISt17integral_constantIbLb0EES17_EEDaS12_S13_EUlS12_E_NS1_11comp_targetILNS1_3genE5ELNS1_11target_archE942ELNS1_3gpuE9ELNS1_3repE0EEENS1_30default_config_static_selectorELNS0_4arch9wavefront6targetE1EEEvT1_
; %bb.0:
	.section	.rodata,"a",@progbits
	.p2align	6, 0x0
	.amdhsa_kernel _ZN7rocprim17ROCPRIM_400000_NS6detail17trampoline_kernelINS0_14default_configENS1_25partition_config_selectorILNS1_17partition_subalgoE8EiNS0_10empty_typeEbEEZZNS1_14partition_implILS5_8ELb0ES3_jPKiPS6_PKS6_NS0_5tupleIJPiS6_EEENSE_IJSB_SB_EEENS0_18inequality_wrapperIN6hipcub16HIPCUB_304000_NS8EqualityEEEPlJS6_EEE10hipError_tPvRmT3_T4_T5_T6_T7_T9_mT8_P12ihipStream_tbDpT10_ENKUlT_T0_E_clISt17integral_constantIbLb0EES17_EEDaS12_S13_EUlS12_E_NS1_11comp_targetILNS1_3genE5ELNS1_11target_archE942ELNS1_3gpuE9ELNS1_3repE0EEENS1_30default_config_static_selectorELNS0_4arch9wavefront6targetE1EEEvT1_
		.amdhsa_group_segment_fixed_size 0
		.amdhsa_private_segment_fixed_size 0
		.amdhsa_kernarg_size 112
		.amdhsa_user_sgpr_count 2
		.amdhsa_user_sgpr_dispatch_ptr 0
		.amdhsa_user_sgpr_queue_ptr 0
		.amdhsa_user_sgpr_kernarg_segment_ptr 1
		.amdhsa_user_sgpr_dispatch_id 0
		.amdhsa_user_sgpr_kernarg_preload_length 0
		.amdhsa_user_sgpr_kernarg_preload_offset 0
		.amdhsa_user_sgpr_private_segment_size 0
		.amdhsa_uses_dynamic_stack 0
		.amdhsa_enable_private_segment 0
		.amdhsa_system_sgpr_workgroup_id_x 1
		.amdhsa_system_sgpr_workgroup_id_y 0
		.amdhsa_system_sgpr_workgroup_id_z 0
		.amdhsa_system_sgpr_workgroup_info 0
		.amdhsa_system_vgpr_workitem_id 0
		.amdhsa_next_free_vgpr 1
		.amdhsa_next_free_sgpr 0
		.amdhsa_accum_offset 4
		.amdhsa_reserve_vcc 0
		.amdhsa_float_round_mode_32 0
		.amdhsa_float_round_mode_16_64 0
		.amdhsa_float_denorm_mode_32 3
		.amdhsa_float_denorm_mode_16_64 3
		.amdhsa_dx10_clamp 1
		.amdhsa_ieee_mode 1
		.amdhsa_fp16_overflow 0
		.amdhsa_tg_split 0
		.amdhsa_exception_fp_ieee_invalid_op 0
		.amdhsa_exception_fp_denorm_src 0
		.amdhsa_exception_fp_ieee_div_zero 0
		.amdhsa_exception_fp_ieee_overflow 0
		.amdhsa_exception_fp_ieee_underflow 0
		.amdhsa_exception_fp_ieee_inexact 0
		.amdhsa_exception_int_div_zero 0
	.end_amdhsa_kernel
	.section	.text._ZN7rocprim17ROCPRIM_400000_NS6detail17trampoline_kernelINS0_14default_configENS1_25partition_config_selectorILNS1_17partition_subalgoE8EiNS0_10empty_typeEbEEZZNS1_14partition_implILS5_8ELb0ES3_jPKiPS6_PKS6_NS0_5tupleIJPiS6_EEENSE_IJSB_SB_EEENS0_18inequality_wrapperIN6hipcub16HIPCUB_304000_NS8EqualityEEEPlJS6_EEE10hipError_tPvRmT3_T4_T5_T6_T7_T9_mT8_P12ihipStream_tbDpT10_ENKUlT_T0_E_clISt17integral_constantIbLb0EES17_EEDaS12_S13_EUlS12_E_NS1_11comp_targetILNS1_3genE5ELNS1_11target_archE942ELNS1_3gpuE9ELNS1_3repE0EEENS1_30default_config_static_selectorELNS0_4arch9wavefront6targetE1EEEvT1_,"axG",@progbits,_ZN7rocprim17ROCPRIM_400000_NS6detail17trampoline_kernelINS0_14default_configENS1_25partition_config_selectorILNS1_17partition_subalgoE8EiNS0_10empty_typeEbEEZZNS1_14partition_implILS5_8ELb0ES3_jPKiPS6_PKS6_NS0_5tupleIJPiS6_EEENSE_IJSB_SB_EEENS0_18inequality_wrapperIN6hipcub16HIPCUB_304000_NS8EqualityEEEPlJS6_EEE10hipError_tPvRmT3_T4_T5_T6_T7_T9_mT8_P12ihipStream_tbDpT10_ENKUlT_T0_E_clISt17integral_constantIbLb0EES17_EEDaS12_S13_EUlS12_E_NS1_11comp_targetILNS1_3genE5ELNS1_11target_archE942ELNS1_3gpuE9ELNS1_3repE0EEENS1_30default_config_static_selectorELNS0_4arch9wavefront6targetE1EEEvT1_,comdat
.Lfunc_end179:
	.size	_ZN7rocprim17ROCPRIM_400000_NS6detail17trampoline_kernelINS0_14default_configENS1_25partition_config_selectorILNS1_17partition_subalgoE8EiNS0_10empty_typeEbEEZZNS1_14partition_implILS5_8ELb0ES3_jPKiPS6_PKS6_NS0_5tupleIJPiS6_EEENSE_IJSB_SB_EEENS0_18inequality_wrapperIN6hipcub16HIPCUB_304000_NS8EqualityEEEPlJS6_EEE10hipError_tPvRmT3_T4_T5_T6_T7_T9_mT8_P12ihipStream_tbDpT10_ENKUlT_T0_E_clISt17integral_constantIbLb0EES17_EEDaS12_S13_EUlS12_E_NS1_11comp_targetILNS1_3genE5ELNS1_11target_archE942ELNS1_3gpuE9ELNS1_3repE0EEENS1_30default_config_static_selectorELNS0_4arch9wavefront6targetE1EEEvT1_, .Lfunc_end179-_ZN7rocprim17ROCPRIM_400000_NS6detail17trampoline_kernelINS0_14default_configENS1_25partition_config_selectorILNS1_17partition_subalgoE8EiNS0_10empty_typeEbEEZZNS1_14partition_implILS5_8ELb0ES3_jPKiPS6_PKS6_NS0_5tupleIJPiS6_EEENSE_IJSB_SB_EEENS0_18inequality_wrapperIN6hipcub16HIPCUB_304000_NS8EqualityEEEPlJS6_EEE10hipError_tPvRmT3_T4_T5_T6_T7_T9_mT8_P12ihipStream_tbDpT10_ENKUlT_T0_E_clISt17integral_constantIbLb0EES17_EEDaS12_S13_EUlS12_E_NS1_11comp_targetILNS1_3genE5ELNS1_11target_archE942ELNS1_3gpuE9ELNS1_3repE0EEENS1_30default_config_static_selectorELNS0_4arch9wavefront6targetE1EEEvT1_
                                        ; -- End function
	.set _ZN7rocprim17ROCPRIM_400000_NS6detail17trampoline_kernelINS0_14default_configENS1_25partition_config_selectorILNS1_17partition_subalgoE8EiNS0_10empty_typeEbEEZZNS1_14partition_implILS5_8ELb0ES3_jPKiPS6_PKS6_NS0_5tupleIJPiS6_EEENSE_IJSB_SB_EEENS0_18inequality_wrapperIN6hipcub16HIPCUB_304000_NS8EqualityEEEPlJS6_EEE10hipError_tPvRmT3_T4_T5_T6_T7_T9_mT8_P12ihipStream_tbDpT10_ENKUlT_T0_E_clISt17integral_constantIbLb0EES17_EEDaS12_S13_EUlS12_E_NS1_11comp_targetILNS1_3genE5ELNS1_11target_archE942ELNS1_3gpuE9ELNS1_3repE0EEENS1_30default_config_static_selectorELNS0_4arch9wavefront6targetE1EEEvT1_.num_vgpr, 0
	.set _ZN7rocprim17ROCPRIM_400000_NS6detail17trampoline_kernelINS0_14default_configENS1_25partition_config_selectorILNS1_17partition_subalgoE8EiNS0_10empty_typeEbEEZZNS1_14partition_implILS5_8ELb0ES3_jPKiPS6_PKS6_NS0_5tupleIJPiS6_EEENSE_IJSB_SB_EEENS0_18inequality_wrapperIN6hipcub16HIPCUB_304000_NS8EqualityEEEPlJS6_EEE10hipError_tPvRmT3_T4_T5_T6_T7_T9_mT8_P12ihipStream_tbDpT10_ENKUlT_T0_E_clISt17integral_constantIbLb0EES17_EEDaS12_S13_EUlS12_E_NS1_11comp_targetILNS1_3genE5ELNS1_11target_archE942ELNS1_3gpuE9ELNS1_3repE0EEENS1_30default_config_static_selectorELNS0_4arch9wavefront6targetE1EEEvT1_.num_agpr, 0
	.set _ZN7rocprim17ROCPRIM_400000_NS6detail17trampoline_kernelINS0_14default_configENS1_25partition_config_selectorILNS1_17partition_subalgoE8EiNS0_10empty_typeEbEEZZNS1_14partition_implILS5_8ELb0ES3_jPKiPS6_PKS6_NS0_5tupleIJPiS6_EEENSE_IJSB_SB_EEENS0_18inequality_wrapperIN6hipcub16HIPCUB_304000_NS8EqualityEEEPlJS6_EEE10hipError_tPvRmT3_T4_T5_T6_T7_T9_mT8_P12ihipStream_tbDpT10_ENKUlT_T0_E_clISt17integral_constantIbLb0EES17_EEDaS12_S13_EUlS12_E_NS1_11comp_targetILNS1_3genE5ELNS1_11target_archE942ELNS1_3gpuE9ELNS1_3repE0EEENS1_30default_config_static_selectorELNS0_4arch9wavefront6targetE1EEEvT1_.numbered_sgpr, 0
	.set _ZN7rocprim17ROCPRIM_400000_NS6detail17trampoline_kernelINS0_14default_configENS1_25partition_config_selectorILNS1_17partition_subalgoE8EiNS0_10empty_typeEbEEZZNS1_14partition_implILS5_8ELb0ES3_jPKiPS6_PKS6_NS0_5tupleIJPiS6_EEENSE_IJSB_SB_EEENS0_18inequality_wrapperIN6hipcub16HIPCUB_304000_NS8EqualityEEEPlJS6_EEE10hipError_tPvRmT3_T4_T5_T6_T7_T9_mT8_P12ihipStream_tbDpT10_ENKUlT_T0_E_clISt17integral_constantIbLb0EES17_EEDaS12_S13_EUlS12_E_NS1_11comp_targetILNS1_3genE5ELNS1_11target_archE942ELNS1_3gpuE9ELNS1_3repE0EEENS1_30default_config_static_selectorELNS0_4arch9wavefront6targetE1EEEvT1_.num_named_barrier, 0
	.set _ZN7rocprim17ROCPRIM_400000_NS6detail17trampoline_kernelINS0_14default_configENS1_25partition_config_selectorILNS1_17partition_subalgoE8EiNS0_10empty_typeEbEEZZNS1_14partition_implILS5_8ELb0ES3_jPKiPS6_PKS6_NS0_5tupleIJPiS6_EEENSE_IJSB_SB_EEENS0_18inequality_wrapperIN6hipcub16HIPCUB_304000_NS8EqualityEEEPlJS6_EEE10hipError_tPvRmT3_T4_T5_T6_T7_T9_mT8_P12ihipStream_tbDpT10_ENKUlT_T0_E_clISt17integral_constantIbLb0EES17_EEDaS12_S13_EUlS12_E_NS1_11comp_targetILNS1_3genE5ELNS1_11target_archE942ELNS1_3gpuE9ELNS1_3repE0EEENS1_30default_config_static_selectorELNS0_4arch9wavefront6targetE1EEEvT1_.private_seg_size, 0
	.set _ZN7rocprim17ROCPRIM_400000_NS6detail17trampoline_kernelINS0_14default_configENS1_25partition_config_selectorILNS1_17partition_subalgoE8EiNS0_10empty_typeEbEEZZNS1_14partition_implILS5_8ELb0ES3_jPKiPS6_PKS6_NS0_5tupleIJPiS6_EEENSE_IJSB_SB_EEENS0_18inequality_wrapperIN6hipcub16HIPCUB_304000_NS8EqualityEEEPlJS6_EEE10hipError_tPvRmT3_T4_T5_T6_T7_T9_mT8_P12ihipStream_tbDpT10_ENKUlT_T0_E_clISt17integral_constantIbLb0EES17_EEDaS12_S13_EUlS12_E_NS1_11comp_targetILNS1_3genE5ELNS1_11target_archE942ELNS1_3gpuE9ELNS1_3repE0EEENS1_30default_config_static_selectorELNS0_4arch9wavefront6targetE1EEEvT1_.uses_vcc, 0
	.set _ZN7rocprim17ROCPRIM_400000_NS6detail17trampoline_kernelINS0_14default_configENS1_25partition_config_selectorILNS1_17partition_subalgoE8EiNS0_10empty_typeEbEEZZNS1_14partition_implILS5_8ELb0ES3_jPKiPS6_PKS6_NS0_5tupleIJPiS6_EEENSE_IJSB_SB_EEENS0_18inequality_wrapperIN6hipcub16HIPCUB_304000_NS8EqualityEEEPlJS6_EEE10hipError_tPvRmT3_T4_T5_T6_T7_T9_mT8_P12ihipStream_tbDpT10_ENKUlT_T0_E_clISt17integral_constantIbLb0EES17_EEDaS12_S13_EUlS12_E_NS1_11comp_targetILNS1_3genE5ELNS1_11target_archE942ELNS1_3gpuE9ELNS1_3repE0EEENS1_30default_config_static_selectorELNS0_4arch9wavefront6targetE1EEEvT1_.uses_flat_scratch, 0
	.set _ZN7rocprim17ROCPRIM_400000_NS6detail17trampoline_kernelINS0_14default_configENS1_25partition_config_selectorILNS1_17partition_subalgoE8EiNS0_10empty_typeEbEEZZNS1_14partition_implILS5_8ELb0ES3_jPKiPS6_PKS6_NS0_5tupleIJPiS6_EEENSE_IJSB_SB_EEENS0_18inequality_wrapperIN6hipcub16HIPCUB_304000_NS8EqualityEEEPlJS6_EEE10hipError_tPvRmT3_T4_T5_T6_T7_T9_mT8_P12ihipStream_tbDpT10_ENKUlT_T0_E_clISt17integral_constantIbLb0EES17_EEDaS12_S13_EUlS12_E_NS1_11comp_targetILNS1_3genE5ELNS1_11target_archE942ELNS1_3gpuE9ELNS1_3repE0EEENS1_30default_config_static_selectorELNS0_4arch9wavefront6targetE1EEEvT1_.has_dyn_sized_stack, 0
	.set _ZN7rocprim17ROCPRIM_400000_NS6detail17trampoline_kernelINS0_14default_configENS1_25partition_config_selectorILNS1_17partition_subalgoE8EiNS0_10empty_typeEbEEZZNS1_14partition_implILS5_8ELb0ES3_jPKiPS6_PKS6_NS0_5tupleIJPiS6_EEENSE_IJSB_SB_EEENS0_18inequality_wrapperIN6hipcub16HIPCUB_304000_NS8EqualityEEEPlJS6_EEE10hipError_tPvRmT3_T4_T5_T6_T7_T9_mT8_P12ihipStream_tbDpT10_ENKUlT_T0_E_clISt17integral_constantIbLb0EES17_EEDaS12_S13_EUlS12_E_NS1_11comp_targetILNS1_3genE5ELNS1_11target_archE942ELNS1_3gpuE9ELNS1_3repE0EEENS1_30default_config_static_selectorELNS0_4arch9wavefront6targetE1EEEvT1_.has_recursion, 0
	.set _ZN7rocprim17ROCPRIM_400000_NS6detail17trampoline_kernelINS0_14default_configENS1_25partition_config_selectorILNS1_17partition_subalgoE8EiNS0_10empty_typeEbEEZZNS1_14partition_implILS5_8ELb0ES3_jPKiPS6_PKS6_NS0_5tupleIJPiS6_EEENSE_IJSB_SB_EEENS0_18inequality_wrapperIN6hipcub16HIPCUB_304000_NS8EqualityEEEPlJS6_EEE10hipError_tPvRmT3_T4_T5_T6_T7_T9_mT8_P12ihipStream_tbDpT10_ENKUlT_T0_E_clISt17integral_constantIbLb0EES17_EEDaS12_S13_EUlS12_E_NS1_11comp_targetILNS1_3genE5ELNS1_11target_archE942ELNS1_3gpuE9ELNS1_3repE0EEENS1_30default_config_static_selectorELNS0_4arch9wavefront6targetE1EEEvT1_.has_indirect_call, 0
	.section	.AMDGPU.csdata,"",@progbits
; Kernel info:
; codeLenInByte = 0
; TotalNumSgprs: 6
; NumVgprs: 0
; NumAgprs: 0
; TotalNumVgprs: 0
; ScratchSize: 0
; MemoryBound: 0
; FloatMode: 240
; IeeeMode: 1
; LDSByteSize: 0 bytes/workgroup (compile time only)
; SGPRBlocks: 0
; VGPRBlocks: 0
; NumSGPRsForWavesPerEU: 6
; NumVGPRsForWavesPerEU: 1
; AccumOffset: 4
; Occupancy: 8
; WaveLimiterHint : 0
; COMPUTE_PGM_RSRC2:SCRATCH_EN: 0
; COMPUTE_PGM_RSRC2:USER_SGPR: 2
; COMPUTE_PGM_RSRC2:TRAP_HANDLER: 0
; COMPUTE_PGM_RSRC2:TGID_X_EN: 1
; COMPUTE_PGM_RSRC2:TGID_Y_EN: 0
; COMPUTE_PGM_RSRC2:TGID_Z_EN: 0
; COMPUTE_PGM_RSRC2:TIDIG_COMP_CNT: 0
; COMPUTE_PGM_RSRC3_GFX90A:ACCUM_OFFSET: 0
; COMPUTE_PGM_RSRC3_GFX90A:TG_SPLIT: 0
	.section	.text._ZN7rocprim17ROCPRIM_400000_NS6detail17trampoline_kernelINS0_14default_configENS1_25partition_config_selectorILNS1_17partition_subalgoE8EiNS0_10empty_typeEbEEZZNS1_14partition_implILS5_8ELb0ES3_jPKiPS6_PKS6_NS0_5tupleIJPiS6_EEENSE_IJSB_SB_EEENS0_18inequality_wrapperIN6hipcub16HIPCUB_304000_NS8EqualityEEEPlJS6_EEE10hipError_tPvRmT3_T4_T5_T6_T7_T9_mT8_P12ihipStream_tbDpT10_ENKUlT_T0_E_clISt17integral_constantIbLb0EES17_EEDaS12_S13_EUlS12_E_NS1_11comp_targetILNS1_3genE4ELNS1_11target_archE910ELNS1_3gpuE8ELNS1_3repE0EEENS1_30default_config_static_selectorELNS0_4arch9wavefront6targetE1EEEvT1_,"axG",@progbits,_ZN7rocprim17ROCPRIM_400000_NS6detail17trampoline_kernelINS0_14default_configENS1_25partition_config_selectorILNS1_17partition_subalgoE8EiNS0_10empty_typeEbEEZZNS1_14partition_implILS5_8ELb0ES3_jPKiPS6_PKS6_NS0_5tupleIJPiS6_EEENSE_IJSB_SB_EEENS0_18inequality_wrapperIN6hipcub16HIPCUB_304000_NS8EqualityEEEPlJS6_EEE10hipError_tPvRmT3_T4_T5_T6_T7_T9_mT8_P12ihipStream_tbDpT10_ENKUlT_T0_E_clISt17integral_constantIbLb0EES17_EEDaS12_S13_EUlS12_E_NS1_11comp_targetILNS1_3genE4ELNS1_11target_archE910ELNS1_3gpuE8ELNS1_3repE0EEENS1_30default_config_static_selectorELNS0_4arch9wavefront6targetE1EEEvT1_,comdat
	.protected	_ZN7rocprim17ROCPRIM_400000_NS6detail17trampoline_kernelINS0_14default_configENS1_25partition_config_selectorILNS1_17partition_subalgoE8EiNS0_10empty_typeEbEEZZNS1_14partition_implILS5_8ELb0ES3_jPKiPS6_PKS6_NS0_5tupleIJPiS6_EEENSE_IJSB_SB_EEENS0_18inequality_wrapperIN6hipcub16HIPCUB_304000_NS8EqualityEEEPlJS6_EEE10hipError_tPvRmT3_T4_T5_T6_T7_T9_mT8_P12ihipStream_tbDpT10_ENKUlT_T0_E_clISt17integral_constantIbLb0EES17_EEDaS12_S13_EUlS12_E_NS1_11comp_targetILNS1_3genE4ELNS1_11target_archE910ELNS1_3gpuE8ELNS1_3repE0EEENS1_30default_config_static_selectorELNS0_4arch9wavefront6targetE1EEEvT1_ ; -- Begin function _ZN7rocprim17ROCPRIM_400000_NS6detail17trampoline_kernelINS0_14default_configENS1_25partition_config_selectorILNS1_17partition_subalgoE8EiNS0_10empty_typeEbEEZZNS1_14partition_implILS5_8ELb0ES3_jPKiPS6_PKS6_NS0_5tupleIJPiS6_EEENSE_IJSB_SB_EEENS0_18inequality_wrapperIN6hipcub16HIPCUB_304000_NS8EqualityEEEPlJS6_EEE10hipError_tPvRmT3_T4_T5_T6_T7_T9_mT8_P12ihipStream_tbDpT10_ENKUlT_T0_E_clISt17integral_constantIbLb0EES17_EEDaS12_S13_EUlS12_E_NS1_11comp_targetILNS1_3genE4ELNS1_11target_archE910ELNS1_3gpuE8ELNS1_3repE0EEENS1_30default_config_static_selectorELNS0_4arch9wavefront6targetE1EEEvT1_
	.globl	_ZN7rocprim17ROCPRIM_400000_NS6detail17trampoline_kernelINS0_14default_configENS1_25partition_config_selectorILNS1_17partition_subalgoE8EiNS0_10empty_typeEbEEZZNS1_14partition_implILS5_8ELb0ES3_jPKiPS6_PKS6_NS0_5tupleIJPiS6_EEENSE_IJSB_SB_EEENS0_18inequality_wrapperIN6hipcub16HIPCUB_304000_NS8EqualityEEEPlJS6_EEE10hipError_tPvRmT3_T4_T5_T6_T7_T9_mT8_P12ihipStream_tbDpT10_ENKUlT_T0_E_clISt17integral_constantIbLb0EES17_EEDaS12_S13_EUlS12_E_NS1_11comp_targetILNS1_3genE4ELNS1_11target_archE910ELNS1_3gpuE8ELNS1_3repE0EEENS1_30default_config_static_selectorELNS0_4arch9wavefront6targetE1EEEvT1_
	.p2align	8
	.type	_ZN7rocprim17ROCPRIM_400000_NS6detail17trampoline_kernelINS0_14default_configENS1_25partition_config_selectorILNS1_17partition_subalgoE8EiNS0_10empty_typeEbEEZZNS1_14partition_implILS5_8ELb0ES3_jPKiPS6_PKS6_NS0_5tupleIJPiS6_EEENSE_IJSB_SB_EEENS0_18inequality_wrapperIN6hipcub16HIPCUB_304000_NS8EqualityEEEPlJS6_EEE10hipError_tPvRmT3_T4_T5_T6_T7_T9_mT8_P12ihipStream_tbDpT10_ENKUlT_T0_E_clISt17integral_constantIbLb0EES17_EEDaS12_S13_EUlS12_E_NS1_11comp_targetILNS1_3genE4ELNS1_11target_archE910ELNS1_3gpuE8ELNS1_3repE0EEENS1_30default_config_static_selectorELNS0_4arch9wavefront6targetE1EEEvT1_,@function
_ZN7rocprim17ROCPRIM_400000_NS6detail17trampoline_kernelINS0_14default_configENS1_25partition_config_selectorILNS1_17partition_subalgoE8EiNS0_10empty_typeEbEEZZNS1_14partition_implILS5_8ELb0ES3_jPKiPS6_PKS6_NS0_5tupleIJPiS6_EEENSE_IJSB_SB_EEENS0_18inequality_wrapperIN6hipcub16HIPCUB_304000_NS8EqualityEEEPlJS6_EEE10hipError_tPvRmT3_T4_T5_T6_T7_T9_mT8_P12ihipStream_tbDpT10_ENKUlT_T0_E_clISt17integral_constantIbLb0EES17_EEDaS12_S13_EUlS12_E_NS1_11comp_targetILNS1_3genE4ELNS1_11target_archE910ELNS1_3gpuE8ELNS1_3repE0EEENS1_30default_config_static_selectorELNS0_4arch9wavefront6targetE1EEEvT1_: ; @_ZN7rocprim17ROCPRIM_400000_NS6detail17trampoline_kernelINS0_14default_configENS1_25partition_config_selectorILNS1_17partition_subalgoE8EiNS0_10empty_typeEbEEZZNS1_14partition_implILS5_8ELb0ES3_jPKiPS6_PKS6_NS0_5tupleIJPiS6_EEENSE_IJSB_SB_EEENS0_18inequality_wrapperIN6hipcub16HIPCUB_304000_NS8EqualityEEEPlJS6_EEE10hipError_tPvRmT3_T4_T5_T6_T7_T9_mT8_P12ihipStream_tbDpT10_ENKUlT_T0_E_clISt17integral_constantIbLb0EES17_EEDaS12_S13_EUlS12_E_NS1_11comp_targetILNS1_3genE4ELNS1_11target_archE910ELNS1_3gpuE8ELNS1_3repE0EEENS1_30default_config_static_selectorELNS0_4arch9wavefront6targetE1EEEvT1_
; %bb.0:
	.section	.rodata,"a",@progbits
	.p2align	6, 0x0
	.amdhsa_kernel _ZN7rocprim17ROCPRIM_400000_NS6detail17trampoline_kernelINS0_14default_configENS1_25partition_config_selectorILNS1_17partition_subalgoE8EiNS0_10empty_typeEbEEZZNS1_14partition_implILS5_8ELb0ES3_jPKiPS6_PKS6_NS0_5tupleIJPiS6_EEENSE_IJSB_SB_EEENS0_18inequality_wrapperIN6hipcub16HIPCUB_304000_NS8EqualityEEEPlJS6_EEE10hipError_tPvRmT3_T4_T5_T6_T7_T9_mT8_P12ihipStream_tbDpT10_ENKUlT_T0_E_clISt17integral_constantIbLb0EES17_EEDaS12_S13_EUlS12_E_NS1_11comp_targetILNS1_3genE4ELNS1_11target_archE910ELNS1_3gpuE8ELNS1_3repE0EEENS1_30default_config_static_selectorELNS0_4arch9wavefront6targetE1EEEvT1_
		.amdhsa_group_segment_fixed_size 0
		.amdhsa_private_segment_fixed_size 0
		.amdhsa_kernarg_size 112
		.amdhsa_user_sgpr_count 2
		.amdhsa_user_sgpr_dispatch_ptr 0
		.amdhsa_user_sgpr_queue_ptr 0
		.amdhsa_user_sgpr_kernarg_segment_ptr 1
		.amdhsa_user_sgpr_dispatch_id 0
		.amdhsa_user_sgpr_kernarg_preload_length 0
		.amdhsa_user_sgpr_kernarg_preload_offset 0
		.amdhsa_user_sgpr_private_segment_size 0
		.amdhsa_uses_dynamic_stack 0
		.amdhsa_enable_private_segment 0
		.amdhsa_system_sgpr_workgroup_id_x 1
		.amdhsa_system_sgpr_workgroup_id_y 0
		.amdhsa_system_sgpr_workgroup_id_z 0
		.amdhsa_system_sgpr_workgroup_info 0
		.amdhsa_system_vgpr_workitem_id 0
		.amdhsa_next_free_vgpr 1
		.amdhsa_next_free_sgpr 0
		.amdhsa_accum_offset 4
		.amdhsa_reserve_vcc 0
		.amdhsa_float_round_mode_32 0
		.amdhsa_float_round_mode_16_64 0
		.amdhsa_float_denorm_mode_32 3
		.amdhsa_float_denorm_mode_16_64 3
		.amdhsa_dx10_clamp 1
		.amdhsa_ieee_mode 1
		.amdhsa_fp16_overflow 0
		.amdhsa_tg_split 0
		.amdhsa_exception_fp_ieee_invalid_op 0
		.amdhsa_exception_fp_denorm_src 0
		.amdhsa_exception_fp_ieee_div_zero 0
		.amdhsa_exception_fp_ieee_overflow 0
		.amdhsa_exception_fp_ieee_underflow 0
		.amdhsa_exception_fp_ieee_inexact 0
		.amdhsa_exception_int_div_zero 0
	.end_amdhsa_kernel
	.section	.text._ZN7rocprim17ROCPRIM_400000_NS6detail17trampoline_kernelINS0_14default_configENS1_25partition_config_selectorILNS1_17partition_subalgoE8EiNS0_10empty_typeEbEEZZNS1_14partition_implILS5_8ELb0ES3_jPKiPS6_PKS6_NS0_5tupleIJPiS6_EEENSE_IJSB_SB_EEENS0_18inequality_wrapperIN6hipcub16HIPCUB_304000_NS8EqualityEEEPlJS6_EEE10hipError_tPvRmT3_T4_T5_T6_T7_T9_mT8_P12ihipStream_tbDpT10_ENKUlT_T0_E_clISt17integral_constantIbLb0EES17_EEDaS12_S13_EUlS12_E_NS1_11comp_targetILNS1_3genE4ELNS1_11target_archE910ELNS1_3gpuE8ELNS1_3repE0EEENS1_30default_config_static_selectorELNS0_4arch9wavefront6targetE1EEEvT1_,"axG",@progbits,_ZN7rocprim17ROCPRIM_400000_NS6detail17trampoline_kernelINS0_14default_configENS1_25partition_config_selectorILNS1_17partition_subalgoE8EiNS0_10empty_typeEbEEZZNS1_14partition_implILS5_8ELb0ES3_jPKiPS6_PKS6_NS0_5tupleIJPiS6_EEENSE_IJSB_SB_EEENS0_18inequality_wrapperIN6hipcub16HIPCUB_304000_NS8EqualityEEEPlJS6_EEE10hipError_tPvRmT3_T4_T5_T6_T7_T9_mT8_P12ihipStream_tbDpT10_ENKUlT_T0_E_clISt17integral_constantIbLb0EES17_EEDaS12_S13_EUlS12_E_NS1_11comp_targetILNS1_3genE4ELNS1_11target_archE910ELNS1_3gpuE8ELNS1_3repE0EEENS1_30default_config_static_selectorELNS0_4arch9wavefront6targetE1EEEvT1_,comdat
.Lfunc_end180:
	.size	_ZN7rocprim17ROCPRIM_400000_NS6detail17trampoline_kernelINS0_14default_configENS1_25partition_config_selectorILNS1_17partition_subalgoE8EiNS0_10empty_typeEbEEZZNS1_14partition_implILS5_8ELb0ES3_jPKiPS6_PKS6_NS0_5tupleIJPiS6_EEENSE_IJSB_SB_EEENS0_18inequality_wrapperIN6hipcub16HIPCUB_304000_NS8EqualityEEEPlJS6_EEE10hipError_tPvRmT3_T4_T5_T6_T7_T9_mT8_P12ihipStream_tbDpT10_ENKUlT_T0_E_clISt17integral_constantIbLb0EES17_EEDaS12_S13_EUlS12_E_NS1_11comp_targetILNS1_3genE4ELNS1_11target_archE910ELNS1_3gpuE8ELNS1_3repE0EEENS1_30default_config_static_selectorELNS0_4arch9wavefront6targetE1EEEvT1_, .Lfunc_end180-_ZN7rocprim17ROCPRIM_400000_NS6detail17trampoline_kernelINS0_14default_configENS1_25partition_config_selectorILNS1_17partition_subalgoE8EiNS0_10empty_typeEbEEZZNS1_14partition_implILS5_8ELb0ES3_jPKiPS6_PKS6_NS0_5tupleIJPiS6_EEENSE_IJSB_SB_EEENS0_18inequality_wrapperIN6hipcub16HIPCUB_304000_NS8EqualityEEEPlJS6_EEE10hipError_tPvRmT3_T4_T5_T6_T7_T9_mT8_P12ihipStream_tbDpT10_ENKUlT_T0_E_clISt17integral_constantIbLb0EES17_EEDaS12_S13_EUlS12_E_NS1_11comp_targetILNS1_3genE4ELNS1_11target_archE910ELNS1_3gpuE8ELNS1_3repE0EEENS1_30default_config_static_selectorELNS0_4arch9wavefront6targetE1EEEvT1_
                                        ; -- End function
	.set _ZN7rocprim17ROCPRIM_400000_NS6detail17trampoline_kernelINS0_14default_configENS1_25partition_config_selectorILNS1_17partition_subalgoE8EiNS0_10empty_typeEbEEZZNS1_14partition_implILS5_8ELb0ES3_jPKiPS6_PKS6_NS0_5tupleIJPiS6_EEENSE_IJSB_SB_EEENS0_18inequality_wrapperIN6hipcub16HIPCUB_304000_NS8EqualityEEEPlJS6_EEE10hipError_tPvRmT3_T4_T5_T6_T7_T9_mT8_P12ihipStream_tbDpT10_ENKUlT_T0_E_clISt17integral_constantIbLb0EES17_EEDaS12_S13_EUlS12_E_NS1_11comp_targetILNS1_3genE4ELNS1_11target_archE910ELNS1_3gpuE8ELNS1_3repE0EEENS1_30default_config_static_selectorELNS0_4arch9wavefront6targetE1EEEvT1_.num_vgpr, 0
	.set _ZN7rocprim17ROCPRIM_400000_NS6detail17trampoline_kernelINS0_14default_configENS1_25partition_config_selectorILNS1_17partition_subalgoE8EiNS0_10empty_typeEbEEZZNS1_14partition_implILS5_8ELb0ES3_jPKiPS6_PKS6_NS0_5tupleIJPiS6_EEENSE_IJSB_SB_EEENS0_18inequality_wrapperIN6hipcub16HIPCUB_304000_NS8EqualityEEEPlJS6_EEE10hipError_tPvRmT3_T4_T5_T6_T7_T9_mT8_P12ihipStream_tbDpT10_ENKUlT_T0_E_clISt17integral_constantIbLb0EES17_EEDaS12_S13_EUlS12_E_NS1_11comp_targetILNS1_3genE4ELNS1_11target_archE910ELNS1_3gpuE8ELNS1_3repE0EEENS1_30default_config_static_selectorELNS0_4arch9wavefront6targetE1EEEvT1_.num_agpr, 0
	.set _ZN7rocprim17ROCPRIM_400000_NS6detail17trampoline_kernelINS0_14default_configENS1_25partition_config_selectorILNS1_17partition_subalgoE8EiNS0_10empty_typeEbEEZZNS1_14partition_implILS5_8ELb0ES3_jPKiPS6_PKS6_NS0_5tupleIJPiS6_EEENSE_IJSB_SB_EEENS0_18inequality_wrapperIN6hipcub16HIPCUB_304000_NS8EqualityEEEPlJS6_EEE10hipError_tPvRmT3_T4_T5_T6_T7_T9_mT8_P12ihipStream_tbDpT10_ENKUlT_T0_E_clISt17integral_constantIbLb0EES17_EEDaS12_S13_EUlS12_E_NS1_11comp_targetILNS1_3genE4ELNS1_11target_archE910ELNS1_3gpuE8ELNS1_3repE0EEENS1_30default_config_static_selectorELNS0_4arch9wavefront6targetE1EEEvT1_.numbered_sgpr, 0
	.set _ZN7rocprim17ROCPRIM_400000_NS6detail17trampoline_kernelINS0_14default_configENS1_25partition_config_selectorILNS1_17partition_subalgoE8EiNS0_10empty_typeEbEEZZNS1_14partition_implILS5_8ELb0ES3_jPKiPS6_PKS6_NS0_5tupleIJPiS6_EEENSE_IJSB_SB_EEENS0_18inequality_wrapperIN6hipcub16HIPCUB_304000_NS8EqualityEEEPlJS6_EEE10hipError_tPvRmT3_T4_T5_T6_T7_T9_mT8_P12ihipStream_tbDpT10_ENKUlT_T0_E_clISt17integral_constantIbLb0EES17_EEDaS12_S13_EUlS12_E_NS1_11comp_targetILNS1_3genE4ELNS1_11target_archE910ELNS1_3gpuE8ELNS1_3repE0EEENS1_30default_config_static_selectorELNS0_4arch9wavefront6targetE1EEEvT1_.num_named_barrier, 0
	.set _ZN7rocprim17ROCPRIM_400000_NS6detail17trampoline_kernelINS0_14default_configENS1_25partition_config_selectorILNS1_17partition_subalgoE8EiNS0_10empty_typeEbEEZZNS1_14partition_implILS5_8ELb0ES3_jPKiPS6_PKS6_NS0_5tupleIJPiS6_EEENSE_IJSB_SB_EEENS0_18inequality_wrapperIN6hipcub16HIPCUB_304000_NS8EqualityEEEPlJS6_EEE10hipError_tPvRmT3_T4_T5_T6_T7_T9_mT8_P12ihipStream_tbDpT10_ENKUlT_T0_E_clISt17integral_constantIbLb0EES17_EEDaS12_S13_EUlS12_E_NS1_11comp_targetILNS1_3genE4ELNS1_11target_archE910ELNS1_3gpuE8ELNS1_3repE0EEENS1_30default_config_static_selectorELNS0_4arch9wavefront6targetE1EEEvT1_.private_seg_size, 0
	.set _ZN7rocprim17ROCPRIM_400000_NS6detail17trampoline_kernelINS0_14default_configENS1_25partition_config_selectorILNS1_17partition_subalgoE8EiNS0_10empty_typeEbEEZZNS1_14partition_implILS5_8ELb0ES3_jPKiPS6_PKS6_NS0_5tupleIJPiS6_EEENSE_IJSB_SB_EEENS0_18inequality_wrapperIN6hipcub16HIPCUB_304000_NS8EqualityEEEPlJS6_EEE10hipError_tPvRmT3_T4_T5_T6_T7_T9_mT8_P12ihipStream_tbDpT10_ENKUlT_T0_E_clISt17integral_constantIbLb0EES17_EEDaS12_S13_EUlS12_E_NS1_11comp_targetILNS1_3genE4ELNS1_11target_archE910ELNS1_3gpuE8ELNS1_3repE0EEENS1_30default_config_static_selectorELNS0_4arch9wavefront6targetE1EEEvT1_.uses_vcc, 0
	.set _ZN7rocprim17ROCPRIM_400000_NS6detail17trampoline_kernelINS0_14default_configENS1_25partition_config_selectorILNS1_17partition_subalgoE8EiNS0_10empty_typeEbEEZZNS1_14partition_implILS5_8ELb0ES3_jPKiPS6_PKS6_NS0_5tupleIJPiS6_EEENSE_IJSB_SB_EEENS0_18inequality_wrapperIN6hipcub16HIPCUB_304000_NS8EqualityEEEPlJS6_EEE10hipError_tPvRmT3_T4_T5_T6_T7_T9_mT8_P12ihipStream_tbDpT10_ENKUlT_T0_E_clISt17integral_constantIbLb0EES17_EEDaS12_S13_EUlS12_E_NS1_11comp_targetILNS1_3genE4ELNS1_11target_archE910ELNS1_3gpuE8ELNS1_3repE0EEENS1_30default_config_static_selectorELNS0_4arch9wavefront6targetE1EEEvT1_.uses_flat_scratch, 0
	.set _ZN7rocprim17ROCPRIM_400000_NS6detail17trampoline_kernelINS0_14default_configENS1_25partition_config_selectorILNS1_17partition_subalgoE8EiNS0_10empty_typeEbEEZZNS1_14partition_implILS5_8ELb0ES3_jPKiPS6_PKS6_NS0_5tupleIJPiS6_EEENSE_IJSB_SB_EEENS0_18inequality_wrapperIN6hipcub16HIPCUB_304000_NS8EqualityEEEPlJS6_EEE10hipError_tPvRmT3_T4_T5_T6_T7_T9_mT8_P12ihipStream_tbDpT10_ENKUlT_T0_E_clISt17integral_constantIbLb0EES17_EEDaS12_S13_EUlS12_E_NS1_11comp_targetILNS1_3genE4ELNS1_11target_archE910ELNS1_3gpuE8ELNS1_3repE0EEENS1_30default_config_static_selectorELNS0_4arch9wavefront6targetE1EEEvT1_.has_dyn_sized_stack, 0
	.set _ZN7rocprim17ROCPRIM_400000_NS6detail17trampoline_kernelINS0_14default_configENS1_25partition_config_selectorILNS1_17partition_subalgoE8EiNS0_10empty_typeEbEEZZNS1_14partition_implILS5_8ELb0ES3_jPKiPS6_PKS6_NS0_5tupleIJPiS6_EEENSE_IJSB_SB_EEENS0_18inequality_wrapperIN6hipcub16HIPCUB_304000_NS8EqualityEEEPlJS6_EEE10hipError_tPvRmT3_T4_T5_T6_T7_T9_mT8_P12ihipStream_tbDpT10_ENKUlT_T0_E_clISt17integral_constantIbLb0EES17_EEDaS12_S13_EUlS12_E_NS1_11comp_targetILNS1_3genE4ELNS1_11target_archE910ELNS1_3gpuE8ELNS1_3repE0EEENS1_30default_config_static_selectorELNS0_4arch9wavefront6targetE1EEEvT1_.has_recursion, 0
	.set _ZN7rocprim17ROCPRIM_400000_NS6detail17trampoline_kernelINS0_14default_configENS1_25partition_config_selectorILNS1_17partition_subalgoE8EiNS0_10empty_typeEbEEZZNS1_14partition_implILS5_8ELb0ES3_jPKiPS6_PKS6_NS0_5tupleIJPiS6_EEENSE_IJSB_SB_EEENS0_18inequality_wrapperIN6hipcub16HIPCUB_304000_NS8EqualityEEEPlJS6_EEE10hipError_tPvRmT3_T4_T5_T6_T7_T9_mT8_P12ihipStream_tbDpT10_ENKUlT_T0_E_clISt17integral_constantIbLb0EES17_EEDaS12_S13_EUlS12_E_NS1_11comp_targetILNS1_3genE4ELNS1_11target_archE910ELNS1_3gpuE8ELNS1_3repE0EEENS1_30default_config_static_selectorELNS0_4arch9wavefront6targetE1EEEvT1_.has_indirect_call, 0
	.section	.AMDGPU.csdata,"",@progbits
; Kernel info:
; codeLenInByte = 0
; TotalNumSgprs: 6
; NumVgprs: 0
; NumAgprs: 0
; TotalNumVgprs: 0
; ScratchSize: 0
; MemoryBound: 0
; FloatMode: 240
; IeeeMode: 1
; LDSByteSize: 0 bytes/workgroup (compile time only)
; SGPRBlocks: 0
; VGPRBlocks: 0
; NumSGPRsForWavesPerEU: 6
; NumVGPRsForWavesPerEU: 1
; AccumOffset: 4
; Occupancy: 8
; WaveLimiterHint : 0
; COMPUTE_PGM_RSRC2:SCRATCH_EN: 0
; COMPUTE_PGM_RSRC2:USER_SGPR: 2
; COMPUTE_PGM_RSRC2:TRAP_HANDLER: 0
; COMPUTE_PGM_RSRC2:TGID_X_EN: 1
; COMPUTE_PGM_RSRC2:TGID_Y_EN: 0
; COMPUTE_PGM_RSRC2:TGID_Z_EN: 0
; COMPUTE_PGM_RSRC2:TIDIG_COMP_CNT: 0
; COMPUTE_PGM_RSRC3_GFX90A:ACCUM_OFFSET: 0
; COMPUTE_PGM_RSRC3_GFX90A:TG_SPLIT: 0
	.section	.text._ZN7rocprim17ROCPRIM_400000_NS6detail17trampoline_kernelINS0_14default_configENS1_25partition_config_selectorILNS1_17partition_subalgoE8EiNS0_10empty_typeEbEEZZNS1_14partition_implILS5_8ELb0ES3_jPKiPS6_PKS6_NS0_5tupleIJPiS6_EEENSE_IJSB_SB_EEENS0_18inequality_wrapperIN6hipcub16HIPCUB_304000_NS8EqualityEEEPlJS6_EEE10hipError_tPvRmT3_T4_T5_T6_T7_T9_mT8_P12ihipStream_tbDpT10_ENKUlT_T0_E_clISt17integral_constantIbLb0EES17_EEDaS12_S13_EUlS12_E_NS1_11comp_targetILNS1_3genE3ELNS1_11target_archE908ELNS1_3gpuE7ELNS1_3repE0EEENS1_30default_config_static_selectorELNS0_4arch9wavefront6targetE1EEEvT1_,"axG",@progbits,_ZN7rocprim17ROCPRIM_400000_NS6detail17trampoline_kernelINS0_14default_configENS1_25partition_config_selectorILNS1_17partition_subalgoE8EiNS0_10empty_typeEbEEZZNS1_14partition_implILS5_8ELb0ES3_jPKiPS6_PKS6_NS0_5tupleIJPiS6_EEENSE_IJSB_SB_EEENS0_18inequality_wrapperIN6hipcub16HIPCUB_304000_NS8EqualityEEEPlJS6_EEE10hipError_tPvRmT3_T4_T5_T6_T7_T9_mT8_P12ihipStream_tbDpT10_ENKUlT_T0_E_clISt17integral_constantIbLb0EES17_EEDaS12_S13_EUlS12_E_NS1_11comp_targetILNS1_3genE3ELNS1_11target_archE908ELNS1_3gpuE7ELNS1_3repE0EEENS1_30default_config_static_selectorELNS0_4arch9wavefront6targetE1EEEvT1_,comdat
	.protected	_ZN7rocprim17ROCPRIM_400000_NS6detail17trampoline_kernelINS0_14default_configENS1_25partition_config_selectorILNS1_17partition_subalgoE8EiNS0_10empty_typeEbEEZZNS1_14partition_implILS5_8ELb0ES3_jPKiPS6_PKS6_NS0_5tupleIJPiS6_EEENSE_IJSB_SB_EEENS0_18inequality_wrapperIN6hipcub16HIPCUB_304000_NS8EqualityEEEPlJS6_EEE10hipError_tPvRmT3_T4_T5_T6_T7_T9_mT8_P12ihipStream_tbDpT10_ENKUlT_T0_E_clISt17integral_constantIbLb0EES17_EEDaS12_S13_EUlS12_E_NS1_11comp_targetILNS1_3genE3ELNS1_11target_archE908ELNS1_3gpuE7ELNS1_3repE0EEENS1_30default_config_static_selectorELNS0_4arch9wavefront6targetE1EEEvT1_ ; -- Begin function _ZN7rocprim17ROCPRIM_400000_NS6detail17trampoline_kernelINS0_14default_configENS1_25partition_config_selectorILNS1_17partition_subalgoE8EiNS0_10empty_typeEbEEZZNS1_14partition_implILS5_8ELb0ES3_jPKiPS6_PKS6_NS0_5tupleIJPiS6_EEENSE_IJSB_SB_EEENS0_18inequality_wrapperIN6hipcub16HIPCUB_304000_NS8EqualityEEEPlJS6_EEE10hipError_tPvRmT3_T4_T5_T6_T7_T9_mT8_P12ihipStream_tbDpT10_ENKUlT_T0_E_clISt17integral_constantIbLb0EES17_EEDaS12_S13_EUlS12_E_NS1_11comp_targetILNS1_3genE3ELNS1_11target_archE908ELNS1_3gpuE7ELNS1_3repE0EEENS1_30default_config_static_selectorELNS0_4arch9wavefront6targetE1EEEvT1_
	.globl	_ZN7rocprim17ROCPRIM_400000_NS6detail17trampoline_kernelINS0_14default_configENS1_25partition_config_selectorILNS1_17partition_subalgoE8EiNS0_10empty_typeEbEEZZNS1_14partition_implILS5_8ELb0ES3_jPKiPS6_PKS6_NS0_5tupleIJPiS6_EEENSE_IJSB_SB_EEENS0_18inequality_wrapperIN6hipcub16HIPCUB_304000_NS8EqualityEEEPlJS6_EEE10hipError_tPvRmT3_T4_T5_T6_T7_T9_mT8_P12ihipStream_tbDpT10_ENKUlT_T0_E_clISt17integral_constantIbLb0EES17_EEDaS12_S13_EUlS12_E_NS1_11comp_targetILNS1_3genE3ELNS1_11target_archE908ELNS1_3gpuE7ELNS1_3repE0EEENS1_30default_config_static_selectorELNS0_4arch9wavefront6targetE1EEEvT1_
	.p2align	8
	.type	_ZN7rocprim17ROCPRIM_400000_NS6detail17trampoline_kernelINS0_14default_configENS1_25partition_config_selectorILNS1_17partition_subalgoE8EiNS0_10empty_typeEbEEZZNS1_14partition_implILS5_8ELb0ES3_jPKiPS6_PKS6_NS0_5tupleIJPiS6_EEENSE_IJSB_SB_EEENS0_18inequality_wrapperIN6hipcub16HIPCUB_304000_NS8EqualityEEEPlJS6_EEE10hipError_tPvRmT3_T4_T5_T6_T7_T9_mT8_P12ihipStream_tbDpT10_ENKUlT_T0_E_clISt17integral_constantIbLb0EES17_EEDaS12_S13_EUlS12_E_NS1_11comp_targetILNS1_3genE3ELNS1_11target_archE908ELNS1_3gpuE7ELNS1_3repE0EEENS1_30default_config_static_selectorELNS0_4arch9wavefront6targetE1EEEvT1_,@function
_ZN7rocprim17ROCPRIM_400000_NS6detail17trampoline_kernelINS0_14default_configENS1_25partition_config_selectorILNS1_17partition_subalgoE8EiNS0_10empty_typeEbEEZZNS1_14partition_implILS5_8ELb0ES3_jPKiPS6_PKS6_NS0_5tupleIJPiS6_EEENSE_IJSB_SB_EEENS0_18inequality_wrapperIN6hipcub16HIPCUB_304000_NS8EqualityEEEPlJS6_EEE10hipError_tPvRmT3_T4_T5_T6_T7_T9_mT8_P12ihipStream_tbDpT10_ENKUlT_T0_E_clISt17integral_constantIbLb0EES17_EEDaS12_S13_EUlS12_E_NS1_11comp_targetILNS1_3genE3ELNS1_11target_archE908ELNS1_3gpuE7ELNS1_3repE0EEENS1_30default_config_static_selectorELNS0_4arch9wavefront6targetE1EEEvT1_: ; @_ZN7rocprim17ROCPRIM_400000_NS6detail17trampoline_kernelINS0_14default_configENS1_25partition_config_selectorILNS1_17partition_subalgoE8EiNS0_10empty_typeEbEEZZNS1_14partition_implILS5_8ELb0ES3_jPKiPS6_PKS6_NS0_5tupleIJPiS6_EEENSE_IJSB_SB_EEENS0_18inequality_wrapperIN6hipcub16HIPCUB_304000_NS8EqualityEEEPlJS6_EEE10hipError_tPvRmT3_T4_T5_T6_T7_T9_mT8_P12ihipStream_tbDpT10_ENKUlT_T0_E_clISt17integral_constantIbLb0EES17_EEDaS12_S13_EUlS12_E_NS1_11comp_targetILNS1_3genE3ELNS1_11target_archE908ELNS1_3gpuE7ELNS1_3repE0EEENS1_30default_config_static_selectorELNS0_4arch9wavefront6targetE1EEEvT1_
; %bb.0:
	.section	.rodata,"a",@progbits
	.p2align	6, 0x0
	.amdhsa_kernel _ZN7rocprim17ROCPRIM_400000_NS6detail17trampoline_kernelINS0_14default_configENS1_25partition_config_selectorILNS1_17partition_subalgoE8EiNS0_10empty_typeEbEEZZNS1_14partition_implILS5_8ELb0ES3_jPKiPS6_PKS6_NS0_5tupleIJPiS6_EEENSE_IJSB_SB_EEENS0_18inequality_wrapperIN6hipcub16HIPCUB_304000_NS8EqualityEEEPlJS6_EEE10hipError_tPvRmT3_T4_T5_T6_T7_T9_mT8_P12ihipStream_tbDpT10_ENKUlT_T0_E_clISt17integral_constantIbLb0EES17_EEDaS12_S13_EUlS12_E_NS1_11comp_targetILNS1_3genE3ELNS1_11target_archE908ELNS1_3gpuE7ELNS1_3repE0EEENS1_30default_config_static_selectorELNS0_4arch9wavefront6targetE1EEEvT1_
		.amdhsa_group_segment_fixed_size 0
		.amdhsa_private_segment_fixed_size 0
		.amdhsa_kernarg_size 112
		.amdhsa_user_sgpr_count 2
		.amdhsa_user_sgpr_dispatch_ptr 0
		.amdhsa_user_sgpr_queue_ptr 0
		.amdhsa_user_sgpr_kernarg_segment_ptr 1
		.amdhsa_user_sgpr_dispatch_id 0
		.amdhsa_user_sgpr_kernarg_preload_length 0
		.amdhsa_user_sgpr_kernarg_preload_offset 0
		.amdhsa_user_sgpr_private_segment_size 0
		.amdhsa_uses_dynamic_stack 0
		.amdhsa_enable_private_segment 0
		.amdhsa_system_sgpr_workgroup_id_x 1
		.amdhsa_system_sgpr_workgroup_id_y 0
		.amdhsa_system_sgpr_workgroup_id_z 0
		.amdhsa_system_sgpr_workgroup_info 0
		.amdhsa_system_vgpr_workitem_id 0
		.amdhsa_next_free_vgpr 1
		.amdhsa_next_free_sgpr 0
		.amdhsa_accum_offset 4
		.amdhsa_reserve_vcc 0
		.amdhsa_float_round_mode_32 0
		.amdhsa_float_round_mode_16_64 0
		.amdhsa_float_denorm_mode_32 3
		.amdhsa_float_denorm_mode_16_64 3
		.amdhsa_dx10_clamp 1
		.amdhsa_ieee_mode 1
		.amdhsa_fp16_overflow 0
		.amdhsa_tg_split 0
		.amdhsa_exception_fp_ieee_invalid_op 0
		.amdhsa_exception_fp_denorm_src 0
		.amdhsa_exception_fp_ieee_div_zero 0
		.amdhsa_exception_fp_ieee_overflow 0
		.amdhsa_exception_fp_ieee_underflow 0
		.amdhsa_exception_fp_ieee_inexact 0
		.amdhsa_exception_int_div_zero 0
	.end_amdhsa_kernel
	.section	.text._ZN7rocprim17ROCPRIM_400000_NS6detail17trampoline_kernelINS0_14default_configENS1_25partition_config_selectorILNS1_17partition_subalgoE8EiNS0_10empty_typeEbEEZZNS1_14partition_implILS5_8ELb0ES3_jPKiPS6_PKS6_NS0_5tupleIJPiS6_EEENSE_IJSB_SB_EEENS0_18inequality_wrapperIN6hipcub16HIPCUB_304000_NS8EqualityEEEPlJS6_EEE10hipError_tPvRmT3_T4_T5_T6_T7_T9_mT8_P12ihipStream_tbDpT10_ENKUlT_T0_E_clISt17integral_constantIbLb0EES17_EEDaS12_S13_EUlS12_E_NS1_11comp_targetILNS1_3genE3ELNS1_11target_archE908ELNS1_3gpuE7ELNS1_3repE0EEENS1_30default_config_static_selectorELNS0_4arch9wavefront6targetE1EEEvT1_,"axG",@progbits,_ZN7rocprim17ROCPRIM_400000_NS6detail17trampoline_kernelINS0_14default_configENS1_25partition_config_selectorILNS1_17partition_subalgoE8EiNS0_10empty_typeEbEEZZNS1_14partition_implILS5_8ELb0ES3_jPKiPS6_PKS6_NS0_5tupleIJPiS6_EEENSE_IJSB_SB_EEENS0_18inequality_wrapperIN6hipcub16HIPCUB_304000_NS8EqualityEEEPlJS6_EEE10hipError_tPvRmT3_T4_T5_T6_T7_T9_mT8_P12ihipStream_tbDpT10_ENKUlT_T0_E_clISt17integral_constantIbLb0EES17_EEDaS12_S13_EUlS12_E_NS1_11comp_targetILNS1_3genE3ELNS1_11target_archE908ELNS1_3gpuE7ELNS1_3repE0EEENS1_30default_config_static_selectorELNS0_4arch9wavefront6targetE1EEEvT1_,comdat
.Lfunc_end181:
	.size	_ZN7rocprim17ROCPRIM_400000_NS6detail17trampoline_kernelINS0_14default_configENS1_25partition_config_selectorILNS1_17partition_subalgoE8EiNS0_10empty_typeEbEEZZNS1_14partition_implILS5_8ELb0ES3_jPKiPS6_PKS6_NS0_5tupleIJPiS6_EEENSE_IJSB_SB_EEENS0_18inequality_wrapperIN6hipcub16HIPCUB_304000_NS8EqualityEEEPlJS6_EEE10hipError_tPvRmT3_T4_T5_T6_T7_T9_mT8_P12ihipStream_tbDpT10_ENKUlT_T0_E_clISt17integral_constantIbLb0EES17_EEDaS12_S13_EUlS12_E_NS1_11comp_targetILNS1_3genE3ELNS1_11target_archE908ELNS1_3gpuE7ELNS1_3repE0EEENS1_30default_config_static_selectorELNS0_4arch9wavefront6targetE1EEEvT1_, .Lfunc_end181-_ZN7rocprim17ROCPRIM_400000_NS6detail17trampoline_kernelINS0_14default_configENS1_25partition_config_selectorILNS1_17partition_subalgoE8EiNS0_10empty_typeEbEEZZNS1_14partition_implILS5_8ELb0ES3_jPKiPS6_PKS6_NS0_5tupleIJPiS6_EEENSE_IJSB_SB_EEENS0_18inequality_wrapperIN6hipcub16HIPCUB_304000_NS8EqualityEEEPlJS6_EEE10hipError_tPvRmT3_T4_T5_T6_T7_T9_mT8_P12ihipStream_tbDpT10_ENKUlT_T0_E_clISt17integral_constantIbLb0EES17_EEDaS12_S13_EUlS12_E_NS1_11comp_targetILNS1_3genE3ELNS1_11target_archE908ELNS1_3gpuE7ELNS1_3repE0EEENS1_30default_config_static_selectorELNS0_4arch9wavefront6targetE1EEEvT1_
                                        ; -- End function
	.set _ZN7rocprim17ROCPRIM_400000_NS6detail17trampoline_kernelINS0_14default_configENS1_25partition_config_selectorILNS1_17partition_subalgoE8EiNS0_10empty_typeEbEEZZNS1_14partition_implILS5_8ELb0ES3_jPKiPS6_PKS6_NS0_5tupleIJPiS6_EEENSE_IJSB_SB_EEENS0_18inequality_wrapperIN6hipcub16HIPCUB_304000_NS8EqualityEEEPlJS6_EEE10hipError_tPvRmT3_T4_T5_T6_T7_T9_mT8_P12ihipStream_tbDpT10_ENKUlT_T0_E_clISt17integral_constantIbLb0EES17_EEDaS12_S13_EUlS12_E_NS1_11comp_targetILNS1_3genE3ELNS1_11target_archE908ELNS1_3gpuE7ELNS1_3repE0EEENS1_30default_config_static_selectorELNS0_4arch9wavefront6targetE1EEEvT1_.num_vgpr, 0
	.set _ZN7rocprim17ROCPRIM_400000_NS6detail17trampoline_kernelINS0_14default_configENS1_25partition_config_selectorILNS1_17partition_subalgoE8EiNS0_10empty_typeEbEEZZNS1_14partition_implILS5_8ELb0ES3_jPKiPS6_PKS6_NS0_5tupleIJPiS6_EEENSE_IJSB_SB_EEENS0_18inequality_wrapperIN6hipcub16HIPCUB_304000_NS8EqualityEEEPlJS6_EEE10hipError_tPvRmT3_T4_T5_T6_T7_T9_mT8_P12ihipStream_tbDpT10_ENKUlT_T0_E_clISt17integral_constantIbLb0EES17_EEDaS12_S13_EUlS12_E_NS1_11comp_targetILNS1_3genE3ELNS1_11target_archE908ELNS1_3gpuE7ELNS1_3repE0EEENS1_30default_config_static_selectorELNS0_4arch9wavefront6targetE1EEEvT1_.num_agpr, 0
	.set _ZN7rocprim17ROCPRIM_400000_NS6detail17trampoline_kernelINS0_14default_configENS1_25partition_config_selectorILNS1_17partition_subalgoE8EiNS0_10empty_typeEbEEZZNS1_14partition_implILS5_8ELb0ES3_jPKiPS6_PKS6_NS0_5tupleIJPiS6_EEENSE_IJSB_SB_EEENS0_18inequality_wrapperIN6hipcub16HIPCUB_304000_NS8EqualityEEEPlJS6_EEE10hipError_tPvRmT3_T4_T5_T6_T7_T9_mT8_P12ihipStream_tbDpT10_ENKUlT_T0_E_clISt17integral_constantIbLb0EES17_EEDaS12_S13_EUlS12_E_NS1_11comp_targetILNS1_3genE3ELNS1_11target_archE908ELNS1_3gpuE7ELNS1_3repE0EEENS1_30default_config_static_selectorELNS0_4arch9wavefront6targetE1EEEvT1_.numbered_sgpr, 0
	.set _ZN7rocprim17ROCPRIM_400000_NS6detail17trampoline_kernelINS0_14default_configENS1_25partition_config_selectorILNS1_17partition_subalgoE8EiNS0_10empty_typeEbEEZZNS1_14partition_implILS5_8ELb0ES3_jPKiPS6_PKS6_NS0_5tupleIJPiS6_EEENSE_IJSB_SB_EEENS0_18inequality_wrapperIN6hipcub16HIPCUB_304000_NS8EqualityEEEPlJS6_EEE10hipError_tPvRmT3_T4_T5_T6_T7_T9_mT8_P12ihipStream_tbDpT10_ENKUlT_T0_E_clISt17integral_constantIbLb0EES17_EEDaS12_S13_EUlS12_E_NS1_11comp_targetILNS1_3genE3ELNS1_11target_archE908ELNS1_3gpuE7ELNS1_3repE0EEENS1_30default_config_static_selectorELNS0_4arch9wavefront6targetE1EEEvT1_.num_named_barrier, 0
	.set _ZN7rocprim17ROCPRIM_400000_NS6detail17trampoline_kernelINS0_14default_configENS1_25partition_config_selectorILNS1_17partition_subalgoE8EiNS0_10empty_typeEbEEZZNS1_14partition_implILS5_8ELb0ES3_jPKiPS6_PKS6_NS0_5tupleIJPiS6_EEENSE_IJSB_SB_EEENS0_18inequality_wrapperIN6hipcub16HIPCUB_304000_NS8EqualityEEEPlJS6_EEE10hipError_tPvRmT3_T4_T5_T6_T7_T9_mT8_P12ihipStream_tbDpT10_ENKUlT_T0_E_clISt17integral_constantIbLb0EES17_EEDaS12_S13_EUlS12_E_NS1_11comp_targetILNS1_3genE3ELNS1_11target_archE908ELNS1_3gpuE7ELNS1_3repE0EEENS1_30default_config_static_selectorELNS0_4arch9wavefront6targetE1EEEvT1_.private_seg_size, 0
	.set _ZN7rocprim17ROCPRIM_400000_NS6detail17trampoline_kernelINS0_14default_configENS1_25partition_config_selectorILNS1_17partition_subalgoE8EiNS0_10empty_typeEbEEZZNS1_14partition_implILS5_8ELb0ES3_jPKiPS6_PKS6_NS0_5tupleIJPiS6_EEENSE_IJSB_SB_EEENS0_18inequality_wrapperIN6hipcub16HIPCUB_304000_NS8EqualityEEEPlJS6_EEE10hipError_tPvRmT3_T4_T5_T6_T7_T9_mT8_P12ihipStream_tbDpT10_ENKUlT_T0_E_clISt17integral_constantIbLb0EES17_EEDaS12_S13_EUlS12_E_NS1_11comp_targetILNS1_3genE3ELNS1_11target_archE908ELNS1_3gpuE7ELNS1_3repE0EEENS1_30default_config_static_selectorELNS0_4arch9wavefront6targetE1EEEvT1_.uses_vcc, 0
	.set _ZN7rocprim17ROCPRIM_400000_NS6detail17trampoline_kernelINS0_14default_configENS1_25partition_config_selectorILNS1_17partition_subalgoE8EiNS0_10empty_typeEbEEZZNS1_14partition_implILS5_8ELb0ES3_jPKiPS6_PKS6_NS0_5tupleIJPiS6_EEENSE_IJSB_SB_EEENS0_18inequality_wrapperIN6hipcub16HIPCUB_304000_NS8EqualityEEEPlJS6_EEE10hipError_tPvRmT3_T4_T5_T6_T7_T9_mT8_P12ihipStream_tbDpT10_ENKUlT_T0_E_clISt17integral_constantIbLb0EES17_EEDaS12_S13_EUlS12_E_NS1_11comp_targetILNS1_3genE3ELNS1_11target_archE908ELNS1_3gpuE7ELNS1_3repE0EEENS1_30default_config_static_selectorELNS0_4arch9wavefront6targetE1EEEvT1_.uses_flat_scratch, 0
	.set _ZN7rocprim17ROCPRIM_400000_NS6detail17trampoline_kernelINS0_14default_configENS1_25partition_config_selectorILNS1_17partition_subalgoE8EiNS0_10empty_typeEbEEZZNS1_14partition_implILS5_8ELb0ES3_jPKiPS6_PKS6_NS0_5tupleIJPiS6_EEENSE_IJSB_SB_EEENS0_18inequality_wrapperIN6hipcub16HIPCUB_304000_NS8EqualityEEEPlJS6_EEE10hipError_tPvRmT3_T4_T5_T6_T7_T9_mT8_P12ihipStream_tbDpT10_ENKUlT_T0_E_clISt17integral_constantIbLb0EES17_EEDaS12_S13_EUlS12_E_NS1_11comp_targetILNS1_3genE3ELNS1_11target_archE908ELNS1_3gpuE7ELNS1_3repE0EEENS1_30default_config_static_selectorELNS0_4arch9wavefront6targetE1EEEvT1_.has_dyn_sized_stack, 0
	.set _ZN7rocprim17ROCPRIM_400000_NS6detail17trampoline_kernelINS0_14default_configENS1_25partition_config_selectorILNS1_17partition_subalgoE8EiNS0_10empty_typeEbEEZZNS1_14partition_implILS5_8ELb0ES3_jPKiPS6_PKS6_NS0_5tupleIJPiS6_EEENSE_IJSB_SB_EEENS0_18inequality_wrapperIN6hipcub16HIPCUB_304000_NS8EqualityEEEPlJS6_EEE10hipError_tPvRmT3_T4_T5_T6_T7_T9_mT8_P12ihipStream_tbDpT10_ENKUlT_T0_E_clISt17integral_constantIbLb0EES17_EEDaS12_S13_EUlS12_E_NS1_11comp_targetILNS1_3genE3ELNS1_11target_archE908ELNS1_3gpuE7ELNS1_3repE0EEENS1_30default_config_static_selectorELNS0_4arch9wavefront6targetE1EEEvT1_.has_recursion, 0
	.set _ZN7rocprim17ROCPRIM_400000_NS6detail17trampoline_kernelINS0_14default_configENS1_25partition_config_selectorILNS1_17partition_subalgoE8EiNS0_10empty_typeEbEEZZNS1_14partition_implILS5_8ELb0ES3_jPKiPS6_PKS6_NS0_5tupleIJPiS6_EEENSE_IJSB_SB_EEENS0_18inequality_wrapperIN6hipcub16HIPCUB_304000_NS8EqualityEEEPlJS6_EEE10hipError_tPvRmT3_T4_T5_T6_T7_T9_mT8_P12ihipStream_tbDpT10_ENKUlT_T0_E_clISt17integral_constantIbLb0EES17_EEDaS12_S13_EUlS12_E_NS1_11comp_targetILNS1_3genE3ELNS1_11target_archE908ELNS1_3gpuE7ELNS1_3repE0EEENS1_30default_config_static_selectorELNS0_4arch9wavefront6targetE1EEEvT1_.has_indirect_call, 0
	.section	.AMDGPU.csdata,"",@progbits
; Kernel info:
; codeLenInByte = 0
; TotalNumSgprs: 6
; NumVgprs: 0
; NumAgprs: 0
; TotalNumVgprs: 0
; ScratchSize: 0
; MemoryBound: 0
; FloatMode: 240
; IeeeMode: 1
; LDSByteSize: 0 bytes/workgroup (compile time only)
; SGPRBlocks: 0
; VGPRBlocks: 0
; NumSGPRsForWavesPerEU: 6
; NumVGPRsForWavesPerEU: 1
; AccumOffset: 4
; Occupancy: 8
; WaveLimiterHint : 0
; COMPUTE_PGM_RSRC2:SCRATCH_EN: 0
; COMPUTE_PGM_RSRC2:USER_SGPR: 2
; COMPUTE_PGM_RSRC2:TRAP_HANDLER: 0
; COMPUTE_PGM_RSRC2:TGID_X_EN: 1
; COMPUTE_PGM_RSRC2:TGID_Y_EN: 0
; COMPUTE_PGM_RSRC2:TGID_Z_EN: 0
; COMPUTE_PGM_RSRC2:TIDIG_COMP_CNT: 0
; COMPUTE_PGM_RSRC3_GFX90A:ACCUM_OFFSET: 0
; COMPUTE_PGM_RSRC3_GFX90A:TG_SPLIT: 0
	.section	.text._ZN7rocprim17ROCPRIM_400000_NS6detail17trampoline_kernelINS0_14default_configENS1_25partition_config_selectorILNS1_17partition_subalgoE8EiNS0_10empty_typeEbEEZZNS1_14partition_implILS5_8ELb0ES3_jPKiPS6_PKS6_NS0_5tupleIJPiS6_EEENSE_IJSB_SB_EEENS0_18inequality_wrapperIN6hipcub16HIPCUB_304000_NS8EqualityEEEPlJS6_EEE10hipError_tPvRmT3_T4_T5_T6_T7_T9_mT8_P12ihipStream_tbDpT10_ENKUlT_T0_E_clISt17integral_constantIbLb0EES17_EEDaS12_S13_EUlS12_E_NS1_11comp_targetILNS1_3genE2ELNS1_11target_archE906ELNS1_3gpuE6ELNS1_3repE0EEENS1_30default_config_static_selectorELNS0_4arch9wavefront6targetE1EEEvT1_,"axG",@progbits,_ZN7rocprim17ROCPRIM_400000_NS6detail17trampoline_kernelINS0_14default_configENS1_25partition_config_selectorILNS1_17partition_subalgoE8EiNS0_10empty_typeEbEEZZNS1_14partition_implILS5_8ELb0ES3_jPKiPS6_PKS6_NS0_5tupleIJPiS6_EEENSE_IJSB_SB_EEENS0_18inequality_wrapperIN6hipcub16HIPCUB_304000_NS8EqualityEEEPlJS6_EEE10hipError_tPvRmT3_T4_T5_T6_T7_T9_mT8_P12ihipStream_tbDpT10_ENKUlT_T0_E_clISt17integral_constantIbLb0EES17_EEDaS12_S13_EUlS12_E_NS1_11comp_targetILNS1_3genE2ELNS1_11target_archE906ELNS1_3gpuE6ELNS1_3repE0EEENS1_30default_config_static_selectorELNS0_4arch9wavefront6targetE1EEEvT1_,comdat
	.protected	_ZN7rocprim17ROCPRIM_400000_NS6detail17trampoline_kernelINS0_14default_configENS1_25partition_config_selectorILNS1_17partition_subalgoE8EiNS0_10empty_typeEbEEZZNS1_14partition_implILS5_8ELb0ES3_jPKiPS6_PKS6_NS0_5tupleIJPiS6_EEENSE_IJSB_SB_EEENS0_18inequality_wrapperIN6hipcub16HIPCUB_304000_NS8EqualityEEEPlJS6_EEE10hipError_tPvRmT3_T4_T5_T6_T7_T9_mT8_P12ihipStream_tbDpT10_ENKUlT_T0_E_clISt17integral_constantIbLb0EES17_EEDaS12_S13_EUlS12_E_NS1_11comp_targetILNS1_3genE2ELNS1_11target_archE906ELNS1_3gpuE6ELNS1_3repE0EEENS1_30default_config_static_selectorELNS0_4arch9wavefront6targetE1EEEvT1_ ; -- Begin function _ZN7rocprim17ROCPRIM_400000_NS6detail17trampoline_kernelINS0_14default_configENS1_25partition_config_selectorILNS1_17partition_subalgoE8EiNS0_10empty_typeEbEEZZNS1_14partition_implILS5_8ELb0ES3_jPKiPS6_PKS6_NS0_5tupleIJPiS6_EEENSE_IJSB_SB_EEENS0_18inequality_wrapperIN6hipcub16HIPCUB_304000_NS8EqualityEEEPlJS6_EEE10hipError_tPvRmT3_T4_T5_T6_T7_T9_mT8_P12ihipStream_tbDpT10_ENKUlT_T0_E_clISt17integral_constantIbLb0EES17_EEDaS12_S13_EUlS12_E_NS1_11comp_targetILNS1_3genE2ELNS1_11target_archE906ELNS1_3gpuE6ELNS1_3repE0EEENS1_30default_config_static_selectorELNS0_4arch9wavefront6targetE1EEEvT1_
	.globl	_ZN7rocprim17ROCPRIM_400000_NS6detail17trampoline_kernelINS0_14default_configENS1_25partition_config_selectorILNS1_17partition_subalgoE8EiNS0_10empty_typeEbEEZZNS1_14partition_implILS5_8ELb0ES3_jPKiPS6_PKS6_NS0_5tupleIJPiS6_EEENSE_IJSB_SB_EEENS0_18inequality_wrapperIN6hipcub16HIPCUB_304000_NS8EqualityEEEPlJS6_EEE10hipError_tPvRmT3_T4_T5_T6_T7_T9_mT8_P12ihipStream_tbDpT10_ENKUlT_T0_E_clISt17integral_constantIbLb0EES17_EEDaS12_S13_EUlS12_E_NS1_11comp_targetILNS1_3genE2ELNS1_11target_archE906ELNS1_3gpuE6ELNS1_3repE0EEENS1_30default_config_static_selectorELNS0_4arch9wavefront6targetE1EEEvT1_
	.p2align	8
	.type	_ZN7rocprim17ROCPRIM_400000_NS6detail17trampoline_kernelINS0_14default_configENS1_25partition_config_selectorILNS1_17partition_subalgoE8EiNS0_10empty_typeEbEEZZNS1_14partition_implILS5_8ELb0ES3_jPKiPS6_PKS6_NS0_5tupleIJPiS6_EEENSE_IJSB_SB_EEENS0_18inequality_wrapperIN6hipcub16HIPCUB_304000_NS8EqualityEEEPlJS6_EEE10hipError_tPvRmT3_T4_T5_T6_T7_T9_mT8_P12ihipStream_tbDpT10_ENKUlT_T0_E_clISt17integral_constantIbLb0EES17_EEDaS12_S13_EUlS12_E_NS1_11comp_targetILNS1_3genE2ELNS1_11target_archE906ELNS1_3gpuE6ELNS1_3repE0EEENS1_30default_config_static_selectorELNS0_4arch9wavefront6targetE1EEEvT1_,@function
_ZN7rocprim17ROCPRIM_400000_NS6detail17trampoline_kernelINS0_14default_configENS1_25partition_config_selectorILNS1_17partition_subalgoE8EiNS0_10empty_typeEbEEZZNS1_14partition_implILS5_8ELb0ES3_jPKiPS6_PKS6_NS0_5tupleIJPiS6_EEENSE_IJSB_SB_EEENS0_18inequality_wrapperIN6hipcub16HIPCUB_304000_NS8EqualityEEEPlJS6_EEE10hipError_tPvRmT3_T4_T5_T6_T7_T9_mT8_P12ihipStream_tbDpT10_ENKUlT_T0_E_clISt17integral_constantIbLb0EES17_EEDaS12_S13_EUlS12_E_NS1_11comp_targetILNS1_3genE2ELNS1_11target_archE906ELNS1_3gpuE6ELNS1_3repE0EEENS1_30default_config_static_selectorELNS0_4arch9wavefront6targetE1EEEvT1_: ; @_ZN7rocprim17ROCPRIM_400000_NS6detail17trampoline_kernelINS0_14default_configENS1_25partition_config_selectorILNS1_17partition_subalgoE8EiNS0_10empty_typeEbEEZZNS1_14partition_implILS5_8ELb0ES3_jPKiPS6_PKS6_NS0_5tupleIJPiS6_EEENSE_IJSB_SB_EEENS0_18inequality_wrapperIN6hipcub16HIPCUB_304000_NS8EqualityEEEPlJS6_EEE10hipError_tPvRmT3_T4_T5_T6_T7_T9_mT8_P12ihipStream_tbDpT10_ENKUlT_T0_E_clISt17integral_constantIbLb0EES17_EEDaS12_S13_EUlS12_E_NS1_11comp_targetILNS1_3genE2ELNS1_11target_archE906ELNS1_3gpuE6ELNS1_3repE0EEENS1_30default_config_static_selectorELNS0_4arch9wavefront6targetE1EEEvT1_
; %bb.0:
	.section	.rodata,"a",@progbits
	.p2align	6, 0x0
	.amdhsa_kernel _ZN7rocprim17ROCPRIM_400000_NS6detail17trampoline_kernelINS0_14default_configENS1_25partition_config_selectorILNS1_17partition_subalgoE8EiNS0_10empty_typeEbEEZZNS1_14partition_implILS5_8ELb0ES3_jPKiPS6_PKS6_NS0_5tupleIJPiS6_EEENSE_IJSB_SB_EEENS0_18inequality_wrapperIN6hipcub16HIPCUB_304000_NS8EqualityEEEPlJS6_EEE10hipError_tPvRmT3_T4_T5_T6_T7_T9_mT8_P12ihipStream_tbDpT10_ENKUlT_T0_E_clISt17integral_constantIbLb0EES17_EEDaS12_S13_EUlS12_E_NS1_11comp_targetILNS1_3genE2ELNS1_11target_archE906ELNS1_3gpuE6ELNS1_3repE0EEENS1_30default_config_static_selectorELNS0_4arch9wavefront6targetE1EEEvT1_
		.amdhsa_group_segment_fixed_size 0
		.amdhsa_private_segment_fixed_size 0
		.amdhsa_kernarg_size 112
		.amdhsa_user_sgpr_count 2
		.amdhsa_user_sgpr_dispatch_ptr 0
		.amdhsa_user_sgpr_queue_ptr 0
		.amdhsa_user_sgpr_kernarg_segment_ptr 1
		.amdhsa_user_sgpr_dispatch_id 0
		.amdhsa_user_sgpr_kernarg_preload_length 0
		.amdhsa_user_sgpr_kernarg_preload_offset 0
		.amdhsa_user_sgpr_private_segment_size 0
		.amdhsa_uses_dynamic_stack 0
		.amdhsa_enable_private_segment 0
		.amdhsa_system_sgpr_workgroup_id_x 1
		.amdhsa_system_sgpr_workgroup_id_y 0
		.amdhsa_system_sgpr_workgroup_id_z 0
		.amdhsa_system_sgpr_workgroup_info 0
		.amdhsa_system_vgpr_workitem_id 0
		.amdhsa_next_free_vgpr 1
		.amdhsa_next_free_sgpr 0
		.amdhsa_accum_offset 4
		.amdhsa_reserve_vcc 0
		.amdhsa_float_round_mode_32 0
		.amdhsa_float_round_mode_16_64 0
		.amdhsa_float_denorm_mode_32 3
		.amdhsa_float_denorm_mode_16_64 3
		.amdhsa_dx10_clamp 1
		.amdhsa_ieee_mode 1
		.amdhsa_fp16_overflow 0
		.amdhsa_tg_split 0
		.amdhsa_exception_fp_ieee_invalid_op 0
		.amdhsa_exception_fp_denorm_src 0
		.amdhsa_exception_fp_ieee_div_zero 0
		.amdhsa_exception_fp_ieee_overflow 0
		.amdhsa_exception_fp_ieee_underflow 0
		.amdhsa_exception_fp_ieee_inexact 0
		.amdhsa_exception_int_div_zero 0
	.end_amdhsa_kernel
	.section	.text._ZN7rocprim17ROCPRIM_400000_NS6detail17trampoline_kernelINS0_14default_configENS1_25partition_config_selectorILNS1_17partition_subalgoE8EiNS0_10empty_typeEbEEZZNS1_14partition_implILS5_8ELb0ES3_jPKiPS6_PKS6_NS0_5tupleIJPiS6_EEENSE_IJSB_SB_EEENS0_18inequality_wrapperIN6hipcub16HIPCUB_304000_NS8EqualityEEEPlJS6_EEE10hipError_tPvRmT3_T4_T5_T6_T7_T9_mT8_P12ihipStream_tbDpT10_ENKUlT_T0_E_clISt17integral_constantIbLb0EES17_EEDaS12_S13_EUlS12_E_NS1_11comp_targetILNS1_3genE2ELNS1_11target_archE906ELNS1_3gpuE6ELNS1_3repE0EEENS1_30default_config_static_selectorELNS0_4arch9wavefront6targetE1EEEvT1_,"axG",@progbits,_ZN7rocprim17ROCPRIM_400000_NS6detail17trampoline_kernelINS0_14default_configENS1_25partition_config_selectorILNS1_17partition_subalgoE8EiNS0_10empty_typeEbEEZZNS1_14partition_implILS5_8ELb0ES3_jPKiPS6_PKS6_NS0_5tupleIJPiS6_EEENSE_IJSB_SB_EEENS0_18inequality_wrapperIN6hipcub16HIPCUB_304000_NS8EqualityEEEPlJS6_EEE10hipError_tPvRmT3_T4_T5_T6_T7_T9_mT8_P12ihipStream_tbDpT10_ENKUlT_T0_E_clISt17integral_constantIbLb0EES17_EEDaS12_S13_EUlS12_E_NS1_11comp_targetILNS1_3genE2ELNS1_11target_archE906ELNS1_3gpuE6ELNS1_3repE0EEENS1_30default_config_static_selectorELNS0_4arch9wavefront6targetE1EEEvT1_,comdat
.Lfunc_end182:
	.size	_ZN7rocprim17ROCPRIM_400000_NS6detail17trampoline_kernelINS0_14default_configENS1_25partition_config_selectorILNS1_17partition_subalgoE8EiNS0_10empty_typeEbEEZZNS1_14partition_implILS5_8ELb0ES3_jPKiPS6_PKS6_NS0_5tupleIJPiS6_EEENSE_IJSB_SB_EEENS0_18inequality_wrapperIN6hipcub16HIPCUB_304000_NS8EqualityEEEPlJS6_EEE10hipError_tPvRmT3_T4_T5_T6_T7_T9_mT8_P12ihipStream_tbDpT10_ENKUlT_T0_E_clISt17integral_constantIbLb0EES17_EEDaS12_S13_EUlS12_E_NS1_11comp_targetILNS1_3genE2ELNS1_11target_archE906ELNS1_3gpuE6ELNS1_3repE0EEENS1_30default_config_static_selectorELNS0_4arch9wavefront6targetE1EEEvT1_, .Lfunc_end182-_ZN7rocprim17ROCPRIM_400000_NS6detail17trampoline_kernelINS0_14default_configENS1_25partition_config_selectorILNS1_17partition_subalgoE8EiNS0_10empty_typeEbEEZZNS1_14partition_implILS5_8ELb0ES3_jPKiPS6_PKS6_NS0_5tupleIJPiS6_EEENSE_IJSB_SB_EEENS0_18inequality_wrapperIN6hipcub16HIPCUB_304000_NS8EqualityEEEPlJS6_EEE10hipError_tPvRmT3_T4_T5_T6_T7_T9_mT8_P12ihipStream_tbDpT10_ENKUlT_T0_E_clISt17integral_constantIbLb0EES17_EEDaS12_S13_EUlS12_E_NS1_11comp_targetILNS1_3genE2ELNS1_11target_archE906ELNS1_3gpuE6ELNS1_3repE0EEENS1_30default_config_static_selectorELNS0_4arch9wavefront6targetE1EEEvT1_
                                        ; -- End function
	.set _ZN7rocprim17ROCPRIM_400000_NS6detail17trampoline_kernelINS0_14default_configENS1_25partition_config_selectorILNS1_17partition_subalgoE8EiNS0_10empty_typeEbEEZZNS1_14partition_implILS5_8ELb0ES3_jPKiPS6_PKS6_NS0_5tupleIJPiS6_EEENSE_IJSB_SB_EEENS0_18inequality_wrapperIN6hipcub16HIPCUB_304000_NS8EqualityEEEPlJS6_EEE10hipError_tPvRmT3_T4_T5_T6_T7_T9_mT8_P12ihipStream_tbDpT10_ENKUlT_T0_E_clISt17integral_constantIbLb0EES17_EEDaS12_S13_EUlS12_E_NS1_11comp_targetILNS1_3genE2ELNS1_11target_archE906ELNS1_3gpuE6ELNS1_3repE0EEENS1_30default_config_static_selectorELNS0_4arch9wavefront6targetE1EEEvT1_.num_vgpr, 0
	.set _ZN7rocprim17ROCPRIM_400000_NS6detail17trampoline_kernelINS0_14default_configENS1_25partition_config_selectorILNS1_17partition_subalgoE8EiNS0_10empty_typeEbEEZZNS1_14partition_implILS5_8ELb0ES3_jPKiPS6_PKS6_NS0_5tupleIJPiS6_EEENSE_IJSB_SB_EEENS0_18inequality_wrapperIN6hipcub16HIPCUB_304000_NS8EqualityEEEPlJS6_EEE10hipError_tPvRmT3_T4_T5_T6_T7_T9_mT8_P12ihipStream_tbDpT10_ENKUlT_T0_E_clISt17integral_constantIbLb0EES17_EEDaS12_S13_EUlS12_E_NS1_11comp_targetILNS1_3genE2ELNS1_11target_archE906ELNS1_3gpuE6ELNS1_3repE0EEENS1_30default_config_static_selectorELNS0_4arch9wavefront6targetE1EEEvT1_.num_agpr, 0
	.set _ZN7rocprim17ROCPRIM_400000_NS6detail17trampoline_kernelINS0_14default_configENS1_25partition_config_selectorILNS1_17partition_subalgoE8EiNS0_10empty_typeEbEEZZNS1_14partition_implILS5_8ELb0ES3_jPKiPS6_PKS6_NS0_5tupleIJPiS6_EEENSE_IJSB_SB_EEENS0_18inequality_wrapperIN6hipcub16HIPCUB_304000_NS8EqualityEEEPlJS6_EEE10hipError_tPvRmT3_T4_T5_T6_T7_T9_mT8_P12ihipStream_tbDpT10_ENKUlT_T0_E_clISt17integral_constantIbLb0EES17_EEDaS12_S13_EUlS12_E_NS1_11comp_targetILNS1_3genE2ELNS1_11target_archE906ELNS1_3gpuE6ELNS1_3repE0EEENS1_30default_config_static_selectorELNS0_4arch9wavefront6targetE1EEEvT1_.numbered_sgpr, 0
	.set _ZN7rocprim17ROCPRIM_400000_NS6detail17trampoline_kernelINS0_14default_configENS1_25partition_config_selectorILNS1_17partition_subalgoE8EiNS0_10empty_typeEbEEZZNS1_14partition_implILS5_8ELb0ES3_jPKiPS6_PKS6_NS0_5tupleIJPiS6_EEENSE_IJSB_SB_EEENS0_18inequality_wrapperIN6hipcub16HIPCUB_304000_NS8EqualityEEEPlJS6_EEE10hipError_tPvRmT3_T4_T5_T6_T7_T9_mT8_P12ihipStream_tbDpT10_ENKUlT_T0_E_clISt17integral_constantIbLb0EES17_EEDaS12_S13_EUlS12_E_NS1_11comp_targetILNS1_3genE2ELNS1_11target_archE906ELNS1_3gpuE6ELNS1_3repE0EEENS1_30default_config_static_selectorELNS0_4arch9wavefront6targetE1EEEvT1_.num_named_barrier, 0
	.set _ZN7rocprim17ROCPRIM_400000_NS6detail17trampoline_kernelINS0_14default_configENS1_25partition_config_selectorILNS1_17partition_subalgoE8EiNS0_10empty_typeEbEEZZNS1_14partition_implILS5_8ELb0ES3_jPKiPS6_PKS6_NS0_5tupleIJPiS6_EEENSE_IJSB_SB_EEENS0_18inequality_wrapperIN6hipcub16HIPCUB_304000_NS8EqualityEEEPlJS6_EEE10hipError_tPvRmT3_T4_T5_T6_T7_T9_mT8_P12ihipStream_tbDpT10_ENKUlT_T0_E_clISt17integral_constantIbLb0EES17_EEDaS12_S13_EUlS12_E_NS1_11comp_targetILNS1_3genE2ELNS1_11target_archE906ELNS1_3gpuE6ELNS1_3repE0EEENS1_30default_config_static_selectorELNS0_4arch9wavefront6targetE1EEEvT1_.private_seg_size, 0
	.set _ZN7rocprim17ROCPRIM_400000_NS6detail17trampoline_kernelINS0_14default_configENS1_25partition_config_selectorILNS1_17partition_subalgoE8EiNS0_10empty_typeEbEEZZNS1_14partition_implILS5_8ELb0ES3_jPKiPS6_PKS6_NS0_5tupleIJPiS6_EEENSE_IJSB_SB_EEENS0_18inequality_wrapperIN6hipcub16HIPCUB_304000_NS8EqualityEEEPlJS6_EEE10hipError_tPvRmT3_T4_T5_T6_T7_T9_mT8_P12ihipStream_tbDpT10_ENKUlT_T0_E_clISt17integral_constantIbLb0EES17_EEDaS12_S13_EUlS12_E_NS1_11comp_targetILNS1_3genE2ELNS1_11target_archE906ELNS1_3gpuE6ELNS1_3repE0EEENS1_30default_config_static_selectorELNS0_4arch9wavefront6targetE1EEEvT1_.uses_vcc, 0
	.set _ZN7rocprim17ROCPRIM_400000_NS6detail17trampoline_kernelINS0_14default_configENS1_25partition_config_selectorILNS1_17partition_subalgoE8EiNS0_10empty_typeEbEEZZNS1_14partition_implILS5_8ELb0ES3_jPKiPS6_PKS6_NS0_5tupleIJPiS6_EEENSE_IJSB_SB_EEENS0_18inequality_wrapperIN6hipcub16HIPCUB_304000_NS8EqualityEEEPlJS6_EEE10hipError_tPvRmT3_T4_T5_T6_T7_T9_mT8_P12ihipStream_tbDpT10_ENKUlT_T0_E_clISt17integral_constantIbLb0EES17_EEDaS12_S13_EUlS12_E_NS1_11comp_targetILNS1_3genE2ELNS1_11target_archE906ELNS1_3gpuE6ELNS1_3repE0EEENS1_30default_config_static_selectorELNS0_4arch9wavefront6targetE1EEEvT1_.uses_flat_scratch, 0
	.set _ZN7rocprim17ROCPRIM_400000_NS6detail17trampoline_kernelINS0_14default_configENS1_25partition_config_selectorILNS1_17partition_subalgoE8EiNS0_10empty_typeEbEEZZNS1_14partition_implILS5_8ELb0ES3_jPKiPS6_PKS6_NS0_5tupleIJPiS6_EEENSE_IJSB_SB_EEENS0_18inequality_wrapperIN6hipcub16HIPCUB_304000_NS8EqualityEEEPlJS6_EEE10hipError_tPvRmT3_T4_T5_T6_T7_T9_mT8_P12ihipStream_tbDpT10_ENKUlT_T0_E_clISt17integral_constantIbLb0EES17_EEDaS12_S13_EUlS12_E_NS1_11comp_targetILNS1_3genE2ELNS1_11target_archE906ELNS1_3gpuE6ELNS1_3repE0EEENS1_30default_config_static_selectorELNS0_4arch9wavefront6targetE1EEEvT1_.has_dyn_sized_stack, 0
	.set _ZN7rocprim17ROCPRIM_400000_NS6detail17trampoline_kernelINS0_14default_configENS1_25partition_config_selectorILNS1_17partition_subalgoE8EiNS0_10empty_typeEbEEZZNS1_14partition_implILS5_8ELb0ES3_jPKiPS6_PKS6_NS0_5tupleIJPiS6_EEENSE_IJSB_SB_EEENS0_18inequality_wrapperIN6hipcub16HIPCUB_304000_NS8EqualityEEEPlJS6_EEE10hipError_tPvRmT3_T4_T5_T6_T7_T9_mT8_P12ihipStream_tbDpT10_ENKUlT_T0_E_clISt17integral_constantIbLb0EES17_EEDaS12_S13_EUlS12_E_NS1_11comp_targetILNS1_3genE2ELNS1_11target_archE906ELNS1_3gpuE6ELNS1_3repE0EEENS1_30default_config_static_selectorELNS0_4arch9wavefront6targetE1EEEvT1_.has_recursion, 0
	.set _ZN7rocprim17ROCPRIM_400000_NS6detail17trampoline_kernelINS0_14default_configENS1_25partition_config_selectorILNS1_17partition_subalgoE8EiNS0_10empty_typeEbEEZZNS1_14partition_implILS5_8ELb0ES3_jPKiPS6_PKS6_NS0_5tupleIJPiS6_EEENSE_IJSB_SB_EEENS0_18inequality_wrapperIN6hipcub16HIPCUB_304000_NS8EqualityEEEPlJS6_EEE10hipError_tPvRmT3_T4_T5_T6_T7_T9_mT8_P12ihipStream_tbDpT10_ENKUlT_T0_E_clISt17integral_constantIbLb0EES17_EEDaS12_S13_EUlS12_E_NS1_11comp_targetILNS1_3genE2ELNS1_11target_archE906ELNS1_3gpuE6ELNS1_3repE0EEENS1_30default_config_static_selectorELNS0_4arch9wavefront6targetE1EEEvT1_.has_indirect_call, 0
	.section	.AMDGPU.csdata,"",@progbits
; Kernel info:
; codeLenInByte = 0
; TotalNumSgprs: 6
; NumVgprs: 0
; NumAgprs: 0
; TotalNumVgprs: 0
; ScratchSize: 0
; MemoryBound: 0
; FloatMode: 240
; IeeeMode: 1
; LDSByteSize: 0 bytes/workgroup (compile time only)
; SGPRBlocks: 0
; VGPRBlocks: 0
; NumSGPRsForWavesPerEU: 6
; NumVGPRsForWavesPerEU: 1
; AccumOffset: 4
; Occupancy: 8
; WaveLimiterHint : 0
; COMPUTE_PGM_RSRC2:SCRATCH_EN: 0
; COMPUTE_PGM_RSRC2:USER_SGPR: 2
; COMPUTE_PGM_RSRC2:TRAP_HANDLER: 0
; COMPUTE_PGM_RSRC2:TGID_X_EN: 1
; COMPUTE_PGM_RSRC2:TGID_Y_EN: 0
; COMPUTE_PGM_RSRC2:TGID_Z_EN: 0
; COMPUTE_PGM_RSRC2:TIDIG_COMP_CNT: 0
; COMPUTE_PGM_RSRC3_GFX90A:ACCUM_OFFSET: 0
; COMPUTE_PGM_RSRC3_GFX90A:TG_SPLIT: 0
	.section	.text._ZN7rocprim17ROCPRIM_400000_NS6detail17trampoline_kernelINS0_14default_configENS1_25partition_config_selectorILNS1_17partition_subalgoE8EiNS0_10empty_typeEbEEZZNS1_14partition_implILS5_8ELb0ES3_jPKiPS6_PKS6_NS0_5tupleIJPiS6_EEENSE_IJSB_SB_EEENS0_18inequality_wrapperIN6hipcub16HIPCUB_304000_NS8EqualityEEEPlJS6_EEE10hipError_tPvRmT3_T4_T5_T6_T7_T9_mT8_P12ihipStream_tbDpT10_ENKUlT_T0_E_clISt17integral_constantIbLb0EES17_EEDaS12_S13_EUlS12_E_NS1_11comp_targetILNS1_3genE10ELNS1_11target_archE1200ELNS1_3gpuE4ELNS1_3repE0EEENS1_30default_config_static_selectorELNS0_4arch9wavefront6targetE1EEEvT1_,"axG",@progbits,_ZN7rocprim17ROCPRIM_400000_NS6detail17trampoline_kernelINS0_14default_configENS1_25partition_config_selectorILNS1_17partition_subalgoE8EiNS0_10empty_typeEbEEZZNS1_14partition_implILS5_8ELb0ES3_jPKiPS6_PKS6_NS0_5tupleIJPiS6_EEENSE_IJSB_SB_EEENS0_18inequality_wrapperIN6hipcub16HIPCUB_304000_NS8EqualityEEEPlJS6_EEE10hipError_tPvRmT3_T4_T5_T6_T7_T9_mT8_P12ihipStream_tbDpT10_ENKUlT_T0_E_clISt17integral_constantIbLb0EES17_EEDaS12_S13_EUlS12_E_NS1_11comp_targetILNS1_3genE10ELNS1_11target_archE1200ELNS1_3gpuE4ELNS1_3repE0EEENS1_30default_config_static_selectorELNS0_4arch9wavefront6targetE1EEEvT1_,comdat
	.protected	_ZN7rocprim17ROCPRIM_400000_NS6detail17trampoline_kernelINS0_14default_configENS1_25partition_config_selectorILNS1_17partition_subalgoE8EiNS0_10empty_typeEbEEZZNS1_14partition_implILS5_8ELb0ES3_jPKiPS6_PKS6_NS0_5tupleIJPiS6_EEENSE_IJSB_SB_EEENS0_18inequality_wrapperIN6hipcub16HIPCUB_304000_NS8EqualityEEEPlJS6_EEE10hipError_tPvRmT3_T4_T5_T6_T7_T9_mT8_P12ihipStream_tbDpT10_ENKUlT_T0_E_clISt17integral_constantIbLb0EES17_EEDaS12_S13_EUlS12_E_NS1_11comp_targetILNS1_3genE10ELNS1_11target_archE1200ELNS1_3gpuE4ELNS1_3repE0EEENS1_30default_config_static_selectorELNS0_4arch9wavefront6targetE1EEEvT1_ ; -- Begin function _ZN7rocprim17ROCPRIM_400000_NS6detail17trampoline_kernelINS0_14default_configENS1_25partition_config_selectorILNS1_17partition_subalgoE8EiNS0_10empty_typeEbEEZZNS1_14partition_implILS5_8ELb0ES3_jPKiPS6_PKS6_NS0_5tupleIJPiS6_EEENSE_IJSB_SB_EEENS0_18inequality_wrapperIN6hipcub16HIPCUB_304000_NS8EqualityEEEPlJS6_EEE10hipError_tPvRmT3_T4_T5_T6_T7_T9_mT8_P12ihipStream_tbDpT10_ENKUlT_T0_E_clISt17integral_constantIbLb0EES17_EEDaS12_S13_EUlS12_E_NS1_11comp_targetILNS1_3genE10ELNS1_11target_archE1200ELNS1_3gpuE4ELNS1_3repE0EEENS1_30default_config_static_selectorELNS0_4arch9wavefront6targetE1EEEvT1_
	.globl	_ZN7rocprim17ROCPRIM_400000_NS6detail17trampoline_kernelINS0_14default_configENS1_25partition_config_selectorILNS1_17partition_subalgoE8EiNS0_10empty_typeEbEEZZNS1_14partition_implILS5_8ELb0ES3_jPKiPS6_PKS6_NS0_5tupleIJPiS6_EEENSE_IJSB_SB_EEENS0_18inequality_wrapperIN6hipcub16HIPCUB_304000_NS8EqualityEEEPlJS6_EEE10hipError_tPvRmT3_T4_T5_T6_T7_T9_mT8_P12ihipStream_tbDpT10_ENKUlT_T0_E_clISt17integral_constantIbLb0EES17_EEDaS12_S13_EUlS12_E_NS1_11comp_targetILNS1_3genE10ELNS1_11target_archE1200ELNS1_3gpuE4ELNS1_3repE0EEENS1_30default_config_static_selectorELNS0_4arch9wavefront6targetE1EEEvT1_
	.p2align	8
	.type	_ZN7rocprim17ROCPRIM_400000_NS6detail17trampoline_kernelINS0_14default_configENS1_25partition_config_selectorILNS1_17partition_subalgoE8EiNS0_10empty_typeEbEEZZNS1_14partition_implILS5_8ELb0ES3_jPKiPS6_PKS6_NS0_5tupleIJPiS6_EEENSE_IJSB_SB_EEENS0_18inequality_wrapperIN6hipcub16HIPCUB_304000_NS8EqualityEEEPlJS6_EEE10hipError_tPvRmT3_T4_T5_T6_T7_T9_mT8_P12ihipStream_tbDpT10_ENKUlT_T0_E_clISt17integral_constantIbLb0EES17_EEDaS12_S13_EUlS12_E_NS1_11comp_targetILNS1_3genE10ELNS1_11target_archE1200ELNS1_3gpuE4ELNS1_3repE0EEENS1_30default_config_static_selectorELNS0_4arch9wavefront6targetE1EEEvT1_,@function
_ZN7rocprim17ROCPRIM_400000_NS6detail17trampoline_kernelINS0_14default_configENS1_25partition_config_selectorILNS1_17partition_subalgoE8EiNS0_10empty_typeEbEEZZNS1_14partition_implILS5_8ELb0ES3_jPKiPS6_PKS6_NS0_5tupleIJPiS6_EEENSE_IJSB_SB_EEENS0_18inequality_wrapperIN6hipcub16HIPCUB_304000_NS8EqualityEEEPlJS6_EEE10hipError_tPvRmT3_T4_T5_T6_T7_T9_mT8_P12ihipStream_tbDpT10_ENKUlT_T0_E_clISt17integral_constantIbLb0EES17_EEDaS12_S13_EUlS12_E_NS1_11comp_targetILNS1_3genE10ELNS1_11target_archE1200ELNS1_3gpuE4ELNS1_3repE0EEENS1_30default_config_static_selectorELNS0_4arch9wavefront6targetE1EEEvT1_: ; @_ZN7rocprim17ROCPRIM_400000_NS6detail17trampoline_kernelINS0_14default_configENS1_25partition_config_selectorILNS1_17partition_subalgoE8EiNS0_10empty_typeEbEEZZNS1_14partition_implILS5_8ELb0ES3_jPKiPS6_PKS6_NS0_5tupleIJPiS6_EEENSE_IJSB_SB_EEENS0_18inequality_wrapperIN6hipcub16HIPCUB_304000_NS8EqualityEEEPlJS6_EEE10hipError_tPvRmT3_T4_T5_T6_T7_T9_mT8_P12ihipStream_tbDpT10_ENKUlT_T0_E_clISt17integral_constantIbLb0EES17_EEDaS12_S13_EUlS12_E_NS1_11comp_targetILNS1_3genE10ELNS1_11target_archE1200ELNS1_3gpuE4ELNS1_3repE0EEENS1_30default_config_static_selectorELNS0_4arch9wavefront6targetE1EEEvT1_
; %bb.0:
	.section	.rodata,"a",@progbits
	.p2align	6, 0x0
	.amdhsa_kernel _ZN7rocprim17ROCPRIM_400000_NS6detail17trampoline_kernelINS0_14default_configENS1_25partition_config_selectorILNS1_17partition_subalgoE8EiNS0_10empty_typeEbEEZZNS1_14partition_implILS5_8ELb0ES3_jPKiPS6_PKS6_NS0_5tupleIJPiS6_EEENSE_IJSB_SB_EEENS0_18inequality_wrapperIN6hipcub16HIPCUB_304000_NS8EqualityEEEPlJS6_EEE10hipError_tPvRmT3_T4_T5_T6_T7_T9_mT8_P12ihipStream_tbDpT10_ENKUlT_T0_E_clISt17integral_constantIbLb0EES17_EEDaS12_S13_EUlS12_E_NS1_11comp_targetILNS1_3genE10ELNS1_11target_archE1200ELNS1_3gpuE4ELNS1_3repE0EEENS1_30default_config_static_selectorELNS0_4arch9wavefront6targetE1EEEvT1_
		.amdhsa_group_segment_fixed_size 0
		.amdhsa_private_segment_fixed_size 0
		.amdhsa_kernarg_size 112
		.amdhsa_user_sgpr_count 2
		.amdhsa_user_sgpr_dispatch_ptr 0
		.amdhsa_user_sgpr_queue_ptr 0
		.amdhsa_user_sgpr_kernarg_segment_ptr 1
		.amdhsa_user_sgpr_dispatch_id 0
		.amdhsa_user_sgpr_kernarg_preload_length 0
		.amdhsa_user_sgpr_kernarg_preload_offset 0
		.amdhsa_user_sgpr_private_segment_size 0
		.amdhsa_uses_dynamic_stack 0
		.amdhsa_enable_private_segment 0
		.amdhsa_system_sgpr_workgroup_id_x 1
		.amdhsa_system_sgpr_workgroup_id_y 0
		.amdhsa_system_sgpr_workgroup_id_z 0
		.amdhsa_system_sgpr_workgroup_info 0
		.amdhsa_system_vgpr_workitem_id 0
		.amdhsa_next_free_vgpr 1
		.amdhsa_next_free_sgpr 0
		.amdhsa_accum_offset 4
		.amdhsa_reserve_vcc 0
		.amdhsa_float_round_mode_32 0
		.amdhsa_float_round_mode_16_64 0
		.amdhsa_float_denorm_mode_32 3
		.amdhsa_float_denorm_mode_16_64 3
		.amdhsa_dx10_clamp 1
		.amdhsa_ieee_mode 1
		.amdhsa_fp16_overflow 0
		.amdhsa_tg_split 0
		.amdhsa_exception_fp_ieee_invalid_op 0
		.amdhsa_exception_fp_denorm_src 0
		.amdhsa_exception_fp_ieee_div_zero 0
		.amdhsa_exception_fp_ieee_overflow 0
		.amdhsa_exception_fp_ieee_underflow 0
		.amdhsa_exception_fp_ieee_inexact 0
		.amdhsa_exception_int_div_zero 0
	.end_amdhsa_kernel
	.section	.text._ZN7rocprim17ROCPRIM_400000_NS6detail17trampoline_kernelINS0_14default_configENS1_25partition_config_selectorILNS1_17partition_subalgoE8EiNS0_10empty_typeEbEEZZNS1_14partition_implILS5_8ELb0ES3_jPKiPS6_PKS6_NS0_5tupleIJPiS6_EEENSE_IJSB_SB_EEENS0_18inequality_wrapperIN6hipcub16HIPCUB_304000_NS8EqualityEEEPlJS6_EEE10hipError_tPvRmT3_T4_T5_T6_T7_T9_mT8_P12ihipStream_tbDpT10_ENKUlT_T0_E_clISt17integral_constantIbLb0EES17_EEDaS12_S13_EUlS12_E_NS1_11comp_targetILNS1_3genE10ELNS1_11target_archE1200ELNS1_3gpuE4ELNS1_3repE0EEENS1_30default_config_static_selectorELNS0_4arch9wavefront6targetE1EEEvT1_,"axG",@progbits,_ZN7rocprim17ROCPRIM_400000_NS6detail17trampoline_kernelINS0_14default_configENS1_25partition_config_selectorILNS1_17partition_subalgoE8EiNS0_10empty_typeEbEEZZNS1_14partition_implILS5_8ELb0ES3_jPKiPS6_PKS6_NS0_5tupleIJPiS6_EEENSE_IJSB_SB_EEENS0_18inequality_wrapperIN6hipcub16HIPCUB_304000_NS8EqualityEEEPlJS6_EEE10hipError_tPvRmT3_T4_T5_T6_T7_T9_mT8_P12ihipStream_tbDpT10_ENKUlT_T0_E_clISt17integral_constantIbLb0EES17_EEDaS12_S13_EUlS12_E_NS1_11comp_targetILNS1_3genE10ELNS1_11target_archE1200ELNS1_3gpuE4ELNS1_3repE0EEENS1_30default_config_static_selectorELNS0_4arch9wavefront6targetE1EEEvT1_,comdat
.Lfunc_end183:
	.size	_ZN7rocprim17ROCPRIM_400000_NS6detail17trampoline_kernelINS0_14default_configENS1_25partition_config_selectorILNS1_17partition_subalgoE8EiNS0_10empty_typeEbEEZZNS1_14partition_implILS5_8ELb0ES3_jPKiPS6_PKS6_NS0_5tupleIJPiS6_EEENSE_IJSB_SB_EEENS0_18inequality_wrapperIN6hipcub16HIPCUB_304000_NS8EqualityEEEPlJS6_EEE10hipError_tPvRmT3_T4_T5_T6_T7_T9_mT8_P12ihipStream_tbDpT10_ENKUlT_T0_E_clISt17integral_constantIbLb0EES17_EEDaS12_S13_EUlS12_E_NS1_11comp_targetILNS1_3genE10ELNS1_11target_archE1200ELNS1_3gpuE4ELNS1_3repE0EEENS1_30default_config_static_selectorELNS0_4arch9wavefront6targetE1EEEvT1_, .Lfunc_end183-_ZN7rocprim17ROCPRIM_400000_NS6detail17trampoline_kernelINS0_14default_configENS1_25partition_config_selectorILNS1_17partition_subalgoE8EiNS0_10empty_typeEbEEZZNS1_14partition_implILS5_8ELb0ES3_jPKiPS6_PKS6_NS0_5tupleIJPiS6_EEENSE_IJSB_SB_EEENS0_18inequality_wrapperIN6hipcub16HIPCUB_304000_NS8EqualityEEEPlJS6_EEE10hipError_tPvRmT3_T4_T5_T6_T7_T9_mT8_P12ihipStream_tbDpT10_ENKUlT_T0_E_clISt17integral_constantIbLb0EES17_EEDaS12_S13_EUlS12_E_NS1_11comp_targetILNS1_3genE10ELNS1_11target_archE1200ELNS1_3gpuE4ELNS1_3repE0EEENS1_30default_config_static_selectorELNS0_4arch9wavefront6targetE1EEEvT1_
                                        ; -- End function
	.set _ZN7rocprim17ROCPRIM_400000_NS6detail17trampoline_kernelINS0_14default_configENS1_25partition_config_selectorILNS1_17partition_subalgoE8EiNS0_10empty_typeEbEEZZNS1_14partition_implILS5_8ELb0ES3_jPKiPS6_PKS6_NS0_5tupleIJPiS6_EEENSE_IJSB_SB_EEENS0_18inequality_wrapperIN6hipcub16HIPCUB_304000_NS8EqualityEEEPlJS6_EEE10hipError_tPvRmT3_T4_T5_T6_T7_T9_mT8_P12ihipStream_tbDpT10_ENKUlT_T0_E_clISt17integral_constantIbLb0EES17_EEDaS12_S13_EUlS12_E_NS1_11comp_targetILNS1_3genE10ELNS1_11target_archE1200ELNS1_3gpuE4ELNS1_3repE0EEENS1_30default_config_static_selectorELNS0_4arch9wavefront6targetE1EEEvT1_.num_vgpr, 0
	.set _ZN7rocprim17ROCPRIM_400000_NS6detail17trampoline_kernelINS0_14default_configENS1_25partition_config_selectorILNS1_17partition_subalgoE8EiNS0_10empty_typeEbEEZZNS1_14partition_implILS5_8ELb0ES3_jPKiPS6_PKS6_NS0_5tupleIJPiS6_EEENSE_IJSB_SB_EEENS0_18inequality_wrapperIN6hipcub16HIPCUB_304000_NS8EqualityEEEPlJS6_EEE10hipError_tPvRmT3_T4_T5_T6_T7_T9_mT8_P12ihipStream_tbDpT10_ENKUlT_T0_E_clISt17integral_constantIbLb0EES17_EEDaS12_S13_EUlS12_E_NS1_11comp_targetILNS1_3genE10ELNS1_11target_archE1200ELNS1_3gpuE4ELNS1_3repE0EEENS1_30default_config_static_selectorELNS0_4arch9wavefront6targetE1EEEvT1_.num_agpr, 0
	.set _ZN7rocprim17ROCPRIM_400000_NS6detail17trampoline_kernelINS0_14default_configENS1_25partition_config_selectorILNS1_17partition_subalgoE8EiNS0_10empty_typeEbEEZZNS1_14partition_implILS5_8ELb0ES3_jPKiPS6_PKS6_NS0_5tupleIJPiS6_EEENSE_IJSB_SB_EEENS0_18inequality_wrapperIN6hipcub16HIPCUB_304000_NS8EqualityEEEPlJS6_EEE10hipError_tPvRmT3_T4_T5_T6_T7_T9_mT8_P12ihipStream_tbDpT10_ENKUlT_T0_E_clISt17integral_constantIbLb0EES17_EEDaS12_S13_EUlS12_E_NS1_11comp_targetILNS1_3genE10ELNS1_11target_archE1200ELNS1_3gpuE4ELNS1_3repE0EEENS1_30default_config_static_selectorELNS0_4arch9wavefront6targetE1EEEvT1_.numbered_sgpr, 0
	.set _ZN7rocprim17ROCPRIM_400000_NS6detail17trampoline_kernelINS0_14default_configENS1_25partition_config_selectorILNS1_17partition_subalgoE8EiNS0_10empty_typeEbEEZZNS1_14partition_implILS5_8ELb0ES3_jPKiPS6_PKS6_NS0_5tupleIJPiS6_EEENSE_IJSB_SB_EEENS0_18inequality_wrapperIN6hipcub16HIPCUB_304000_NS8EqualityEEEPlJS6_EEE10hipError_tPvRmT3_T4_T5_T6_T7_T9_mT8_P12ihipStream_tbDpT10_ENKUlT_T0_E_clISt17integral_constantIbLb0EES17_EEDaS12_S13_EUlS12_E_NS1_11comp_targetILNS1_3genE10ELNS1_11target_archE1200ELNS1_3gpuE4ELNS1_3repE0EEENS1_30default_config_static_selectorELNS0_4arch9wavefront6targetE1EEEvT1_.num_named_barrier, 0
	.set _ZN7rocprim17ROCPRIM_400000_NS6detail17trampoline_kernelINS0_14default_configENS1_25partition_config_selectorILNS1_17partition_subalgoE8EiNS0_10empty_typeEbEEZZNS1_14partition_implILS5_8ELb0ES3_jPKiPS6_PKS6_NS0_5tupleIJPiS6_EEENSE_IJSB_SB_EEENS0_18inequality_wrapperIN6hipcub16HIPCUB_304000_NS8EqualityEEEPlJS6_EEE10hipError_tPvRmT3_T4_T5_T6_T7_T9_mT8_P12ihipStream_tbDpT10_ENKUlT_T0_E_clISt17integral_constantIbLb0EES17_EEDaS12_S13_EUlS12_E_NS1_11comp_targetILNS1_3genE10ELNS1_11target_archE1200ELNS1_3gpuE4ELNS1_3repE0EEENS1_30default_config_static_selectorELNS0_4arch9wavefront6targetE1EEEvT1_.private_seg_size, 0
	.set _ZN7rocprim17ROCPRIM_400000_NS6detail17trampoline_kernelINS0_14default_configENS1_25partition_config_selectorILNS1_17partition_subalgoE8EiNS0_10empty_typeEbEEZZNS1_14partition_implILS5_8ELb0ES3_jPKiPS6_PKS6_NS0_5tupleIJPiS6_EEENSE_IJSB_SB_EEENS0_18inequality_wrapperIN6hipcub16HIPCUB_304000_NS8EqualityEEEPlJS6_EEE10hipError_tPvRmT3_T4_T5_T6_T7_T9_mT8_P12ihipStream_tbDpT10_ENKUlT_T0_E_clISt17integral_constantIbLb0EES17_EEDaS12_S13_EUlS12_E_NS1_11comp_targetILNS1_3genE10ELNS1_11target_archE1200ELNS1_3gpuE4ELNS1_3repE0EEENS1_30default_config_static_selectorELNS0_4arch9wavefront6targetE1EEEvT1_.uses_vcc, 0
	.set _ZN7rocprim17ROCPRIM_400000_NS6detail17trampoline_kernelINS0_14default_configENS1_25partition_config_selectorILNS1_17partition_subalgoE8EiNS0_10empty_typeEbEEZZNS1_14partition_implILS5_8ELb0ES3_jPKiPS6_PKS6_NS0_5tupleIJPiS6_EEENSE_IJSB_SB_EEENS0_18inequality_wrapperIN6hipcub16HIPCUB_304000_NS8EqualityEEEPlJS6_EEE10hipError_tPvRmT3_T4_T5_T6_T7_T9_mT8_P12ihipStream_tbDpT10_ENKUlT_T0_E_clISt17integral_constantIbLb0EES17_EEDaS12_S13_EUlS12_E_NS1_11comp_targetILNS1_3genE10ELNS1_11target_archE1200ELNS1_3gpuE4ELNS1_3repE0EEENS1_30default_config_static_selectorELNS0_4arch9wavefront6targetE1EEEvT1_.uses_flat_scratch, 0
	.set _ZN7rocprim17ROCPRIM_400000_NS6detail17trampoline_kernelINS0_14default_configENS1_25partition_config_selectorILNS1_17partition_subalgoE8EiNS0_10empty_typeEbEEZZNS1_14partition_implILS5_8ELb0ES3_jPKiPS6_PKS6_NS0_5tupleIJPiS6_EEENSE_IJSB_SB_EEENS0_18inequality_wrapperIN6hipcub16HIPCUB_304000_NS8EqualityEEEPlJS6_EEE10hipError_tPvRmT3_T4_T5_T6_T7_T9_mT8_P12ihipStream_tbDpT10_ENKUlT_T0_E_clISt17integral_constantIbLb0EES17_EEDaS12_S13_EUlS12_E_NS1_11comp_targetILNS1_3genE10ELNS1_11target_archE1200ELNS1_3gpuE4ELNS1_3repE0EEENS1_30default_config_static_selectorELNS0_4arch9wavefront6targetE1EEEvT1_.has_dyn_sized_stack, 0
	.set _ZN7rocprim17ROCPRIM_400000_NS6detail17trampoline_kernelINS0_14default_configENS1_25partition_config_selectorILNS1_17partition_subalgoE8EiNS0_10empty_typeEbEEZZNS1_14partition_implILS5_8ELb0ES3_jPKiPS6_PKS6_NS0_5tupleIJPiS6_EEENSE_IJSB_SB_EEENS0_18inequality_wrapperIN6hipcub16HIPCUB_304000_NS8EqualityEEEPlJS6_EEE10hipError_tPvRmT3_T4_T5_T6_T7_T9_mT8_P12ihipStream_tbDpT10_ENKUlT_T0_E_clISt17integral_constantIbLb0EES17_EEDaS12_S13_EUlS12_E_NS1_11comp_targetILNS1_3genE10ELNS1_11target_archE1200ELNS1_3gpuE4ELNS1_3repE0EEENS1_30default_config_static_selectorELNS0_4arch9wavefront6targetE1EEEvT1_.has_recursion, 0
	.set _ZN7rocprim17ROCPRIM_400000_NS6detail17trampoline_kernelINS0_14default_configENS1_25partition_config_selectorILNS1_17partition_subalgoE8EiNS0_10empty_typeEbEEZZNS1_14partition_implILS5_8ELb0ES3_jPKiPS6_PKS6_NS0_5tupleIJPiS6_EEENSE_IJSB_SB_EEENS0_18inequality_wrapperIN6hipcub16HIPCUB_304000_NS8EqualityEEEPlJS6_EEE10hipError_tPvRmT3_T4_T5_T6_T7_T9_mT8_P12ihipStream_tbDpT10_ENKUlT_T0_E_clISt17integral_constantIbLb0EES17_EEDaS12_S13_EUlS12_E_NS1_11comp_targetILNS1_3genE10ELNS1_11target_archE1200ELNS1_3gpuE4ELNS1_3repE0EEENS1_30default_config_static_selectorELNS0_4arch9wavefront6targetE1EEEvT1_.has_indirect_call, 0
	.section	.AMDGPU.csdata,"",@progbits
; Kernel info:
; codeLenInByte = 0
; TotalNumSgprs: 6
; NumVgprs: 0
; NumAgprs: 0
; TotalNumVgprs: 0
; ScratchSize: 0
; MemoryBound: 0
; FloatMode: 240
; IeeeMode: 1
; LDSByteSize: 0 bytes/workgroup (compile time only)
; SGPRBlocks: 0
; VGPRBlocks: 0
; NumSGPRsForWavesPerEU: 6
; NumVGPRsForWavesPerEU: 1
; AccumOffset: 4
; Occupancy: 8
; WaveLimiterHint : 0
; COMPUTE_PGM_RSRC2:SCRATCH_EN: 0
; COMPUTE_PGM_RSRC2:USER_SGPR: 2
; COMPUTE_PGM_RSRC2:TRAP_HANDLER: 0
; COMPUTE_PGM_RSRC2:TGID_X_EN: 1
; COMPUTE_PGM_RSRC2:TGID_Y_EN: 0
; COMPUTE_PGM_RSRC2:TGID_Z_EN: 0
; COMPUTE_PGM_RSRC2:TIDIG_COMP_CNT: 0
; COMPUTE_PGM_RSRC3_GFX90A:ACCUM_OFFSET: 0
; COMPUTE_PGM_RSRC3_GFX90A:TG_SPLIT: 0
	.section	.text._ZN7rocprim17ROCPRIM_400000_NS6detail17trampoline_kernelINS0_14default_configENS1_25partition_config_selectorILNS1_17partition_subalgoE8EiNS0_10empty_typeEbEEZZNS1_14partition_implILS5_8ELb0ES3_jPKiPS6_PKS6_NS0_5tupleIJPiS6_EEENSE_IJSB_SB_EEENS0_18inequality_wrapperIN6hipcub16HIPCUB_304000_NS8EqualityEEEPlJS6_EEE10hipError_tPvRmT3_T4_T5_T6_T7_T9_mT8_P12ihipStream_tbDpT10_ENKUlT_T0_E_clISt17integral_constantIbLb0EES17_EEDaS12_S13_EUlS12_E_NS1_11comp_targetILNS1_3genE9ELNS1_11target_archE1100ELNS1_3gpuE3ELNS1_3repE0EEENS1_30default_config_static_selectorELNS0_4arch9wavefront6targetE1EEEvT1_,"axG",@progbits,_ZN7rocprim17ROCPRIM_400000_NS6detail17trampoline_kernelINS0_14default_configENS1_25partition_config_selectorILNS1_17partition_subalgoE8EiNS0_10empty_typeEbEEZZNS1_14partition_implILS5_8ELb0ES3_jPKiPS6_PKS6_NS0_5tupleIJPiS6_EEENSE_IJSB_SB_EEENS0_18inequality_wrapperIN6hipcub16HIPCUB_304000_NS8EqualityEEEPlJS6_EEE10hipError_tPvRmT3_T4_T5_T6_T7_T9_mT8_P12ihipStream_tbDpT10_ENKUlT_T0_E_clISt17integral_constantIbLb0EES17_EEDaS12_S13_EUlS12_E_NS1_11comp_targetILNS1_3genE9ELNS1_11target_archE1100ELNS1_3gpuE3ELNS1_3repE0EEENS1_30default_config_static_selectorELNS0_4arch9wavefront6targetE1EEEvT1_,comdat
	.protected	_ZN7rocprim17ROCPRIM_400000_NS6detail17trampoline_kernelINS0_14default_configENS1_25partition_config_selectorILNS1_17partition_subalgoE8EiNS0_10empty_typeEbEEZZNS1_14partition_implILS5_8ELb0ES3_jPKiPS6_PKS6_NS0_5tupleIJPiS6_EEENSE_IJSB_SB_EEENS0_18inequality_wrapperIN6hipcub16HIPCUB_304000_NS8EqualityEEEPlJS6_EEE10hipError_tPvRmT3_T4_T5_T6_T7_T9_mT8_P12ihipStream_tbDpT10_ENKUlT_T0_E_clISt17integral_constantIbLb0EES17_EEDaS12_S13_EUlS12_E_NS1_11comp_targetILNS1_3genE9ELNS1_11target_archE1100ELNS1_3gpuE3ELNS1_3repE0EEENS1_30default_config_static_selectorELNS0_4arch9wavefront6targetE1EEEvT1_ ; -- Begin function _ZN7rocprim17ROCPRIM_400000_NS6detail17trampoline_kernelINS0_14default_configENS1_25partition_config_selectorILNS1_17partition_subalgoE8EiNS0_10empty_typeEbEEZZNS1_14partition_implILS5_8ELb0ES3_jPKiPS6_PKS6_NS0_5tupleIJPiS6_EEENSE_IJSB_SB_EEENS0_18inequality_wrapperIN6hipcub16HIPCUB_304000_NS8EqualityEEEPlJS6_EEE10hipError_tPvRmT3_T4_T5_T6_T7_T9_mT8_P12ihipStream_tbDpT10_ENKUlT_T0_E_clISt17integral_constantIbLb0EES17_EEDaS12_S13_EUlS12_E_NS1_11comp_targetILNS1_3genE9ELNS1_11target_archE1100ELNS1_3gpuE3ELNS1_3repE0EEENS1_30default_config_static_selectorELNS0_4arch9wavefront6targetE1EEEvT1_
	.globl	_ZN7rocprim17ROCPRIM_400000_NS6detail17trampoline_kernelINS0_14default_configENS1_25partition_config_selectorILNS1_17partition_subalgoE8EiNS0_10empty_typeEbEEZZNS1_14partition_implILS5_8ELb0ES3_jPKiPS6_PKS6_NS0_5tupleIJPiS6_EEENSE_IJSB_SB_EEENS0_18inequality_wrapperIN6hipcub16HIPCUB_304000_NS8EqualityEEEPlJS6_EEE10hipError_tPvRmT3_T4_T5_T6_T7_T9_mT8_P12ihipStream_tbDpT10_ENKUlT_T0_E_clISt17integral_constantIbLb0EES17_EEDaS12_S13_EUlS12_E_NS1_11comp_targetILNS1_3genE9ELNS1_11target_archE1100ELNS1_3gpuE3ELNS1_3repE0EEENS1_30default_config_static_selectorELNS0_4arch9wavefront6targetE1EEEvT1_
	.p2align	8
	.type	_ZN7rocprim17ROCPRIM_400000_NS6detail17trampoline_kernelINS0_14default_configENS1_25partition_config_selectorILNS1_17partition_subalgoE8EiNS0_10empty_typeEbEEZZNS1_14partition_implILS5_8ELb0ES3_jPKiPS6_PKS6_NS0_5tupleIJPiS6_EEENSE_IJSB_SB_EEENS0_18inequality_wrapperIN6hipcub16HIPCUB_304000_NS8EqualityEEEPlJS6_EEE10hipError_tPvRmT3_T4_T5_T6_T7_T9_mT8_P12ihipStream_tbDpT10_ENKUlT_T0_E_clISt17integral_constantIbLb0EES17_EEDaS12_S13_EUlS12_E_NS1_11comp_targetILNS1_3genE9ELNS1_11target_archE1100ELNS1_3gpuE3ELNS1_3repE0EEENS1_30default_config_static_selectorELNS0_4arch9wavefront6targetE1EEEvT1_,@function
_ZN7rocprim17ROCPRIM_400000_NS6detail17trampoline_kernelINS0_14default_configENS1_25partition_config_selectorILNS1_17partition_subalgoE8EiNS0_10empty_typeEbEEZZNS1_14partition_implILS5_8ELb0ES3_jPKiPS6_PKS6_NS0_5tupleIJPiS6_EEENSE_IJSB_SB_EEENS0_18inequality_wrapperIN6hipcub16HIPCUB_304000_NS8EqualityEEEPlJS6_EEE10hipError_tPvRmT3_T4_T5_T6_T7_T9_mT8_P12ihipStream_tbDpT10_ENKUlT_T0_E_clISt17integral_constantIbLb0EES17_EEDaS12_S13_EUlS12_E_NS1_11comp_targetILNS1_3genE9ELNS1_11target_archE1100ELNS1_3gpuE3ELNS1_3repE0EEENS1_30default_config_static_selectorELNS0_4arch9wavefront6targetE1EEEvT1_: ; @_ZN7rocprim17ROCPRIM_400000_NS6detail17trampoline_kernelINS0_14default_configENS1_25partition_config_selectorILNS1_17partition_subalgoE8EiNS0_10empty_typeEbEEZZNS1_14partition_implILS5_8ELb0ES3_jPKiPS6_PKS6_NS0_5tupleIJPiS6_EEENSE_IJSB_SB_EEENS0_18inequality_wrapperIN6hipcub16HIPCUB_304000_NS8EqualityEEEPlJS6_EEE10hipError_tPvRmT3_T4_T5_T6_T7_T9_mT8_P12ihipStream_tbDpT10_ENKUlT_T0_E_clISt17integral_constantIbLb0EES17_EEDaS12_S13_EUlS12_E_NS1_11comp_targetILNS1_3genE9ELNS1_11target_archE1100ELNS1_3gpuE3ELNS1_3repE0EEENS1_30default_config_static_selectorELNS0_4arch9wavefront6targetE1EEEvT1_
; %bb.0:
	.section	.rodata,"a",@progbits
	.p2align	6, 0x0
	.amdhsa_kernel _ZN7rocprim17ROCPRIM_400000_NS6detail17trampoline_kernelINS0_14default_configENS1_25partition_config_selectorILNS1_17partition_subalgoE8EiNS0_10empty_typeEbEEZZNS1_14partition_implILS5_8ELb0ES3_jPKiPS6_PKS6_NS0_5tupleIJPiS6_EEENSE_IJSB_SB_EEENS0_18inequality_wrapperIN6hipcub16HIPCUB_304000_NS8EqualityEEEPlJS6_EEE10hipError_tPvRmT3_T4_T5_T6_T7_T9_mT8_P12ihipStream_tbDpT10_ENKUlT_T0_E_clISt17integral_constantIbLb0EES17_EEDaS12_S13_EUlS12_E_NS1_11comp_targetILNS1_3genE9ELNS1_11target_archE1100ELNS1_3gpuE3ELNS1_3repE0EEENS1_30default_config_static_selectorELNS0_4arch9wavefront6targetE1EEEvT1_
		.amdhsa_group_segment_fixed_size 0
		.amdhsa_private_segment_fixed_size 0
		.amdhsa_kernarg_size 112
		.amdhsa_user_sgpr_count 2
		.amdhsa_user_sgpr_dispatch_ptr 0
		.amdhsa_user_sgpr_queue_ptr 0
		.amdhsa_user_sgpr_kernarg_segment_ptr 1
		.amdhsa_user_sgpr_dispatch_id 0
		.amdhsa_user_sgpr_kernarg_preload_length 0
		.amdhsa_user_sgpr_kernarg_preload_offset 0
		.amdhsa_user_sgpr_private_segment_size 0
		.amdhsa_uses_dynamic_stack 0
		.amdhsa_enable_private_segment 0
		.amdhsa_system_sgpr_workgroup_id_x 1
		.amdhsa_system_sgpr_workgroup_id_y 0
		.amdhsa_system_sgpr_workgroup_id_z 0
		.amdhsa_system_sgpr_workgroup_info 0
		.amdhsa_system_vgpr_workitem_id 0
		.amdhsa_next_free_vgpr 1
		.amdhsa_next_free_sgpr 0
		.amdhsa_accum_offset 4
		.amdhsa_reserve_vcc 0
		.amdhsa_float_round_mode_32 0
		.amdhsa_float_round_mode_16_64 0
		.amdhsa_float_denorm_mode_32 3
		.amdhsa_float_denorm_mode_16_64 3
		.amdhsa_dx10_clamp 1
		.amdhsa_ieee_mode 1
		.amdhsa_fp16_overflow 0
		.amdhsa_tg_split 0
		.amdhsa_exception_fp_ieee_invalid_op 0
		.amdhsa_exception_fp_denorm_src 0
		.amdhsa_exception_fp_ieee_div_zero 0
		.amdhsa_exception_fp_ieee_overflow 0
		.amdhsa_exception_fp_ieee_underflow 0
		.amdhsa_exception_fp_ieee_inexact 0
		.amdhsa_exception_int_div_zero 0
	.end_amdhsa_kernel
	.section	.text._ZN7rocprim17ROCPRIM_400000_NS6detail17trampoline_kernelINS0_14default_configENS1_25partition_config_selectorILNS1_17partition_subalgoE8EiNS0_10empty_typeEbEEZZNS1_14partition_implILS5_8ELb0ES3_jPKiPS6_PKS6_NS0_5tupleIJPiS6_EEENSE_IJSB_SB_EEENS0_18inequality_wrapperIN6hipcub16HIPCUB_304000_NS8EqualityEEEPlJS6_EEE10hipError_tPvRmT3_T4_T5_T6_T7_T9_mT8_P12ihipStream_tbDpT10_ENKUlT_T0_E_clISt17integral_constantIbLb0EES17_EEDaS12_S13_EUlS12_E_NS1_11comp_targetILNS1_3genE9ELNS1_11target_archE1100ELNS1_3gpuE3ELNS1_3repE0EEENS1_30default_config_static_selectorELNS0_4arch9wavefront6targetE1EEEvT1_,"axG",@progbits,_ZN7rocprim17ROCPRIM_400000_NS6detail17trampoline_kernelINS0_14default_configENS1_25partition_config_selectorILNS1_17partition_subalgoE8EiNS0_10empty_typeEbEEZZNS1_14partition_implILS5_8ELb0ES3_jPKiPS6_PKS6_NS0_5tupleIJPiS6_EEENSE_IJSB_SB_EEENS0_18inequality_wrapperIN6hipcub16HIPCUB_304000_NS8EqualityEEEPlJS6_EEE10hipError_tPvRmT3_T4_T5_T6_T7_T9_mT8_P12ihipStream_tbDpT10_ENKUlT_T0_E_clISt17integral_constantIbLb0EES17_EEDaS12_S13_EUlS12_E_NS1_11comp_targetILNS1_3genE9ELNS1_11target_archE1100ELNS1_3gpuE3ELNS1_3repE0EEENS1_30default_config_static_selectorELNS0_4arch9wavefront6targetE1EEEvT1_,comdat
.Lfunc_end184:
	.size	_ZN7rocprim17ROCPRIM_400000_NS6detail17trampoline_kernelINS0_14default_configENS1_25partition_config_selectorILNS1_17partition_subalgoE8EiNS0_10empty_typeEbEEZZNS1_14partition_implILS5_8ELb0ES3_jPKiPS6_PKS6_NS0_5tupleIJPiS6_EEENSE_IJSB_SB_EEENS0_18inequality_wrapperIN6hipcub16HIPCUB_304000_NS8EqualityEEEPlJS6_EEE10hipError_tPvRmT3_T4_T5_T6_T7_T9_mT8_P12ihipStream_tbDpT10_ENKUlT_T0_E_clISt17integral_constantIbLb0EES17_EEDaS12_S13_EUlS12_E_NS1_11comp_targetILNS1_3genE9ELNS1_11target_archE1100ELNS1_3gpuE3ELNS1_3repE0EEENS1_30default_config_static_selectorELNS0_4arch9wavefront6targetE1EEEvT1_, .Lfunc_end184-_ZN7rocprim17ROCPRIM_400000_NS6detail17trampoline_kernelINS0_14default_configENS1_25partition_config_selectorILNS1_17partition_subalgoE8EiNS0_10empty_typeEbEEZZNS1_14partition_implILS5_8ELb0ES3_jPKiPS6_PKS6_NS0_5tupleIJPiS6_EEENSE_IJSB_SB_EEENS0_18inequality_wrapperIN6hipcub16HIPCUB_304000_NS8EqualityEEEPlJS6_EEE10hipError_tPvRmT3_T4_T5_T6_T7_T9_mT8_P12ihipStream_tbDpT10_ENKUlT_T0_E_clISt17integral_constantIbLb0EES17_EEDaS12_S13_EUlS12_E_NS1_11comp_targetILNS1_3genE9ELNS1_11target_archE1100ELNS1_3gpuE3ELNS1_3repE0EEENS1_30default_config_static_selectorELNS0_4arch9wavefront6targetE1EEEvT1_
                                        ; -- End function
	.set _ZN7rocprim17ROCPRIM_400000_NS6detail17trampoline_kernelINS0_14default_configENS1_25partition_config_selectorILNS1_17partition_subalgoE8EiNS0_10empty_typeEbEEZZNS1_14partition_implILS5_8ELb0ES3_jPKiPS6_PKS6_NS0_5tupleIJPiS6_EEENSE_IJSB_SB_EEENS0_18inequality_wrapperIN6hipcub16HIPCUB_304000_NS8EqualityEEEPlJS6_EEE10hipError_tPvRmT3_T4_T5_T6_T7_T9_mT8_P12ihipStream_tbDpT10_ENKUlT_T0_E_clISt17integral_constantIbLb0EES17_EEDaS12_S13_EUlS12_E_NS1_11comp_targetILNS1_3genE9ELNS1_11target_archE1100ELNS1_3gpuE3ELNS1_3repE0EEENS1_30default_config_static_selectorELNS0_4arch9wavefront6targetE1EEEvT1_.num_vgpr, 0
	.set _ZN7rocprim17ROCPRIM_400000_NS6detail17trampoline_kernelINS0_14default_configENS1_25partition_config_selectorILNS1_17partition_subalgoE8EiNS0_10empty_typeEbEEZZNS1_14partition_implILS5_8ELb0ES3_jPKiPS6_PKS6_NS0_5tupleIJPiS6_EEENSE_IJSB_SB_EEENS0_18inequality_wrapperIN6hipcub16HIPCUB_304000_NS8EqualityEEEPlJS6_EEE10hipError_tPvRmT3_T4_T5_T6_T7_T9_mT8_P12ihipStream_tbDpT10_ENKUlT_T0_E_clISt17integral_constantIbLb0EES17_EEDaS12_S13_EUlS12_E_NS1_11comp_targetILNS1_3genE9ELNS1_11target_archE1100ELNS1_3gpuE3ELNS1_3repE0EEENS1_30default_config_static_selectorELNS0_4arch9wavefront6targetE1EEEvT1_.num_agpr, 0
	.set _ZN7rocprim17ROCPRIM_400000_NS6detail17trampoline_kernelINS0_14default_configENS1_25partition_config_selectorILNS1_17partition_subalgoE8EiNS0_10empty_typeEbEEZZNS1_14partition_implILS5_8ELb0ES3_jPKiPS6_PKS6_NS0_5tupleIJPiS6_EEENSE_IJSB_SB_EEENS0_18inequality_wrapperIN6hipcub16HIPCUB_304000_NS8EqualityEEEPlJS6_EEE10hipError_tPvRmT3_T4_T5_T6_T7_T9_mT8_P12ihipStream_tbDpT10_ENKUlT_T0_E_clISt17integral_constantIbLb0EES17_EEDaS12_S13_EUlS12_E_NS1_11comp_targetILNS1_3genE9ELNS1_11target_archE1100ELNS1_3gpuE3ELNS1_3repE0EEENS1_30default_config_static_selectorELNS0_4arch9wavefront6targetE1EEEvT1_.numbered_sgpr, 0
	.set _ZN7rocprim17ROCPRIM_400000_NS6detail17trampoline_kernelINS0_14default_configENS1_25partition_config_selectorILNS1_17partition_subalgoE8EiNS0_10empty_typeEbEEZZNS1_14partition_implILS5_8ELb0ES3_jPKiPS6_PKS6_NS0_5tupleIJPiS6_EEENSE_IJSB_SB_EEENS0_18inequality_wrapperIN6hipcub16HIPCUB_304000_NS8EqualityEEEPlJS6_EEE10hipError_tPvRmT3_T4_T5_T6_T7_T9_mT8_P12ihipStream_tbDpT10_ENKUlT_T0_E_clISt17integral_constantIbLb0EES17_EEDaS12_S13_EUlS12_E_NS1_11comp_targetILNS1_3genE9ELNS1_11target_archE1100ELNS1_3gpuE3ELNS1_3repE0EEENS1_30default_config_static_selectorELNS0_4arch9wavefront6targetE1EEEvT1_.num_named_barrier, 0
	.set _ZN7rocprim17ROCPRIM_400000_NS6detail17trampoline_kernelINS0_14default_configENS1_25partition_config_selectorILNS1_17partition_subalgoE8EiNS0_10empty_typeEbEEZZNS1_14partition_implILS5_8ELb0ES3_jPKiPS6_PKS6_NS0_5tupleIJPiS6_EEENSE_IJSB_SB_EEENS0_18inequality_wrapperIN6hipcub16HIPCUB_304000_NS8EqualityEEEPlJS6_EEE10hipError_tPvRmT3_T4_T5_T6_T7_T9_mT8_P12ihipStream_tbDpT10_ENKUlT_T0_E_clISt17integral_constantIbLb0EES17_EEDaS12_S13_EUlS12_E_NS1_11comp_targetILNS1_3genE9ELNS1_11target_archE1100ELNS1_3gpuE3ELNS1_3repE0EEENS1_30default_config_static_selectorELNS0_4arch9wavefront6targetE1EEEvT1_.private_seg_size, 0
	.set _ZN7rocprim17ROCPRIM_400000_NS6detail17trampoline_kernelINS0_14default_configENS1_25partition_config_selectorILNS1_17partition_subalgoE8EiNS0_10empty_typeEbEEZZNS1_14partition_implILS5_8ELb0ES3_jPKiPS6_PKS6_NS0_5tupleIJPiS6_EEENSE_IJSB_SB_EEENS0_18inequality_wrapperIN6hipcub16HIPCUB_304000_NS8EqualityEEEPlJS6_EEE10hipError_tPvRmT3_T4_T5_T6_T7_T9_mT8_P12ihipStream_tbDpT10_ENKUlT_T0_E_clISt17integral_constantIbLb0EES17_EEDaS12_S13_EUlS12_E_NS1_11comp_targetILNS1_3genE9ELNS1_11target_archE1100ELNS1_3gpuE3ELNS1_3repE0EEENS1_30default_config_static_selectorELNS0_4arch9wavefront6targetE1EEEvT1_.uses_vcc, 0
	.set _ZN7rocprim17ROCPRIM_400000_NS6detail17trampoline_kernelINS0_14default_configENS1_25partition_config_selectorILNS1_17partition_subalgoE8EiNS0_10empty_typeEbEEZZNS1_14partition_implILS5_8ELb0ES3_jPKiPS6_PKS6_NS0_5tupleIJPiS6_EEENSE_IJSB_SB_EEENS0_18inequality_wrapperIN6hipcub16HIPCUB_304000_NS8EqualityEEEPlJS6_EEE10hipError_tPvRmT3_T4_T5_T6_T7_T9_mT8_P12ihipStream_tbDpT10_ENKUlT_T0_E_clISt17integral_constantIbLb0EES17_EEDaS12_S13_EUlS12_E_NS1_11comp_targetILNS1_3genE9ELNS1_11target_archE1100ELNS1_3gpuE3ELNS1_3repE0EEENS1_30default_config_static_selectorELNS0_4arch9wavefront6targetE1EEEvT1_.uses_flat_scratch, 0
	.set _ZN7rocprim17ROCPRIM_400000_NS6detail17trampoline_kernelINS0_14default_configENS1_25partition_config_selectorILNS1_17partition_subalgoE8EiNS0_10empty_typeEbEEZZNS1_14partition_implILS5_8ELb0ES3_jPKiPS6_PKS6_NS0_5tupleIJPiS6_EEENSE_IJSB_SB_EEENS0_18inequality_wrapperIN6hipcub16HIPCUB_304000_NS8EqualityEEEPlJS6_EEE10hipError_tPvRmT3_T4_T5_T6_T7_T9_mT8_P12ihipStream_tbDpT10_ENKUlT_T0_E_clISt17integral_constantIbLb0EES17_EEDaS12_S13_EUlS12_E_NS1_11comp_targetILNS1_3genE9ELNS1_11target_archE1100ELNS1_3gpuE3ELNS1_3repE0EEENS1_30default_config_static_selectorELNS0_4arch9wavefront6targetE1EEEvT1_.has_dyn_sized_stack, 0
	.set _ZN7rocprim17ROCPRIM_400000_NS6detail17trampoline_kernelINS0_14default_configENS1_25partition_config_selectorILNS1_17partition_subalgoE8EiNS0_10empty_typeEbEEZZNS1_14partition_implILS5_8ELb0ES3_jPKiPS6_PKS6_NS0_5tupleIJPiS6_EEENSE_IJSB_SB_EEENS0_18inequality_wrapperIN6hipcub16HIPCUB_304000_NS8EqualityEEEPlJS6_EEE10hipError_tPvRmT3_T4_T5_T6_T7_T9_mT8_P12ihipStream_tbDpT10_ENKUlT_T0_E_clISt17integral_constantIbLb0EES17_EEDaS12_S13_EUlS12_E_NS1_11comp_targetILNS1_3genE9ELNS1_11target_archE1100ELNS1_3gpuE3ELNS1_3repE0EEENS1_30default_config_static_selectorELNS0_4arch9wavefront6targetE1EEEvT1_.has_recursion, 0
	.set _ZN7rocprim17ROCPRIM_400000_NS6detail17trampoline_kernelINS0_14default_configENS1_25partition_config_selectorILNS1_17partition_subalgoE8EiNS0_10empty_typeEbEEZZNS1_14partition_implILS5_8ELb0ES3_jPKiPS6_PKS6_NS0_5tupleIJPiS6_EEENSE_IJSB_SB_EEENS0_18inequality_wrapperIN6hipcub16HIPCUB_304000_NS8EqualityEEEPlJS6_EEE10hipError_tPvRmT3_T4_T5_T6_T7_T9_mT8_P12ihipStream_tbDpT10_ENKUlT_T0_E_clISt17integral_constantIbLb0EES17_EEDaS12_S13_EUlS12_E_NS1_11comp_targetILNS1_3genE9ELNS1_11target_archE1100ELNS1_3gpuE3ELNS1_3repE0EEENS1_30default_config_static_selectorELNS0_4arch9wavefront6targetE1EEEvT1_.has_indirect_call, 0
	.section	.AMDGPU.csdata,"",@progbits
; Kernel info:
; codeLenInByte = 0
; TotalNumSgprs: 6
; NumVgprs: 0
; NumAgprs: 0
; TotalNumVgprs: 0
; ScratchSize: 0
; MemoryBound: 0
; FloatMode: 240
; IeeeMode: 1
; LDSByteSize: 0 bytes/workgroup (compile time only)
; SGPRBlocks: 0
; VGPRBlocks: 0
; NumSGPRsForWavesPerEU: 6
; NumVGPRsForWavesPerEU: 1
; AccumOffset: 4
; Occupancy: 8
; WaveLimiterHint : 0
; COMPUTE_PGM_RSRC2:SCRATCH_EN: 0
; COMPUTE_PGM_RSRC2:USER_SGPR: 2
; COMPUTE_PGM_RSRC2:TRAP_HANDLER: 0
; COMPUTE_PGM_RSRC2:TGID_X_EN: 1
; COMPUTE_PGM_RSRC2:TGID_Y_EN: 0
; COMPUTE_PGM_RSRC2:TGID_Z_EN: 0
; COMPUTE_PGM_RSRC2:TIDIG_COMP_CNT: 0
; COMPUTE_PGM_RSRC3_GFX90A:ACCUM_OFFSET: 0
; COMPUTE_PGM_RSRC3_GFX90A:TG_SPLIT: 0
	.section	.text._ZN7rocprim17ROCPRIM_400000_NS6detail17trampoline_kernelINS0_14default_configENS1_25partition_config_selectorILNS1_17partition_subalgoE8EiNS0_10empty_typeEbEEZZNS1_14partition_implILS5_8ELb0ES3_jPKiPS6_PKS6_NS0_5tupleIJPiS6_EEENSE_IJSB_SB_EEENS0_18inequality_wrapperIN6hipcub16HIPCUB_304000_NS8EqualityEEEPlJS6_EEE10hipError_tPvRmT3_T4_T5_T6_T7_T9_mT8_P12ihipStream_tbDpT10_ENKUlT_T0_E_clISt17integral_constantIbLb0EES17_EEDaS12_S13_EUlS12_E_NS1_11comp_targetILNS1_3genE8ELNS1_11target_archE1030ELNS1_3gpuE2ELNS1_3repE0EEENS1_30default_config_static_selectorELNS0_4arch9wavefront6targetE1EEEvT1_,"axG",@progbits,_ZN7rocprim17ROCPRIM_400000_NS6detail17trampoline_kernelINS0_14default_configENS1_25partition_config_selectorILNS1_17partition_subalgoE8EiNS0_10empty_typeEbEEZZNS1_14partition_implILS5_8ELb0ES3_jPKiPS6_PKS6_NS0_5tupleIJPiS6_EEENSE_IJSB_SB_EEENS0_18inequality_wrapperIN6hipcub16HIPCUB_304000_NS8EqualityEEEPlJS6_EEE10hipError_tPvRmT3_T4_T5_T6_T7_T9_mT8_P12ihipStream_tbDpT10_ENKUlT_T0_E_clISt17integral_constantIbLb0EES17_EEDaS12_S13_EUlS12_E_NS1_11comp_targetILNS1_3genE8ELNS1_11target_archE1030ELNS1_3gpuE2ELNS1_3repE0EEENS1_30default_config_static_selectorELNS0_4arch9wavefront6targetE1EEEvT1_,comdat
	.protected	_ZN7rocprim17ROCPRIM_400000_NS6detail17trampoline_kernelINS0_14default_configENS1_25partition_config_selectorILNS1_17partition_subalgoE8EiNS0_10empty_typeEbEEZZNS1_14partition_implILS5_8ELb0ES3_jPKiPS6_PKS6_NS0_5tupleIJPiS6_EEENSE_IJSB_SB_EEENS0_18inequality_wrapperIN6hipcub16HIPCUB_304000_NS8EqualityEEEPlJS6_EEE10hipError_tPvRmT3_T4_T5_T6_T7_T9_mT8_P12ihipStream_tbDpT10_ENKUlT_T0_E_clISt17integral_constantIbLb0EES17_EEDaS12_S13_EUlS12_E_NS1_11comp_targetILNS1_3genE8ELNS1_11target_archE1030ELNS1_3gpuE2ELNS1_3repE0EEENS1_30default_config_static_selectorELNS0_4arch9wavefront6targetE1EEEvT1_ ; -- Begin function _ZN7rocprim17ROCPRIM_400000_NS6detail17trampoline_kernelINS0_14default_configENS1_25partition_config_selectorILNS1_17partition_subalgoE8EiNS0_10empty_typeEbEEZZNS1_14partition_implILS5_8ELb0ES3_jPKiPS6_PKS6_NS0_5tupleIJPiS6_EEENSE_IJSB_SB_EEENS0_18inequality_wrapperIN6hipcub16HIPCUB_304000_NS8EqualityEEEPlJS6_EEE10hipError_tPvRmT3_T4_T5_T6_T7_T9_mT8_P12ihipStream_tbDpT10_ENKUlT_T0_E_clISt17integral_constantIbLb0EES17_EEDaS12_S13_EUlS12_E_NS1_11comp_targetILNS1_3genE8ELNS1_11target_archE1030ELNS1_3gpuE2ELNS1_3repE0EEENS1_30default_config_static_selectorELNS0_4arch9wavefront6targetE1EEEvT1_
	.globl	_ZN7rocprim17ROCPRIM_400000_NS6detail17trampoline_kernelINS0_14default_configENS1_25partition_config_selectorILNS1_17partition_subalgoE8EiNS0_10empty_typeEbEEZZNS1_14partition_implILS5_8ELb0ES3_jPKiPS6_PKS6_NS0_5tupleIJPiS6_EEENSE_IJSB_SB_EEENS0_18inequality_wrapperIN6hipcub16HIPCUB_304000_NS8EqualityEEEPlJS6_EEE10hipError_tPvRmT3_T4_T5_T6_T7_T9_mT8_P12ihipStream_tbDpT10_ENKUlT_T0_E_clISt17integral_constantIbLb0EES17_EEDaS12_S13_EUlS12_E_NS1_11comp_targetILNS1_3genE8ELNS1_11target_archE1030ELNS1_3gpuE2ELNS1_3repE0EEENS1_30default_config_static_selectorELNS0_4arch9wavefront6targetE1EEEvT1_
	.p2align	8
	.type	_ZN7rocprim17ROCPRIM_400000_NS6detail17trampoline_kernelINS0_14default_configENS1_25partition_config_selectorILNS1_17partition_subalgoE8EiNS0_10empty_typeEbEEZZNS1_14partition_implILS5_8ELb0ES3_jPKiPS6_PKS6_NS0_5tupleIJPiS6_EEENSE_IJSB_SB_EEENS0_18inequality_wrapperIN6hipcub16HIPCUB_304000_NS8EqualityEEEPlJS6_EEE10hipError_tPvRmT3_T4_T5_T6_T7_T9_mT8_P12ihipStream_tbDpT10_ENKUlT_T0_E_clISt17integral_constantIbLb0EES17_EEDaS12_S13_EUlS12_E_NS1_11comp_targetILNS1_3genE8ELNS1_11target_archE1030ELNS1_3gpuE2ELNS1_3repE0EEENS1_30default_config_static_selectorELNS0_4arch9wavefront6targetE1EEEvT1_,@function
_ZN7rocprim17ROCPRIM_400000_NS6detail17trampoline_kernelINS0_14default_configENS1_25partition_config_selectorILNS1_17partition_subalgoE8EiNS0_10empty_typeEbEEZZNS1_14partition_implILS5_8ELb0ES3_jPKiPS6_PKS6_NS0_5tupleIJPiS6_EEENSE_IJSB_SB_EEENS0_18inequality_wrapperIN6hipcub16HIPCUB_304000_NS8EqualityEEEPlJS6_EEE10hipError_tPvRmT3_T4_T5_T6_T7_T9_mT8_P12ihipStream_tbDpT10_ENKUlT_T0_E_clISt17integral_constantIbLb0EES17_EEDaS12_S13_EUlS12_E_NS1_11comp_targetILNS1_3genE8ELNS1_11target_archE1030ELNS1_3gpuE2ELNS1_3repE0EEENS1_30default_config_static_selectorELNS0_4arch9wavefront6targetE1EEEvT1_: ; @_ZN7rocprim17ROCPRIM_400000_NS6detail17trampoline_kernelINS0_14default_configENS1_25partition_config_selectorILNS1_17partition_subalgoE8EiNS0_10empty_typeEbEEZZNS1_14partition_implILS5_8ELb0ES3_jPKiPS6_PKS6_NS0_5tupleIJPiS6_EEENSE_IJSB_SB_EEENS0_18inequality_wrapperIN6hipcub16HIPCUB_304000_NS8EqualityEEEPlJS6_EEE10hipError_tPvRmT3_T4_T5_T6_T7_T9_mT8_P12ihipStream_tbDpT10_ENKUlT_T0_E_clISt17integral_constantIbLb0EES17_EEDaS12_S13_EUlS12_E_NS1_11comp_targetILNS1_3genE8ELNS1_11target_archE1030ELNS1_3gpuE2ELNS1_3repE0EEENS1_30default_config_static_selectorELNS0_4arch9wavefront6targetE1EEEvT1_
; %bb.0:
	.section	.rodata,"a",@progbits
	.p2align	6, 0x0
	.amdhsa_kernel _ZN7rocprim17ROCPRIM_400000_NS6detail17trampoline_kernelINS0_14default_configENS1_25partition_config_selectorILNS1_17partition_subalgoE8EiNS0_10empty_typeEbEEZZNS1_14partition_implILS5_8ELb0ES3_jPKiPS6_PKS6_NS0_5tupleIJPiS6_EEENSE_IJSB_SB_EEENS0_18inequality_wrapperIN6hipcub16HIPCUB_304000_NS8EqualityEEEPlJS6_EEE10hipError_tPvRmT3_T4_T5_T6_T7_T9_mT8_P12ihipStream_tbDpT10_ENKUlT_T0_E_clISt17integral_constantIbLb0EES17_EEDaS12_S13_EUlS12_E_NS1_11comp_targetILNS1_3genE8ELNS1_11target_archE1030ELNS1_3gpuE2ELNS1_3repE0EEENS1_30default_config_static_selectorELNS0_4arch9wavefront6targetE1EEEvT1_
		.amdhsa_group_segment_fixed_size 0
		.amdhsa_private_segment_fixed_size 0
		.amdhsa_kernarg_size 112
		.amdhsa_user_sgpr_count 2
		.amdhsa_user_sgpr_dispatch_ptr 0
		.amdhsa_user_sgpr_queue_ptr 0
		.amdhsa_user_sgpr_kernarg_segment_ptr 1
		.amdhsa_user_sgpr_dispatch_id 0
		.amdhsa_user_sgpr_kernarg_preload_length 0
		.amdhsa_user_sgpr_kernarg_preload_offset 0
		.amdhsa_user_sgpr_private_segment_size 0
		.amdhsa_uses_dynamic_stack 0
		.amdhsa_enable_private_segment 0
		.amdhsa_system_sgpr_workgroup_id_x 1
		.amdhsa_system_sgpr_workgroup_id_y 0
		.amdhsa_system_sgpr_workgroup_id_z 0
		.amdhsa_system_sgpr_workgroup_info 0
		.amdhsa_system_vgpr_workitem_id 0
		.amdhsa_next_free_vgpr 1
		.amdhsa_next_free_sgpr 0
		.amdhsa_accum_offset 4
		.amdhsa_reserve_vcc 0
		.amdhsa_float_round_mode_32 0
		.amdhsa_float_round_mode_16_64 0
		.amdhsa_float_denorm_mode_32 3
		.amdhsa_float_denorm_mode_16_64 3
		.amdhsa_dx10_clamp 1
		.amdhsa_ieee_mode 1
		.amdhsa_fp16_overflow 0
		.amdhsa_tg_split 0
		.amdhsa_exception_fp_ieee_invalid_op 0
		.amdhsa_exception_fp_denorm_src 0
		.amdhsa_exception_fp_ieee_div_zero 0
		.amdhsa_exception_fp_ieee_overflow 0
		.amdhsa_exception_fp_ieee_underflow 0
		.amdhsa_exception_fp_ieee_inexact 0
		.amdhsa_exception_int_div_zero 0
	.end_amdhsa_kernel
	.section	.text._ZN7rocprim17ROCPRIM_400000_NS6detail17trampoline_kernelINS0_14default_configENS1_25partition_config_selectorILNS1_17partition_subalgoE8EiNS0_10empty_typeEbEEZZNS1_14partition_implILS5_8ELb0ES3_jPKiPS6_PKS6_NS0_5tupleIJPiS6_EEENSE_IJSB_SB_EEENS0_18inequality_wrapperIN6hipcub16HIPCUB_304000_NS8EqualityEEEPlJS6_EEE10hipError_tPvRmT3_T4_T5_T6_T7_T9_mT8_P12ihipStream_tbDpT10_ENKUlT_T0_E_clISt17integral_constantIbLb0EES17_EEDaS12_S13_EUlS12_E_NS1_11comp_targetILNS1_3genE8ELNS1_11target_archE1030ELNS1_3gpuE2ELNS1_3repE0EEENS1_30default_config_static_selectorELNS0_4arch9wavefront6targetE1EEEvT1_,"axG",@progbits,_ZN7rocprim17ROCPRIM_400000_NS6detail17trampoline_kernelINS0_14default_configENS1_25partition_config_selectorILNS1_17partition_subalgoE8EiNS0_10empty_typeEbEEZZNS1_14partition_implILS5_8ELb0ES3_jPKiPS6_PKS6_NS0_5tupleIJPiS6_EEENSE_IJSB_SB_EEENS0_18inequality_wrapperIN6hipcub16HIPCUB_304000_NS8EqualityEEEPlJS6_EEE10hipError_tPvRmT3_T4_T5_T6_T7_T9_mT8_P12ihipStream_tbDpT10_ENKUlT_T0_E_clISt17integral_constantIbLb0EES17_EEDaS12_S13_EUlS12_E_NS1_11comp_targetILNS1_3genE8ELNS1_11target_archE1030ELNS1_3gpuE2ELNS1_3repE0EEENS1_30default_config_static_selectorELNS0_4arch9wavefront6targetE1EEEvT1_,comdat
.Lfunc_end185:
	.size	_ZN7rocprim17ROCPRIM_400000_NS6detail17trampoline_kernelINS0_14default_configENS1_25partition_config_selectorILNS1_17partition_subalgoE8EiNS0_10empty_typeEbEEZZNS1_14partition_implILS5_8ELb0ES3_jPKiPS6_PKS6_NS0_5tupleIJPiS6_EEENSE_IJSB_SB_EEENS0_18inequality_wrapperIN6hipcub16HIPCUB_304000_NS8EqualityEEEPlJS6_EEE10hipError_tPvRmT3_T4_T5_T6_T7_T9_mT8_P12ihipStream_tbDpT10_ENKUlT_T0_E_clISt17integral_constantIbLb0EES17_EEDaS12_S13_EUlS12_E_NS1_11comp_targetILNS1_3genE8ELNS1_11target_archE1030ELNS1_3gpuE2ELNS1_3repE0EEENS1_30default_config_static_selectorELNS0_4arch9wavefront6targetE1EEEvT1_, .Lfunc_end185-_ZN7rocprim17ROCPRIM_400000_NS6detail17trampoline_kernelINS0_14default_configENS1_25partition_config_selectorILNS1_17partition_subalgoE8EiNS0_10empty_typeEbEEZZNS1_14partition_implILS5_8ELb0ES3_jPKiPS6_PKS6_NS0_5tupleIJPiS6_EEENSE_IJSB_SB_EEENS0_18inequality_wrapperIN6hipcub16HIPCUB_304000_NS8EqualityEEEPlJS6_EEE10hipError_tPvRmT3_T4_T5_T6_T7_T9_mT8_P12ihipStream_tbDpT10_ENKUlT_T0_E_clISt17integral_constantIbLb0EES17_EEDaS12_S13_EUlS12_E_NS1_11comp_targetILNS1_3genE8ELNS1_11target_archE1030ELNS1_3gpuE2ELNS1_3repE0EEENS1_30default_config_static_selectorELNS0_4arch9wavefront6targetE1EEEvT1_
                                        ; -- End function
	.set _ZN7rocprim17ROCPRIM_400000_NS6detail17trampoline_kernelINS0_14default_configENS1_25partition_config_selectorILNS1_17partition_subalgoE8EiNS0_10empty_typeEbEEZZNS1_14partition_implILS5_8ELb0ES3_jPKiPS6_PKS6_NS0_5tupleIJPiS6_EEENSE_IJSB_SB_EEENS0_18inequality_wrapperIN6hipcub16HIPCUB_304000_NS8EqualityEEEPlJS6_EEE10hipError_tPvRmT3_T4_T5_T6_T7_T9_mT8_P12ihipStream_tbDpT10_ENKUlT_T0_E_clISt17integral_constantIbLb0EES17_EEDaS12_S13_EUlS12_E_NS1_11comp_targetILNS1_3genE8ELNS1_11target_archE1030ELNS1_3gpuE2ELNS1_3repE0EEENS1_30default_config_static_selectorELNS0_4arch9wavefront6targetE1EEEvT1_.num_vgpr, 0
	.set _ZN7rocprim17ROCPRIM_400000_NS6detail17trampoline_kernelINS0_14default_configENS1_25partition_config_selectorILNS1_17partition_subalgoE8EiNS0_10empty_typeEbEEZZNS1_14partition_implILS5_8ELb0ES3_jPKiPS6_PKS6_NS0_5tupleIJPiS6_EEENSE_IJSB_SB_EEENS0_18inequality_wrapperIN6hipcub16HIPCUB_304000_NS8EqualityEEEPlJS6_EEE10hipError_tPvRmT3_T4_T5_T6_T7_T9_mT8_P12ihipStream_tbDpT10_ENKUlT_T0_E_clISt17integral_constantIbLb0EES17_EEDaS12_S13_EUlS12_E_NS1_11comp_targetILNS1_3genE8ELNS1_11target_archE1030ELNS1_3gpuE2ELNS1_3repE0EEENS1_30default_config_static_selectorELNS0_4arch9wavefront6targetE1EEEvT1_.num_agpr, 0
	.set _ZN7rocprim17ROCPRIM_400000_NS6detail17trampoline_kernelINS0_14default_configENS1_25partition_config_selectorILNS1_17partition_subalgoE8EiNS0_10empty_typeEbEEZZNS1_14partition_implILS5_8ELb0ES3_jPKiPS6_PKS6_NS0_5tupleIJPiS6_EEENSE_IJSB_SB_EEENS0_18inequality_wrapperIN6hipcub16HIPCUB_304000_NS8EqualityEEEPlJS6_EEE10hipError_tPvRmT3_T4_T5_T6_T7_T9_mT8_P12ihipStream_tbDpT10_ENKUlT_T0_E_clISt17integral_constantIbLb0EES17_EEDaS12_S13_EUlS12_E_NS1_11comp_targetILNS1_3genE8ELNS1_11target_archE1030ELNS1_3gpuE2ELNS1_3repE0EEENS1_30default_config_static_selectorELNS0_4arch9wavefront6targetE1EEEvT1_.numbered_sgpr, 0
	.set _ZN7rocprim17ROCPRIM_400000_NS6detail17trampoline_kernelINS0_14default_configENS1_25partition_config_selectorILNS1_17partition_subalgoE8EiNS0_10empty_typeEbEEZZNS1_14partition_implILS5_8ELb0ES3_jPKiPS6_PKS6_NS0_5tupleIJPiS6_EEENSE_IJSB_SB_EEENS0_18inequality_wrapperIN6hipcub16HIPCUB_304000_NS8EqualityEEEPlJS6_EEE10hipError_tPvRmT3_T4_T5_T6_T7_T9_mT8_P12ihipStream_tbDpT10_ENKUlT_T0_E_clISt17integral_constantIbLb0EES17_EEDaS12_S13_EUlS12_E_NS1_11comp_targetILNS1_3genE8ELNS1_11target_archE1030ELNS1_3gpuE2ELNS1_3repE0EEENS1_30default_config_static_selectorELNS0_4arch9wavefront6targetE1EEEvT1_.num_named_barrier, 0
	.set _ZN7rocprim17ROCPRIM_400000_NS6detail17trampoline_kernelINS0_14default_configENS1_25partition_config_selectorILNS1_17partition_subalgoE8EiNS0_10empty_typeEbEEZZNS1_14partition_implILS5_8ELb0ES3_jPKiPS6_PKS6_NS0_5tupleIJPiS6_EEENSE_IJSB_SB_EEENS0_18inequality_wrapperIN6hipcub16HIPCUB_304000_NS8EqualityEEEPlJS6_EEE10hipError_tPvRmT3_T4_T5_T6_T7_T9_mT8_P12ihipStream_tbDpT10_ENKUlT_T0_E_clISt17integral_constantIbLb0EES17_EEDaS12_S13_EUlS12_E_NS1_11comp_targetILNS1_3genE8ELNS1_11target_archE1030ELNS1_3gpuE2ELNS1_3repE0EEENS1_30default_config_static_selectorELNS0_4arch9wavefront6targetE1EEEvT1_.private_seg_size, 0
	.set _ZN7rocprim17ROCPRIM_400000_NS6detail17trampoline_kernelINS0_14default_configENS1_25partition_config_selectorILNS1_17partition_subalgoE8EiNS0_10empty_typeEbEEZZNS1_14partition_implILS5_8ELb0ES3_jPKiPS6_PKS6_NS0_5tupleIJPiS6_EEENSE_IJSB_SB_EEENS0_18inequality_wrapperIN6hipcub16HIPCUB_304000_NS8EqualityEEEPlJS6_EEE10hipError_tPvRmT3_T4_T5_T6_T7_T9_mT8_P12ihipStream_tbDpT10_ENKUlT_T0_E_clISt17integral_constantIbLb0EES17_EEDaS12_S13_EUlS12_E_NS1_11comp_targetILNS1_3genE8ELNS1_11target_archE1030ELNS1_3gpuE2ELNS1_3repE0EEENS1_30default_config_static_selectorELNS0_4arch9wavefront6targetE1EEEvT1_.uses_vcc, 0
	.set _ZN7rocprim17ROCPRIM_400000_NS6detail17trampoline_kernelINS0_14default_configENS1_25partition_config_selectorILNS1_17partition_subalgoE8EiNS0_10empty_typeEbEEZZNS1_14partition_implILS5_8ELb0ES3_jPKiPS6_PKS6_NS0_5tupleIJPiS6_EEENSE_IJSB_SB_EEENS0_18inequality_wrapperIN6hipcub16HIPCUB_304000_NS8EqualityEEEPlJS6_EEE10hipError_tPvRmT3_T4_T5_T6_T7_T9_mT8_P12ihipStream_tbDpT10_ENKUlT_T0_E_clISt17integral_constantIbLb0EES17_EEDaS12_S13_EUlS12_E_NS1_11comp_targetILNS1_3genE8ELNS1_11target_archE1030ELNS1_3gpuE2ELNS1_3repE0EEENS1_30default_config_static_selectorELNS0_4arch9wavefront6targetE1EEEvT1_.uses_flat_scratch, 0
	.set _ZN7rocprim17ROCPRIM_400000_NS6detail17trampoline_kernelINS0_14default_configENS1_25partition_config_selectorILNS1_17partition_subalgoE8EiNS0_10empty_typeEbEEZZNS1_14partition_implILS5_8ELb0ES3_jPKiPS6_PKS6_NS0_5tupleIJPiS6_EEENSE_IJSB_SB_EEENS0_18inequality_wrapperIN6hipcub16HIPCUB_304000_NS8EqualityEEEPlJS6_EEE10hipError_tPvRmT3_T4_T5_T6_T7_T9_mT8_P12ihipStream_tbDpT10_ENKUlT_T0_E_clISt17integral_constantIbLb0EES17_EEDaS12_S13_EUlS12_E_NS1_11comp_targetILNS1_3genE8ELNS1_11target_archE1030ELNS1_3gpuE2ELNS1_3repE0EEENS1_30default_config_static_selectorELNS0_4arch9wavefront6targetE1EEEvT1_.has_dyn_sized_stack, 0
	.set _ZN7rocprim17ROCPRIM_400000_NS6detail17trampoline_kernelINS0_14default_configENS1_25partition_config_selectorILNS1_17partition_subalgoE8EiNS0_10empty_typeEbEEZZNS1_14partition_implILS5_8ELb0ES3_jPKiPS6_PKS6_NS0_5tupleIJPiS6_EEENSE_IJSB_SB_EEENS0_18inequality_wrapperIN6hipcub16HIPCUB_304000_NS8EqualityEEEPlJS6_EEE10hipError_tPvRmT3_T4_T5_T6_T7_T9_mT8_P12ihipStream_tbDpT10_ENKUlT_T0_E_clISt17integral_constantIbLb0EES17_EEDaS12_S13_EUlS12_E_NS1_11comp_targetILNS1_3genE8ELNS1_11target_archE1030ELNS1_3gpuE2ELNS1_3repE0EEENS1_30default_config_static_selectorELNS0_4arch9wavefront6targetE1EEEvT1_.has_recursion, 0
	.set _ZN7rocprim17ROCPRIM_400000_NS6detail17trampoline_kernelINS0_14default_configENS1_25partition_config_selectorILNS1_17partition_subalgoE8EiNS0_10empty_typeEbEEZZNS1_14partition_implILS5_8ELb0ES3_jPKiPS6_PKS6_NS0_5tupleIJPiS6_EEENSE_IJSB_SB_EEENS0_18inequality_wrapperIN6hipcub16HIPCUB_304000_NS8EqualityEEEPlJS6_EEE10hipError_tPvRmT3_T4_T5_T6_T7_T9_mT8_P12ihipStream_tbDpT10_ENKUlT_T0_E_clISt17integral_constantIbLb0EES17_EEDaS12_S13_EUlS12_E_NS1_11comp_targetILNS1_3genE8ELNS1_11target_archE1030ELNS1_3gpuE2ELNS1_3repE0EEENS1_30default_config_static_selectorELNS0_4arch9wavefront6targetE1EEEvT1_.has_indirect_call, 0
	.section	.AMDGPU.csdata,"",@progbits
; Kernel info:
; codeLenInByte = 0
; TotalNumSgprs: 6
; NumVgprs: 0
; NumAgprs: 0
; TotalNumVgprs: 0
; ScratchSize: 0
; MemoryBound: 0
; FloatMode: 240
; IeeeMode: 1
; LDSByteSize: 0 bytes/workgroup (compile time only)
; SGPRBlocks: 0
; VGPRBlocks: 0
; NumSGPRsForWavesPerEU: 6
; NumVGPRsForWavesPerEU: 1
; AccumOffset: 4
; Occupancy: 8
; WaveLimiterHint : 0
; COMPUTE_PGM_RSRC2:SCRATCH_EN: 0
; COMPUTE_PGM_RSRC2:USER_SGPR: 2
; COMPUTE_PGM_RSRC2:TRAP_HANDLER: 0
; COMPUTE_PGM_RSRC2:TGID_X_EN: 1
; COMPUTE_PGM_RSRC2:TGID_Y_EN: 0
; COMPUTE_PGM_RSRC2:TGID_Z_EN: 0
; COMPUTE_PGM_RSRC2:TIDIG_COMP_CNT: 0
; COMPUTE_PGM_RSRC3_GFX90A:ACCUM_OFFSET: 0
; COMPUTE_PGM_RSRC3_GFX90A:TG_SPLIT: 0
	.section	.text._ZN7rocprim17ROCPRIM_400000_NS6detail17trampoline_kernelINS0_14default_configENS1_25transform_config_selectorImLb1EEEZNS1_14transform_implILb1ES3_S5_PmPlNS0_8identityIvEEEE10hipError_tT2_T3_mT4_P12ihipStream_tbEUlT_E_NS1_11comp_targetILNS1_3genE0ELNS1_11target_archE4294967295ELNS1_3gpuE0ELNS1_3repE0EEENS1_30default_config_static_selectorELNS0_4arch9wavefront6targetE1EEEvT1_,"axG",@progbits,_ZN7rocprim17ROCPRIM_400000_NS6detail17trampoline_kernelINS0_14default_configENS1_25transform_config_selectorImLb1EEEZNS1_14transform_implILb1ES3_S5_PmPlNS0_8identityIvEEEE10hipError_tT2_T3_mT4_P12ihipStream_tbEUlT_E_NS1_11comp_targetILNS1_3genE0ELNS1_11target_archE4294967295ELNS1_3gpuE0ELNS1_3repE0EEENS1_30default_config_static_selectorELNS0_4arch9wavefront6targetE1EEEvT1_,comdat
	.protected	_ZN7rocprim17ROCPRIM_400000_NS6detail17trampoline_kernelINS0_14default_configENS1_25transform_config_selectorImLb1EEEZNS1_14transform_implILb1ES3_S5_PmPlNS0_8identityIvEEEE10hipError_tT2_T3_mT4_P12ihipStream_tbEUlT_E_NS1_11comp_targetILNS1_3genE0ELNS1_11target_archE4294967295ELNS1_3gpuE0ELNS1_3repE0EEENS1_30default_config_static_selectorELNS0_4arch9wavefront6targetE1EEEvT1_ ; -- Begin function _ZN7rocprim17ROCPRIM_400000_NS6detail17trampoline_kernelINS0_14default_configENS1_25transform_config_selectorImLb1EEEZNS1_14transform_implILb1ES3_S5_PmPlNS0_8identityIvEEEE10hipError_tT2_T3_mT4_P12ihipStream_tbEUlT_E_NS1_11comp_targetILNS1_3genE0ELNS1_11target_archE4294967295ELNS1_3gpuE0ELNS1_3repE0EEENS1_30default_config_static_selectorELNS0_4arch9wavefront6targetE1EEEvT1_
	.globl	_ZN7rocprim17ROCPRIM_400000_NS6detail17trampoline_kernelINS0_14default_configENS1_25transform_config_selectorImLb1EEEZNS1_14transform_implILb1ES3_S5_PmPlNS0_8identityIvEEEE10hipError_tT2_T3_mT4_P12ihipStream_tbEUlT_E_NS1_11comp_targetILNS1_3genE0ELNS1_11target_archE4294967295ELNS1_3gpuE0ELNS1_3repE0EEENS1_30default_config_static_selectorELNS0_4arch9wavefront6targetE1EEEvT1_
	.p2align	8
	.type	_ZN7rocprim17ROCPRIM_400000_NS6detail17trampoline_kernelINS0_14default_configENS1_25transform_config_selectorImLb1EEEZNS1_14transform_implILb1ES3_S5_PmPlNS0_8identityIvEEEE10hipError_tT2_T3_mT4_P12ihipStream_tbEUlT_E_NS1_11comp_targetILNS1_3genE0ELNS1_11target_archE4294967295ELNS1_3gpuE0ELNS1_3repE0EEENS1_30default_config_static_selectorELNS0_4arch9wavefront6targetE1EEEvT1_,@function
_ZN7rocprim17ROCPRIM_400000_NS6detail17trampoline_kernelINS0_14default_configENS1_25transform_config_selectorImLb1EEEZNS1_14transform_implILb1ES3_S5_PmPlNS0_8identityIvEEEE10hipError_tT2_T3_mT4_P12ihipStream_tbEUlT_E_NS1_11comp_targetILNS1_3genE0ELNS1_11target_archE4294967295ELNS1_3gpuE0ELNS1_3repE0EEENS1_30default_config_static_selectorELNS0_4arch9wavefront6targetE1EEEvT1_: ; @_ZN7rocprim17ROCPRIM_400000_NS6detail17trampoline_kernelINS0_14default_configENS1_25transform_config_selectorImLb1EEEZNS1_14transform_implILb1ES3_S5_PmPlNS0_8identityIvEEEE10hipError_tT2_T3_mT4_P12ihipStream_tbEUlT_E_NS1_11comp_targetILNS1_3genE0ELNS1_11target_archE4294967295ELNS1_3gpuE0ELNS1_3repE0EEENS1_30default_config_static_selectorELNS0_4arch9wavefront6targetE1EEEvT1_
; %bb.0:
	s_load_dword s3, s[0:1], 0x28
	s_load_dword s5, s[0:1], 0x10
	s_lshl_b32 s4, s2, 7
	s_waitcnt lgkmcnt(0)
	s_add_i32 s3, s3, -1
	s_cmp_lg_u32 s2, s3
	s_cselect_b64 s[2:3], -1, 0
	s_sub_i32 s5, s5, s4
	v_cmp_gt_u32_e32 vcc, s5, v0
	s_or_b64 s[2:3], vcc, s[2:3]
	s_and_saveexec_b64 s[6:7], s[2:3]
	s_cbranch_execz .LBB186_2
; %bb.1:
	s_load_dwordx4 s[8:11], s[0:1], 0x0
	s_load_dwordx2 s[2:3], s[0:1], 0x18
	s_mov_b32 s5, 0
	v_lshlrev_b32_e32 v2, 3, v0
	s_waitcnt lgkmcnt(0)
	s_lshl_b64 s[0:1], s[10:11], 3
	s_add_u32 s6, s8, s0
	s_addc_u32 s7, s9, s1
	s_lshl_b64 s[4:5], s[4:5], 3
	s_add_u32 s6, s6, s4
	s_addc_u32 s7, s7, s5
	global_load_dwordx2 v[0:1], v2, s[6:7]
	s_add_u32 s0, s2, s0
	s_addc_u32 s1, s3, s1
	s_add_u32 s0, s0, s4
	s_addc_u32 s1, s1, s5
	s_waitcnt vmcnt(0)
	global_store_dwordx2 v2, v[0:1], s[0:1]
.LBB186_2:
	s_endpgm
	.section	.rodata,"a",@progbits
	.p2align	6, 0x0
	.amdhsa_kernel _ZN7rocprim17ROCPRIM_400000_NS6detail17trampoline_kernelINS0_14default_configENS1_25transform_config_selectorImLb1EEEZNS1_14transform_implILb1ES3_S5_PmPlNS0_8identityIvEEEE10hipError_tT2_T3_mT4_P12ihipStream_tbEUlT_E_NS1_11comp_targetILNS1_3genE0ELNS1_11target_archE4294967295ELNS1_3gpuE0ELNS1_3repE0EEENS1_30default_config_static_selectorELNS0_4arch9wavefront6targetE1EEEvT1_
		.amdhsa_group_segment_fixed_size 0
		.amdhsa_private_segment_fixed_size 0
		.amdhsa_kernarg_size 296
		.amdhsa_user_sgpr_count 2
		.amdhsa_user_sgpr_dispatch_ptr 0
		.amdhsa_user_sgpr_queue_ptr 0
		.amdhsa_user_sgpr_kernarg_segment_ptr 1
		.amdhsa_user_sgpr_dispatch_id 0
		.amdhsa_user_sgpr_kernarg_preload_length 0
		.amdhsa_user_sgpr_kernarg_preload_offset 0
		.amdhsa_user_sgpr_private_segment_size 0
		.amdhsa_uses_dynamic_stack 0
		.amdhsa_enable_private_segment 0
		.amdhsa_system_sgpr_workgroup_id_x 1
		.amdhsa_system_sgpr_workgroup_id_y 0
		.amdhsa_system_sgpr_workgroup_id_z 0
		.amdhsa_system_sgpr_workgroup_info 0
		.amdhsa_system_vgpr_workitem_id 0
		.amdhsa_next_free_vgpr 3
		.amdhsa_next_free_sgpr 12
		.amdhsa_accum_offset 4
		.amdhsa_reserve_vcc 1
		.amdhsa_float_round_mode_32 0
		.amdhsa_float_round_mode_16_64 0
		.amdhsa_float_denorm_mode_32 3
		.amdhsa_float_denorm_mode_16_64 3
		.amdhsa_dx10_clamp 1
		.amdhsa_ieee_mode 1
		.amdhsa_fp16_overflow 0
		.amdhsa_tg_split 0
		.amdhsa_exception_fp_ieee_invalid_op 0
		.amdhsa_exception_fp_denorm_src 0
		.amdhsa_exception_fp_ieee_div_zero 0
		.amdhsa_exception_fp_ieee_overflow 0
		.amdhsa_exception_fp_ieee_underflow 0
		.amdhsa_exception_fp_ieee_inexact 0
		.amdhsa_exception_int_div_zero 0
	.end_amdhsa_kernel
	.section	.text._ZN7rocprim17ROCPRIM_400000_NS6detail17trampoline_kernelINS0_14default_configENS1_25transform_config_selectorImLb1EEEZNS1_14transform_implILb1ES3_S5_PmPlNS0_8identityIvEEEE10hipError_tT2_T3_mT4_P12ihipStream_tbEUlT_E_NS1_11comp_targetILNS1_3genE0ELNS1_11target_archE4294967295ELNS1_3gpuE0ELNS1_3repE0EEENS1_30default_config_static_selectorELNS0_4arch9wavefront6targetE1EEEvT1_,"axG",@progbits,_ZN7rocprim17ROCPRIM_400000_NS6detail17trampoline_kernelINS0_14default_configENS1_25transform_config_selectorImLb1EEEZNS1_14transform_implILb1ES3_S5_PmPlNS0_8identityIvEEEE10hipError_tT2_T3_mT4_P12ihipStream_tbEUlT_E_NS1_11comp_targetILNS1_3genE0ELNS1_11target_archE4294967295ELNS1_3gpuE0ELNS1_3repE0EEENS1_30default_config_static_selectorELNS0_4arch9wavefront6targetE1EEEvT1_,comdat
.Lfunc_end186:
	.size	_ZN7rocprim17ROCPRIM_400000_NS6detail17trampoline_kernelINS0_14default_configENS1_25transform_config_selectorImLb1EEEZNS1_14transform_implILb1ES3_S5_PmPlNS0_8identityIvEEEE10hipError_tT2_T3_mT4_P12ihipStream_tbEUlT_E_NS1_11comp_targetILNS1_3genE0ELNS1_11target_archE4294967295ELNS1_3gpuE0ELNS1_3repE0EEENS1_30default_config_static_selectorELNS0_4arch9wavefront6targetE1EEEvT1_, .Lfunc_end186-_ZN7rocprim17ROCPRIM_400000_NS6detail17trampoline_kernelINS0_14default_configENS1_25transform_config_selectorImLb1EEEZNS1_14transform_implILb1ES3_S5_PmPlNS0_8identityIvEEEE10hipError_tT2_T3_mT4_P12ihipStream_tbEUlT_E_NS1_11comp_targetILNS1_3genE0ELNS1_11target_archE4294967295ELNS1_3gpuE0ELNS1_3repE0EEENS1_30default_config_static_selectorELNS0_4arch9wavefront6targetE1EEEvT1_
                                        ; -- End function
	.set _ZN7rocprim17ROCPRIM_400000_NS6detail17trampoline_kernelINS0_14default_configENS1_25transform_config_selectorImLb1EEEZNS1_14transform_implILb1ES3_S5_PmPlNS0_8identityIvEEEE10hipError_tT2_T3_mT4_P12ihipStream_tbEUlT_E_NS1_11comp_targetILNS1_3genE0ELNS1_11target_archE4294967295ELNS1_3gpuE0ELNS1_3repE0EEENS1_30default_config_static_selectorELNS0_4arch9wavefront6targetE1EEEvT1_.num_vgpr, 3
	.set _ZN7rocprim17ROCPRIM_400000_NS6detail17trampoline_kernelINS0_14default_configENS1_25transform_config_selectorImLb1EEEZNS1_14transform_implILb1ES3_S5_PmPlNS0_8identityIvEEEE10hipError_tT2_T3_mT4_P12ihipStream_tbEUlT_E_NS1_11comp_targetILNS1_3genE0ELNS1_11target_archE4294967295ELNS1_3gpuE0ELNS1_3repE0EEENS1_30default_config_static_selectorELNS0_4arch9wavefront6targetE1EEEvT1_.num_agpr, 0
	.set _ZN7rocprim17ROCPRIM_400000_NS6detail17trampoline_kernelINS0_14default_configENS1_25transform_config_selectorImLb1EEEZNS1_14transform_implILb1ES3_S5_PmPlNS0_8identityIvEEEE10hipError_tT2_T3_mT4_P12ihipStream_tbEUlT_E_NS1_11comp_targetILNS1_3genE0ELNS1_11target_archE4294967295ELNS1_3gpuE0ELNS1_3repE0EEENS1_30default_config_static_selectorELNS0_4arch9wavefront6targetE1EEEvT1_.numbered_sgpr, 12
	.set _ZN7rocprim17ROCPRIM_400000_NS6detail17trampoline_kernelINS0_14default_configENS1_25transform_config_selectorImLb1EEEZNS1_14transform_implILb1ES3_S5_PmPlNS0_8identityIvEEEE10hipError_tT2_T3_mT4_P12ihipStream_tbEUlT_E_NS1_11comp_targetILNS1_3genE0ELNS1_11target_archE4294967295ELNS1_3gpuE0ELNS1_3repE0EEENS1_30default_config_static_selectorELNS0_4arch9wavefront6targetE1EEEvT1_.num_named_barrier, 0
	.set _ZN7rocprim17ROCPRIM_400000_NS6detail17trampoline_kernelINS0_14default_configENS1_25transform_config_selectorImLb1EEEZNS1_14transform_implILb1ES3_S5_PmPlNS0_8identityIvEEEE10hipError_tT2_T3_mT4_P12ihipStream_tbEUlT_E_NS1_11comp_targetILNS1_3genE0ELNS1_11target_archE4294967295ELNS1_3gpuE0ELNS1_3repE0EEENS1_30default_config_static_selectorELNS0_4arch9wavefront6targetE1EEEvT1_.private_seg_size, 0
	.set _ZN7rocprim17ROCPRIM_400000_NS6detail17trampoline_kernelINS0_14default_configENS1_25transform_config_selectorImLb1EEEZNS1_14transform_implILb1ES3_S5_PmPlNS0_8identityIvEEEE10hipError_tT2_T3_mT4_P12ihipStream_tbEUlT_E_NS1_11comp_targetILNS1_3genE0ELNS1_11target_archE4294967295ELNS1_3gpuE0ELNS1_3repE0EEENS1_30default_config_static_selectorELNS0_4arch9wavefront6targetE1EEEvT1_.uses_vcc, 1
	.set _ZN7rocprim17ROCPRIM_400000_NS6detail17trampoline_kernelINS0_14default_configENS1_25transform_config_selectorImLb1EEEZNS1_14transform_implILb1ES3_S5_PmPlNS0_8identityIvEEEE10hipError_tT2_T3_mT4_P12ihipStream_tbEUlT_E_NS1_11comp_targetILNS1_3genE0ELNS1_11target_archE4294967295ELNS1_3gpuE0ELNS1_3repE0EEENS1_30default_config_static_selectorELNS0_4arch9wavefront6targetE1EEEvT1_.uses_flat_scratch, 0
	.set _ZN7rocprim17ROCPRIM_400000_NS6detail17trampoline_kernelINS0_14default_configENS1_25transform_config_selectorImLb1EEEZNS1_14transform_implILb1ES3_S5_PmPlNS0_8identityIvEEEE10hipError_tT2_T3_mT4_P12ihipStream_tbEUlT_E_NS1_11comp_targetILNS1_3genE0ELNS1_11target_archE4294967295ELNS1_3gpuE0ELNS1_3repE0EEENS1_30default_config_static_selectorELNS0_4arch9wavefront6targetE1EEEvT1_.has_dyn_sized_stack, 0
	.set _ZN7rocprim17ROCPRIM_400000_NS6detail17trampoline_kernelINS0_14default_configENS1_25transform_config_selectorImLb1EEEZNS1_14transform_implILb1ES3_S5_PmPlNS0_8identityIvEEEE10hipError_tT2_T3_mT4_P12ihipStream_tbEUlT_E_NS1_11comp_targetILNS1_3genE0ELNS1_11target_archE4294967295ELNS1_3gpuE0ELNS1_3repE0EEENS1_30default_config_static_selectorELNS0_4arch9wavefront6targetE1EEEvT1_.has_recursion, 0
	.set _ZN7rocprim17ROCPRIM_400000_NS6detail17trampoline_kernelINS0_14default_configENS1_25transform_config_selectorImLb1EEEZNS1_14transform_implILb1ES3_S5_PmPlNS0_8identityIvEEEE10hipError_tT2_T3_mT4_P12ihipStream_tbEUlT_E_NS1_11comp_targetILNS1_3genE0ELNS1_11target_archE4294967295ELNS1_3gpuE0ELNS1_3repE0EEENS1_30default_config_static_selectorELNS0_4arch9wavefront6targetE1EEEvT1_.has_indirect_call, 0
	.section	.AMDGPU.csdata,"",@progbits
; Kernel info:
; codeLenInByte = 148
; TotalNumSgprs: 18
; NumVgprs: 3
; NumAgprs: 0
; TotalNumVgprs: 3
; ScratchSize: 0
; MemoryBound: 0
; FloatMode: 240
; IeeeMode: 1
; LDSByteSize: 0 bytes/workgroup (compile time only)
; SGPRBlocks: 2
; VGPRBlocks: 0
; NumSGPRsForWavesPerEU: 18
; NumVGPRsForWavesPerEU: 3
; AccumOffset: 4
; Occupancy: 8
; WaveLimiterHint : 0
; COMPUTE_PGM_RSRC2:SCRATCH_EN: 0
; COMPUTE_PGM_RSRC2:USER_SGPR: 2
; COMPUTE_PGM_RSRC2:TRAP_HANDLER: 0
; COMPUTE_PGM_RSRC2:TGID_X_EN: 1
; COMPUTE_PGM_RSRC2:TGID_Y_EN: 0
; COMPUTE_PGM_RSRC2:TGID_Z_EN: 0
; COMPUTE_PGM_RSRC2:TIDIG_COMP_CNT: 0
; COMPUTE_PGM_RSRC3_GFX90A:ACCUM_OFFSET: 0
; COMPUTE_PGM_RSRC3_GFX90A:TG_SPLIT: 0
	.section	.text._ZN7rocprim17ROCPRIM_400000_NS6detail17trampoline_kernelINS0_14default_configENS1_25transform_config_selectorImLb1EEEZNS1_14transform_implILb1ES3_S5_PmPlNS0_8identityIvEEEE10hipError_tT2_T3_mT4_P12ihipStream_tbEUlT_E_NS1_11comp_targetILNS1_3genE10ELNS1_11target_archE1201ELNS1_3gpuE5ELNS1_3repE0EEENS1_30default_config_static_selectorELNS0_4arch9wavefront6targetE1EEEvT1_,"axG",@progbits,_ZN7rocprim17ROCPRIM_400000_NS6detail17trampoline_kernelINS0_14default_configENS1_25transform_config_selectorImLb1EEEZNS1_14transform_implILb1ES3_S5_PmPlNS0_8identityIvEEEE10hipError_tT2_T3_mT4_P12ihipStream_tbEUlT_E_NS1_11comp_targetILNS1_3genE10ELNS1_11target_archE1201ELNS1_3gpuE5ELNS1_3repE0EEENS1_30default_config_static_selectorELNS0_4arch9wavefront6targetE1EEEvT1_,comdat
	.protected	_ZN7rocprim17ROCPRIM_400000_NS6detail17trampoline_kernelINS0_14default_configENS1_25transform_config_selectorImLb1EEEZNS1_14transform_implILb1ES3_S5_PmPlNS0_8identityIvEEEE10hipError_tT2_T3_mT4_P12ihipStream_tbEUlT_E_NS1_11comp_targetILNS1_3genE10ELNS1_11target_archE1201ELNS1_3gpuE5ELNS1_3repE0EEENS1_30default_config_static_selectorELNS0_4arch9wavefront6targetE1EEEvT1_ ; -- Begin function _ZN7rocprim17ROCPRIM_400000_NS6detail17trampoline_kernelINS0_14default_configENS1_25transform_config_selectorImLb1EEEZNS1_14transform_implILb1ES3_S5_PmPlNS0_8identityIvEEEE10hipError_tT2_T3_mT4_P12ihipStream_tbEUlT_E_NS1_11comp_targetILNS1_3genE10ELNS1_11target_archE1201ELNS1_3gpuE5ELNS1_3repE0EEENS1_30default_config_static_selectorELNS0_4arch9wavefront6targetE1EEEvT1_
	.globl	_ZN7rocprim17ROCPRIM_400000_NS6detail17trampoline_kernelINS0_14default_configENS1_25transform_config_selectorImLb1EEEZNS1_14transform_implILb1ES3_S5_PmPlNS0_8identityIvEEEE10hipError_tT2_T3_mT4_P12ihipStream_tbEUlT_E_NS1_11comp_targetILNS1_3genE10ELNS1_11target_archE1201ELNS1_3gpuE5ELNS1_3repE0EEENS1_30default_config_static_selectorELNS0_4arch9wavefront6targetE1EEEvT1_
	.p2align	8
	.type	_ZN7rocprim17ROCPRIM_400000_NS6detail17trampoline_kernelINS0_14default_configENS1_25transform_config_selectorImLb1EEEZNS1_14transform_implILb1ES3_S5_PmPlNS0_8identityIvEEEE10hipError_tT2_T3_mT4_P12ihipStream_tbEUlT_E_NS1_11comp_targetILNS1_3genE10ELNS1_11target_archE1201ELNS1_3gpuE5ELNS1_3repE0EEENS1_30default_config_static_selectorELNS0_4arch9wavefront6targetE1EEEvT1_,@function
_ZN7rocprim17ROCPRIM_400000_NS6detail17trampoline_kernelINS0_14default_configENS1_25transform_config_selectorImLb1EEEZNS1_14transform_implILb1ES3_S5_PmPlNS0_8identityIvEEEE10hipError_tT2_T3_mT4_P12ihipStream_tbEUlT_E_NS1_11comp_targetILNS1_3genE10ELNS1_11target_archE1201ELNS1_3gpuE5ELNS1_3repE0EEENS1_30default_config_static_selectorELNS0_4arch9wavefront6targetE1EEEvT1_: ; @_ZN7rocprim17ROCPRIM_400000_NS6detail17trampoline_kernelINS0_14default_configENS1_25transform_config_selectorImLb1EEEZNS1_14transform_implILb1ES3_S5_PmPlNS0_8identityIvEEEE10hipError_tT2_T3_mT4_P12ihipStream_tbEUlT_E_NS1_11comp_targetILNS1_3genE10ELNS1_11target_archE1201ELNS1_3gpuE5ELNS1_3repE0EEENS1_30default_config_static_selectorELNS0_4arch9wavefront6targetE1EEEvT1_
; %bb.0:
	.section	.rodata,"a",@progbits
	.p2align	6, 0x0
	.amdhsa_kernel _ZN7rocprim17ROCPRIM_400000_NS6detail17trampoline_kernelINS0_14default_configENS1_25transform_config_selectorImLb1EEEZNS1_14transform_implILb1ES3_S5_PmPlNS0_8identityIvEEEE10hipError_tT2_T3_mT4_P12ihipStream_tbEUlT_E_NS1_11comp_targetILNS1_3genE10ELNS1_11target_archE1201ELNS1_3gpuE5ELNS1_3repE0EEENS1_30default_config_static_selectorELNS0_4arch9wavefront6targetE1EEEvT1_
		.amdhsa_group_segment_fixed_size 0
		.amdhsa_private_segment_fixed_size 0
		.amdhsa_kernarg_size 40
		.amdhsa_user_sgpr_count 2
		.amdhsa_user_sgpr_dispatch_ptr 0
		.amdhsa_user_sgpr_queue_ptr 0
		.amdhsa_user_sgpr_kernarg_segment_ptr 1
		.amdhsa_user_sgpr_dispatch_id 0
		.amdhsa_user_sgpr_kernarg_preload_length 0
		.amdhsa_user_sgpr_kernarg_preload_offset 0
		.amdhsa_user_sgpr_private_segment_size 0
		.amdhsa_uses_dynamic_stack 0
		.amdhsa_enable_private_segment 0
		.amdhsa_system_sgpr_workgroup_id_x 1
		.amdhsa_system_sgpr_workgroup_id_y 0
		.amdhsa_system_sgpr_workgroup_id_z 0
		.amdhsa_system_sgpr_workgroup_info 0
		.amdhsa_system_vgpr_workitem_id 0
		.amdhsa_next_free_vgpr 1
		.amdhsa_next_free_sgpr 0
		.amdhsa_accum_offset 4
		.amdhsa_reserve_vcc 0
		.amdhsa_float_round_mode_32 0
		.amdhsa_float_round_mode_16_64 0
		.amdhsa_float_denorm_mode_32 3
		.amdhsa_float_denorm_mode_16_64 3
		.amdhsa_dx10_clamp 1
		.amdhsa_ieee_mode 1
		.amdhsa_fp16_overflow 0
		.amdhsa_tg_split 0
		.amdhsa_exception_fp_ieee_invalid_op 0
		.amdhsa_exception_fp_denorm_src 0
		.amdhsa_exception_fp_ieee_div_zero 0
		.amdhsa_exception_fp_ieee_overflow 0
		.amdhsa_exception_fp_ieee_underflow 0
		.amdhsa_exception_fp_ieee_inexact 0
		.amdhsa_exception_int_div_zero 0
	.end_amdhsa_kernel
	.section	.text._ZN7rocprim17ROCPRIM_400000_NS6detail17trampoline_kernelINS0_14default_configENS1_25transform_config_selectorImLb1EEEZNS1_14transform_implILb1ES3_S5_PmPlNS0_8identityIvEEEE10hipError_tT2_T3_mT4_P12ihipStream_tbEUlT_E_NS1_11comp_targetILNS1_3genE10ELNS1_11target_archE1201ELNS1_3gpuE5ELNS1_3repE0EEENS1_30default_config_static_selectorELNS0_4arch9wavefront6targetE1EEEvT1_,"axG",@progbits,_ZN7rocprim17ROCPRIM_400000_NS6detail17trampoline_kernelINS0_14default_configENS1_25transform_config_selectorImLb1EEEZNS1_14transform_implILb1ES3_S5_PmPlNS0_8identityIvEEEE10hipError_tT2_T3_mT4_P12ihipStream_tbEUlT_E_NS1_11comp_targetILNS1_3genE10ELNS1_11target_archE1201ELNS1_3gpuE5ELNS1_3repE0EEENS1_30default_config_static_selectorELNS0_4arch9wavefront6targetE1EEEvT1_,comdat
.Lfunc_end187:
	.size	_ZN7rocprim17ROCPRIM_400000_NS6detail17trampoline_kernelINS0_14default_configENS1_25transform_config_selectorImLb1EEEZNS1_14transform_implILb1ES3_S5_PmPlNS0_8identityIvEEEE10hipError_tT2_T3_mT4_P12ihipStream_tbEUlT_E_NS1_11comp_targetILNS1_3genE10ELNS1_11target_archE1201ELNS1_3gpuE5ELNS1_3repE0EEENS1_30default_config_static_selectorELNS0_4arch9wavefront6targetE1EEEvT1_, .Lfunc_end187-_ZN7rocprim17ROCPRIM_400000_NS6detail17trampoline_kernelINS0_14default_configENS1_25transform_config_selectorImLb1EEEZNS1_14transform_implILb1ES3_S5_PmPlNS0_8identityIvEEEE10hipError_tT2_T3_mT4_P12ihipStream_tbEUlT_E_NS1_11comp_targetILNS1_3genE10ELNS1_11target_archE1201ELNS1_3gpuE5ELNS1_3repE0EEENS1_30default_config_static_selectorELNS0_4arch9wavefront6targetE1EEEvT1_
                                        ; -- End function
	.set _ZN7rocprim17ROCPRIM_400000_NS6detail17trampoline_kernelINS0_14default_configENS1_25transform_config_selectorImLb1EEEZNS1_14transform_implILb1ES3_S5_PmPlNS0_8identityIvEEEE10hipError_tT2_T3_mT4_P12ihipStream_tbEUlT_E_NS1_11comp_targetILNS1_3genE10ELNS1_11target_archE1201ELNS1_3gpuE5ELNS1_3repE0EEENS1_30default_config_static_selectorELNS0_4arch9wavefront6targetE1EEEvT1_.num_vgpr, 0
	.set _ZN7rocprim17ROCPRIM_400000_NS6detail17trampoline_kernelINS0_14default_configENS1_25transform_config_selectorImLb1EEEZNS1_14transform_implILb1ES3_S5_PmPlNS0_8identityIvEEEE10hipError_tT2_T3_mT4_P12ihipStream_tbEUlT_E_NS1_11comp_targetILNS1_3genE10ELNS1_11target_archE1201ELNS1_3gpuE5ELNS1_3repE0EEENS1_30default_config_static_selectorELNS0_4arch9wavefront6targetE1EEEvT1_.num_agpr, 0
	.set _ZN7rocprim17ROCPRIM_400000_NS6detail17trampoline_kernelINS0_14default_configENS1_25transform_config_selectorImLb1EEEZNS1_14transform_implILb1ES3_S5_PmPlNS0_8identityIvEEEE10hipError_tT2_T3_mT4_P12ihipStream_tbEUlT_E_NS1_11comp_targetILNS1_3genE10ELNS1_11target_archE1201ELNS1_3gpuE5ELNS1_3repE0EEENS1_30default_config_static_selectorELNS0_4arch9wavefront6targetE1EEEvT1_.numbered_sgpr, 0
	.set _ZN7rocprim17ROCPRIM_400000_NS6detail17trampoline_kernelINS0_14default_configENS1_25transform_config_selectorImLb1EEEZNS1_14transform_implILb1ES3_S5_PmPlNS0_8identityIvEEEE10hipError_tT2_T3_mT4_P12ihipStream_tbEUlT_E_NS1_11comp_targetILNS1_3genE10ELNS1_11target_archE1201ELNS1_3gpuE5ELNS1_3repE0EEENS1_30default_config_static_selectorELNS0_4arch9wavefront6targetE1EEEvT1_.num_named_barrier, 0
	.set _ZN7rocprim17ROCPRIM_400000_NS6detail17trampoline_kernelINS0_14default_configENS1_25transform_config_selectorImLb1EEEZNS1_14transform_implILb1ES3_S5_PmPlNS0_8identityIvEEEE10hipError_tT2_T3_mT4_P12ihipStream_tbEUlT_E_NS1_11comp_targetILNS1_3genE10ELNS1_11target_archE1201ELNS1_3gpuE5ELNS1_3repE0EEENS1_30default_config_static_selectorELNS0_4arch9wavefront6targetE1EEEvT1_.private_seg_size, 0
	.set _ZN7rocprim17ROCPRIM_400000_NS6detail17trampoline_kernelINS0_14default_configENS1_25transform_config_selectorImLb1EEEZNS1_14transform_implILb1ES3_S5_PmPlNS0_8identityIvEEEE10hipError_tT2_T3_mT4_P12ihipStream_tbEUlT_E_NS1_11comp_targetILNS1_3genE10ELNS1_11target_archE1201ELNS1_3gpuE5ELNS1_3repE0EEENS1_30default_config_static_selectorELNS0_4arch9wavefront6targetE1EEEvT1_.uses_vcc, 0
	.set _ZN7rocprim17ROCPRIM_400000_NS6detail17trampoline_kernelINS0_14default_configENS1_25transform_config_selectorImLb1EEEZNS1_14transform_implILb1ES3_S5_PmPlNS0_8identityIvEEEE10hipError_tT2_T3_mT4_P12ihipStream_tbEUlT_E_NS1_11comp_targetILNS1_3genE10ELNS1_11target_archE1201ELNS1_3gpuE5ELNS1_3repE0EEENS1_30default_config_static_selectorELNS0_4arch9wavefront6targetE1EEEvT1_.uses_flat_scratch, 0
	.set _ZN7rocprim17ROCPRIM_400000_NS6detail17trampoline_kernelINS0_14default_configENS1_25transform_config_selectorImLb1EEEZNS1_14transform_implILb1ES3_S5_PmPlNS0_8identityIvEEEE10hipError_tT2_T3_mT4_P12ihipStream_tbEUlT_E_NS1_11comp_targetILNS1_3genE10ELNS1_11target_archE1201ELNS1_3gpuE5ELNS1_3repE0EEENS1_30default_config_static_selectorELNS0_4arch9wavefront6targetE1EEEvT1_.has_dyn_sized_stack, 0
	.set _ZN7rocprim17ROCPRIM_400000_NS6detail17trampoline_kernelINS0_14default_configENS1_25transform_config_selectorImLb1EEEZNS1_14transform_implILb1ES3_S5_PmPlNS0_8identityIvEEEE10hipError_tT2_T3_mT4_P12ihipStream_tbEUlT_E_NS1_11comp_targetILNS1_3genE10ELNS1_11target_archE1201ELNS1_3gpuE5ELNS1_3repE0EEENS1_30default_config_static_selectorELNS0_4arch9wavefront6targetE1EEEvT1_.has_recursion, 0
	.set _ZN7rocprim17ROCPRIM_400000_NS6detail17trampoline_kernelINS0_14default_configENS1_25transform_config_selectorImLb1EEEZNS1_14transform_implILb1ES3_S5_PmPlNS0_8identityIvEEEE10hipError_tT2_T3_mT4_P12ihipStream_tbEUlT_E_NS1_11comp_targetILNS1_3genE10ELNS1_11target_archE1201ELNS1_3gpuE5ELNS1_3repE0EEENS1_30default_config_static_selectorELNS0_4arch9wavefront6targetE1EEEvT1_.has_indirect_call, 0
	.section	.AMDGPU.csdata,"",@progbits
; Kernel info:
; codeLenInByte = 0
; TotalNumSgprs: 6
; NumVgprs: 0
; NumAgprs: 0
; TotalNumVgprs: 0
; ScratchSize: 0
; MemoryBound: 0
; FloatMode: 240
; IeeeMode: 1
; LDSByteSize: 0 bytes/workgroup (compile time only)
; SGPRBlocks: 0
; VGPRBlocks: 0
; NumSGPRsForWavesPerEU: 6
; NumVGPRsForWavesPerEU: 1
; AccumOffset: 4
; Occupancy: 8
; WaveLimiterHint : 0
; COMPUTE_PGM_RSRC2:SCRATCH_EN: 0
; COMPUTE_PGM_RSRC2:USER_SGPR: 2
; COMPUTE_PGM_RSRC2:TRAP_HANDLER: 0
; COMPUTE_PGM_RSRC2:TGID_X_EN: 1
; COMPUTE_PGM_RSRC2:TGID_Y_EN: 0
; COMPUTE_PGM_RSRC2:TGID_Z_EN: 0
; COMPUTE_PGM_RSRC2:TIDIG_COMP_CNT: 0
; COMPUTE_PGM_RSRC3_GFX90A:ACCUM_OFFSET: 0
; COMPUTE_PGM_RSRC3_GFX90A:TG_SPLIT: 0
	.section	.text._ZN7rocprim17ROCPRIM_400000_NS6detail17trampoline_kernelINS0_14default_configENS1_25transform_config_selectorImLb1EEEZNS1_14transform_implILb1ES3_S5_PmPlNS0_8identityIvEEEE10hipError_tT2_T3_mT4_P12ihipStream_tbEUlT_E_NS1_11comp_targetILNS1_3genE5ELNS1_11target_archE942ELNS1_3gpuE9ELNS1_3repE0EEENS1_30default_config_static_selectorELNS0_4arch9wavefront6targetE1EEEvT1_,"axG",@progbits,_ZN7rocprim17ROCPRIM_400000_NS6detail17trampoline_kernelINS0_14default_configENS1_25transform_config_selectorImLb1EEEZNS1_14transform_implILb1ES3_S5_PmPlNS0_8identityIvEEEE10hipError_tT2_T3_mT4_P12ihipStream_tbEUlT_E_NS1_11comp_targetILNS1_3genE5ELNS1_11target_archE942ELNS1_3gpuE9ELNS1_3repE0EEENS1_30default_config_static_selectorELNS0_4arch9wavefront6targetE1EEEvT1_,comdat
	.protected	_ZN7rocprim17ROCPRIM_400000_NS6detail17trampoline_kernelINS0_14default_configENS1_25transform_config_selectorImLb1EEEZNS1_14transform_implILb1ES3_S5_PmPlNS0_8identityIvEEEE10hipError_tT2_T3_mT4_P12ihipStream_tbEUlT_E_NS1_11comp_targetILNS1_3genE5ELNS1_11target_archE942ELNS1_3gpuE9ELNS1_3repE0EEENS1_30default_config_static_selectorELNS0_4arch9wavefront6targetE1EEEvT1_ ; -- Begin function _ZN7rocprim17ROCPRIM_400000_NS6detail17trampoline_kernelINS0_14default_configENS1_25transform_config_selectorImLb1EEEZNS1_14transform_implILb1ES3_S5_PmPlNS0_8identityIvEEEE10hipError_tT2_T3_mT4_P12ihipStream_tbEUlT_E_NS1_11comp_targetILNS1_3genE5ELNS1_11target_archE942ELNS1_3gpuE9ELNS1_3repE0EEENS1_30default_config_static_selectorELNS0_4arch9wavefront6targetE1EEEvT1_
	.globl	_ZN7rocprim17ROCPRIM_400000_NS6detail17trampoline_kernelINS0_14default_configENS1_25transform_config_selectorImLb1EEEZNS1_14transform_implILb1ES3_S5_PmPlNS0_8identityIvEEEE10hipError_tT2_T3_mT4_P12ihipStream_tbEUlT_E_NS1_11comp_targetILNS1_3genE5ELNS1_11target_archE942ELNS1_3gpuE9ELNS1_3repE0EEENS1_30default_config_static_selectorELNS0_4arch9wavefront6targetE1EEEvT1_
	.p2align	8
	.type	_ZN7rocprim17ROCPRIM_400000_NS6detail17trampoline_kernelINS0_14default_configENS1_25transform_config_selectorImLb1EEEZNS1_14transform_implILb1ES3_S5_PmPlNS0_8identityIvEEEE10hipError_tT2_T3_mT4_P12ihipStream_tbEUlT_E_NS1_11comp_targetILNS1_3genE5ELNS1_11target_archE942ELNS1_3gpuE9ELNS1_3repE0EEENS1_30default_config_static_selectorELNS0_4arch9wavefront6targetE1EEEvT1_,@function
_ZN7rocprim17ROCPRIM_400000_NS6detail17trampoline_kernelINS0_14default_configENS1_25transform_config_selectorImLb1EEEZNS1_14transform_implILb1ES3_S5_PmPlNS0_8identityIvEEEE10hipError_tT2_T3_mT4_P12ihipStream_tbEUlT_E_NS1_11comp_targetILNS1_3genE5ELNS1_11target_archE942ELNS1_3gpuE9ELNS1_3repE0EEENS1_30default_config_static_selectorELNS0_4arch9wavefront6targetE1EEEvT1_: ; @_ZN7rocprim17ROCPRIM_400000_NS6detail17trampoline_kernelINS0_14default_configENS1_25transform_config_selectorImLb1EEEZNS1_14transform_implILb1ES3_S5_PmPlNS0_8identityIvEEEE10hipError_tT2_T3_mT4_P12ihipStream_tbEUlT_E_NS1_11comp_targetILNS1_3genE5ELNS1_11target_archE942ELNS1_3gpuE9ELNS1_3repE0EEENS1_30default_config_static_selectorELNS0_4arch9wavefront6targetE1EEEvT1_
; %bb.0:
	.section	.rodata,"a",@progbits
	.p2align	6, 0x0
	.amdhsa_kernel _ZN7rocprim17ROCPRIM_400000_NS6detail17trampoline_kernelINS0_14default_configENS1_25transform_config_selectorImLb1EEEZNS1_14transform_implILb1ES3_S5_PmPlNS0_8identityIvEEEE10hipError_tT2_T3_mT4_P12ihipStream_tbEUlT_E_NS1_11comp_targetILNS1_3genE5ELNS1_11target_archE942ELNS1_3gpuE9ELNS1_3repE0EEENS1_30default_config_static_selectorELNS0_4arch9wavefront6targetE1EEEvT1_
		.amdhsa_group_segment_fixed_size 0
		.amdhsa_private_segment_fixed_size 0
		.amdhsa_kernarg_size 40
		.amdhsa_user_sgpr_count 2
		.amdhsa_user_sgpr_dispatch_ptr 0
		.amdhsa_user_sgpr_queue_ptr 0
		.amdhsa_user_sgpr_kernarg_segment_ptr 1
		.amdhsa_user_sgpr_dispatch_id 0
		.amdhsa_user_sgpr_kernarg_preload_length 0
		.amdhsa_user_sgpr_kernarg_preload_offset 0
		.amdhsa_user_sgpr_private_segment_size 0
		.amdhsa_uses_dynamic_stack 0
		.amdhsa_enable_private_segment 0
		.amdhsa_system_sgpr_workgroup_id_x 1
		.amdhsa_system_sgpr_workgroup_id_y 0
		.amdhsa_system_sgpr_workgroup_id_z 0
		.amdhsa_system_sgpr_workgroup_info 0
		.amdhsa_system_vgpr_workitem_id 0
		.amdhsa_next_free_vgpr 1
		.amdhsa_next_free_sgpr 0
		.amdhsa_accum_offset 4
		.amdhsa_reserve_vcc 0
		.amdhsa_float_round_mode_32 0
		.amdhsa_float_round_mode_16_64 0
		.amdhsa_float_denorm_mode_32 3
		.amdhsa_float_denorm_mode_16_64 3
		.amdhsa_dx10_clamp 1
		.amdhsa_ieee_mode 1
		.amdhsa_fp16_overflow 0
		.amdhsa_tg_split 0
		.amdhsa_exception_fp_ieee_invalid_op 0
		.amdhsa_exception_fp_denorm_src 0
		.amdhsa_exception_fp_ieee_div_zero 0
		.amdhsa_exception_fp_ieee_overflow 0
		.amdhsa_exception_fp_ieee_underflow 0
		.amdhsa_exception_fp_ieee_inexact 0
		.amdhsa_exception_int_div_zero 0
	.end_amdhsa_kernel
	.section	.text._ZN7rocprim17ROCPRIM_400000_NS6detail17trampoline_kernelINS0_14default_configENS1_25transform_config_selectorImLb1EEEZNS1_14transform_implILb1ES3_S5_PmPlNS0_8identityIvEEEE10hipError_tT2_T3_mT4_P12ihipStream_tbEUlT_E_NS1_11comp_targetILNS1_3genE5ELNS1_11target_archE942ELNS1_3gpuE9ELNS1_3repE0EEENS1_30default_config_static_selectorELNS0_4arch9wavefront6targetE1EEEvT1_,"axG",@progbits,_ZN7rocprim17ROCPRIM_400000_NS6detail17trampoline_kernelINS0_14default_configENS1_25transform_config_selectorImLb1EEEZNS1_14transform_implILb1ES3_S5_PmPlNS0_8identityIvEEEE10hipError_tT2_T3_mT4_P12ihipStream_tbEUlT_E_NS1_11comp_targetILNS1_3genE5ELNS1_11target_archE942ELNS1_3gpuE9ELNS1_3repE0EEENS1_30default_config_static_selectorELNS0_4arch9wavefront6targetE1EEEvT1_,comdat
.Lfunc_end188:
	.size	_ZN7rocprim17ROCPRIM_400000_NS6detail17trampoline_kernelINS0_14default_configENS1_25transform_config_selectorImLb1EEEZNS1_14transform_implILb1ES3_S5_PmPlNS0_8identityIvEEEE10hipError_tT2_T3_mT4_P12ihipStream_tbEUlT_E_NS1_11comp_targetILNS1_3genE5ELNS1_11target_archE942ELNS1_3gpuE9ELNS1_3repE0EEENS1_30default_config_static_selectorELNS0_4arch9wavefront6targetE1EEEvT1_, .Lfunc_end188-_ZN7rocprim17ROCPRIM_400000_NS6detail17trampoline_kernelINS0_14default_configENS1_25transform_config_selectorImLb1EEEZNS1_14transform_implILb1ES3_S5_PmPlNS0_8identityIvEEEE10hipError_tT2_T3_mT4_P12ihipStream_tbEUlT_E_NS1_11comp_targetILNS1_3genE5ELNS1_11target_archE942ELNS1_3gpuE9ELNS1_3repE0EEENS1_30default_config_static_selectorELNS0_4arch9wavefront6targetE1EEEvT1_
                                        ; -- End function
	.set _ZN7rocprim17ROCPRIM_400000_NS6detail17trampoline_kernelINS0_14default_configENS1_25transform_config_selectorImLb1EEEZNS1_14transform_implILb1ES3_S5_PmPlNS0_8identityIvEEEE10hipError_tT2_T3_mT4_P12ihipStream_tbEUlT_E_NS1_11comp_targetILNS1_3genE5ELNS1_11target_archE942ELNS1_3gpuE9ELNS1_3repE0EEENS1_30default_config_static_selectorELNS0_4arch9wavefront6targetE1EEEvT1_.num_vgpr, 0
	.set _ZN7rocprim17ROCPRIM_400000_NS6detail17trampoline_kernelINS0_14default_configENS1_25transform_config_selectorImLb1EEEZNS1_14transform_implILb1ES3_S5_PmPlNS0_8identityIvEEEE10hipError_tT2_T3_mT4_P12ihipStream_tbEUlT_E_NS1_11comp_targetILNS1_3genE5ELNS1_11target_archE942ELNS1_3gpuE9ELNS1_3repE0EEENS1_30default_config_static_selectorELNS0_4arch9wavefront6targetE1EEEvT1_.num_agpr, 0
	.set _ZN7rocprim17ROCPRIM_400000_NS6detail17trampoline_kernelINS0_14default_configENS1_25transform_config_selectorImLb1EEEZNS1_14transform_implILb1ES3_S5_PmPlNS0_8identityIvEEEE10hipError_tT2_T3_mT4_P12ihipStream_tbEUlT_E_NS1_11comp_targetILNS1_3genE5ELNS1_11target_archE942ELNS1_3gpuE9ELNS1_3repE0EEENS1_30default_config_static_selectorELNS0_4arch9wavefront6targetE1EEEvT1_.numbered_sgpr, 0
	.set _ZN7rocprim17ROCPRIM_400000_NS6detail17trampoline_kernelINS0_14default_configENS1_25transform_config_selectorImLb1EEEZNS1_14transform_implILb1ES3_S5_PmPlNS0_8identityIvEEEE10hipError_tT2_T3_mT4_P12ihipStream_tbEUlT_E_NS1_11comp_targetILNS1_3genE5ELNS1_11target_archE942ELNS1_3gpuE9ELNS1_3repE0EEENS1_30default_config_static_selectorELNS0_4arch9wavefront6targetE1EEEvT1_.num_named_barrier, 0
	.set _ZN7rocprim17ROCPRIM_400000_NS6detail17trampoline_kernelINS0_14default_configENS1_25transform_config_selectorImLb1EEEZNS1_14transform_implILb1ES3_S5_PmPlNS0_8identityIvEEEE10hipError_tT2_T3_mT4_P12ihipStream_tbEUlT_E_NS1_11comp_targetILNS1_3genE5ELNS1_11target_archE942ELNS1_3gpuE9ELNS1_3repE0EEENS1_30default_config_static_selectorELNS0_4arch9wavefront6targetE1EEEvT1_.private_seg_size, 0
	.set _ZN7rocprim17ROCPRIM_400000_NS6detail17trampoline_kernelINS0_14default_configENS1_25transform_config_selectorImLb1EEEZNS1_14transform_implILb1ES3_S5_PmPlNS0_8identityIvEEEE10hipError_tT2_T3_mT4_P12ihipStream_tbEUlT_E_NS1_11comp_targetILNS1_3genE5ELNS1_11target_archE942ELNS1_3gpuE9ELNS1_3repE0EEENS1_30default_config_static_selectorELNS0_4arch9wavefront6targetE1EEEvT1_.uses_vcc, 0
	.set _ZN7rocprim17ROCPRIM_400000_NS6detail17trampoline_kernelINS0_14default_configENS1_25transform_config_selectorImLb1EEEZNS1_14transform_implILb1ES3_S5_PmPlNS0_8identityIvEEEE10hipError_tT2_T3_mT4_P12ihipStream_tbEUlT_E_NS1_11comp_targetILNS1_3genE5ELNS1_11target_archE942ELNS1_3gpuE9ELNS1_3repE0EEENS1_30default_config_static_selectorELNS0_4arch9wavefront6targetE1EEEvT1_.uses_flat_scratch, 0
	.set _ZN7rocprim17ROCPRIM_400000_NS6detail17trampoline_kernelINS0_14default_configENS1_25transform_config_selectorImLb1EEEZNS1_14transform_implILb1ES3_S5_PmPlNS0_8identityIvEEEE10hipError_tT2_T3_mT4_P12ihipStream_tbEUlT_E_NS1_11comp_targetILNS1_3genE5ELNS1_11target_archE942ELNS1_3gpuE9ELNS1_3repE0EEENS1_30default_config_static_selectorELNS0_4arch9wavefront6targetE1EEEvT1_.has_dyn_sized_stack, 0
	.set _ZN7rocprim17ROCPRIM_400000_NS6detail17trampoline_kernelINS0_14default_configENS1_25transform_config_selectorImLb1EEEZNS1_14transform_implILb1ES3_S5_PmPlNS0_8identityIvEEEE10hipError_tT2_T3_mT4_P12ihipStream_tbEUlT_E_NS1_11comp_targetILNS1_3genE5ELNS1_11target_archE942ELNS1_3gpuE9ELNS1_3repE0EEENS1_30default_config_static_selectorELNS0_4arch9wavefront6targetE1EEEvT1_.has_recursion, 0
	.set _ZN7rocprim17ROCPRIM_400000_NS6detail17trampoline_kernelINS0_14default_configENS1_25transform_config_selectorImLb1EEEZNS1_14transform_implILb1ES3_S5_PmPlNS0_8identityIvEEEE10hipError_tT2_T3_mT4_P12ihipStream_tbEUlT_E_NS1_11comp_targetILNS1_3genE5ELNS1_11target_archE942ELNS1_3gpuE9ELNS1_3repE0EEENS1_30default_config_static_selectorELNS0_4arch9wavefront6targetE1EEEvT1_.has_indirect_call, 0
	.section	.AMDGPU.csdata,"",@progbits
; Kernel info:
; codeLenInByte = 0
; TotalNumSgprs: 6
; NumVgprs: 0
; NumAgprs: 0
; TotalNumVgprs: 0
; ScratchSize: 0
; MemoryBound: 0
; FloatMode: 240
; IeeeMode: 1
; LDSByteSize: 0 bytes/workgroup (compile time only)
; SGPRBlocks: 0
; VGPRBlocks: 0
; NumSGPRsForWavesPerEU: 6
; NumVGPRsForWavesPerEU: 1
; AccumOffset: 4
; Occupancy: 8
; WaveLimiterHint : 0
; COMPUTE_PGM_RSRC2:SCRATCH_EN: 0
; COMPUTE_PGM_RSRC2:USER_SGPR: 2
; COMPUTE_PGM_RSRC2:TRAP_HANDLER: 0
; COMPUTE_PGM_RSRC2:TGID_X_EN: 1
; COMPUTE_PGM_RSRC2:TGID_Y_EN: 0
; COMPUTE_PGM_RSRC2:TGID_Z_EN: 0
; COMPUTE_PGM_RSRC2:TIDIG_COMP_CNT: 0
; COMPUTE_PGM_RSRC3_GFX90A:ACCUM_OFFSET: 0
; COMPUTE_PGM_RSRC3_GFX90A:TG_SPLIT: 0
	.section	.text._ZN7rocprim17ROCPRIM_400000_NS6detail17trampoline_kernelINS0_14default_configENS1_25transform_config_selectorImLb1EEEZNS1_14transform_implILb1ES3_S5_PmPlNS0_8identityIvEEEE10hipError_tT2_T3_mT4_P12ihipStream_tbEUlT_E_NS1_11comp_targetILNS1_3genE4ELNS1_11target_archE910ELNS1_3gpuE8ELNS1_3repE0EEENS1_30default_config_static_selectorELNS0_4arch9wavefront6targetE1EEEvT1_,"axG",@progbits,_ZN7rocprim17ROCPRIM_400000_NS6detail17trampoline_kernelINS0_14default_configENS1_25transform_config_selectorImLb1EEEZNS1_14transform_implILb1ES3_S5_PmPlNS0_8identityIvEEEE10hipError_tT2_T3_mT4_P12ihipStream_tbEUlT_E_NS1_11comp_targetILNS1_3genE4ELNS1_11target_archE910ELNS1_3gpuE8ELNS1_3repE0EEENS1_30default_config_static_selectorELNS0_4arch9wavefront6targetE1EEEvT1_,comdat
	.protected	_ZN7rocprim17ROCPRIM_400000_NS6detail17trampoline_kernelINS0_14default_configENS1_25transform_config_selectorImLb1EEEZNS1_14transform_implILb1ES3_S5_PmPlNS0_8identityIvEEEE10hipError_tT2_T3_mT4_P12ihipStream_tbEUlT_E_NS1_11comp_targetILNS1_3genE4ELNS1_11target_archE910ELNS1_3gpuE8ELNS1_3repE0EEENS1_30default_config_static_selectorELNS0_4arch9wavefront6targetE1EEEvT1_ ; -- Begin function _ZN7rocprim17ROCPRIM_400000_NS6detail17trampoline_kernelINS0_14default_configENS1_25transform_config_selectorImLb1EEEZNS1_14transform_implILb1ES3_S5_PmPlNS0_8identityIvEEEE10hipError_tT2_T3_mT4_P12ihipStream_tbEUlT_E_NS1_11comp_targetILNS1_3genE4ELNS1_11target_archE910ELNS1_3gpuE8ELNS1_3repE0EEENS1_30default_config_static_selectorELNS0_4arch9wavefront6targetE1EEEvT1_
	.globl	_ZN7rocprim17ROCPRIM_400000_NS6detail17trampoline_kernelINS0_14default_configENS1_25transform_config_selectorImLb1EEEZNS1_14transform_implILb1ES3_S5_PmPlNS0_8identityIvEEEE10hipError_tT2_T3_mT4_P12ihipStream_tbEUlT_E_NS1_11comp_targetILNS1_3genE4ELNS1_11target_archE910ELNS1_3gpuE8ELNS1_3repE0EEENS1_30default_config_static_selectorELNS0_4arch9wavefront6targetE1EEEvT1_
	.p2align	8
	.type	_ZN7rocprim17ROCPRIM_400000_NS6detail17trampoline_kernelINS0_14default_configENS1_25transform_config_selectorImLb1EEEZNS1_14transform_implILb1ES3_S5_PmPlNS0_8identityIvEEEE10hipError_tT2_T3_mT4_P12ihipStream_tbEUlT_E_NS1_11comp_targetILNS1_3genE4ELNS1_11target_archE910ELNS1_3gpuE8ELNS1_3repE0EEENS1_30default_config_static_selectorELNS0_4arch9wavefront6targetE1EEEvT1_,@function
_ZN7rocprim17ROCPRIM_400000_NS6detail17trampoline_kernelINS0_14default_configENS1_25transform_config_selectorImLb1EEEZNS1_14transform_implILb1ES3_S5_PmPlNS0_8identityIvEEEE10hipError_tT2_T3_mT4_P12ihipStream_tbEUlT_E_NS1_11comp_targetILNS1_3genE4ELNS1_11target_archE910ELNS1_3gpuE8ELNS1_3repE0EEENS1_30default_config_static_selectorELNS0_4arch9wavefront6targetE1EEEvT1_: ; @_ZN7rocprim17ROCPRIM_400000_NS6detail17trampoline_kernelINS0_14default_configENS1_25transform_config_selectorImLb1EEEZNS1_14transform_implILb1ES3_S5_PmPlNS0_8identityIvEEEE10hipError_tT2_T3_mT4_P12ihipStream_tbEUlT_E_NS1_11comp_targetILNS1_3genE4ELNS1_11target_archE910ELNS1_3gpuE8ELNS1_3repE0EEENS1_30default_config_static_selectorELNS0_4arch9wavefront6targetE1EEEvT1_
; %bb.0:
	.section	.rodata,"a",@progbits
	.p2align	6, 0x0
	.amdhsa_kernel _ZN7rocprim17ROCPRIM_400000_NS6detail17trampoline_kernelINS0_14default_configENS1_25transform_config_selectorImLb1EEEZNS1_14transform_implILb1ES3_S5_PmPlNS0_8identityIvEEEE10hipError_tT2_T3_mT4_P12ihipStream_tbEUlT_E_NS1_11comp_targetILNS1_3genE4ELNS1_11target_archE910ELNS1_3gpuE8ELNS1_3repE0EEENS1_30default_config_static_selectorELNS0_4arch9wavefront6targetE1EEEvT1_
		.amdhsa_group_segment_fixed_size 0
		.amdhsa_private_segment_fixed_size 0
		.amdhsa_kernarg_size 40
		.amdhsa_user_sgpr_count 2
		.amdhsa_user_sgpr_dispatch_ptr 0
		.amdhsa_user_sgpr_queue_ptr 0
		.amdhsa_user_sgpr_kernarg_segment_ptr 1
		.amdhsa_user_sgpr_dispatch_id 0
		.amdhsa_user_sgpr_kernarg_preload_length 0
		.amdhsa_user_sgpr_kernarg_preload_offset 0
		.amdhsa_user_sgpr_private_segment_size 0
		.amdhsa_uses_dynamic_stack 0
		.amdhsa_enable_private_segment 0
		.amdhsa_system_sgpr_workgroup_id_x 1
		.amdhsa_system_sgpr_workgroup_id_y 0
		.amdhsa_system_sgpr_workgroup_id_z 0
		.amdhsa_system_sgpr_workgroup_info 0
		.amdhsa_system_vgpr_workitem_id 0
		.amdhsa_next_free_vgpr 1
		.amdhsa_next_free_sgpr 0
		.amdhsa_accum_offset 4
		.amdhsa_reserve_vcc 0
		.amdhsa_float_round_mode_32 0
		.amdhsa_float_round_mode_16_64 0
		.amdhsa_float_denorm_mode_32 3
		.amdhsa_float_denorm_mode_16_64 3
		.amdhsa_dx10_clamp 1
		.amdhsa_ieee_mode 1
		.amdhsa_fp16_overflow 0
		.amdhsa_tg_split 0
		.amdhsa_exception_fp_ieee_invalid_op 0
		.amdhsa_exception_fp_denorm_src 0
		.amdhsa_exception_fp_ieee_div_zero 0
		.amdhsa_exception_fp_ieee_overflow 0
		.amdhsa_exception_fp_ieee_underflow 0
		.amdhsa_exception_fp_ieee_inexact 0
		.amdhsa_exception_int_div_zero 0
	.end_amdhsa_kernel
	.section	.text._ZN7rocprim17ROCPRIM_400000_NS6detail17trampoline_kernelINS0_14default_configENS1_25transform_config_selectorImLb1EEEZNS1_14transform_implILb1ES3_S5_PmPlNS0_8identityIvEEEE10hipError_tT2_T3_mT4_P12ihipStream_tbEUlT_E_NS1_11comp_targetILNS1_3genE4ELNS1_11target_archE910ELNS1_3gpuE8ELNS1_3repE0EEENS1_30default_config_static_selectorELNS0_4arch9wavefront6targetE1EEEvT1_,"axG",@progbits,_ZN7rocprim17ROCPRIM_400000_NS6detail17trampoline_kernelINS0_14default_configENS1_25transform_config_selectorImLb1EEEZNS1_14transform_implILb1ES3_S5_PmPlNS0_8identityIvEEEE10hipError_tT2_T3_mT4_P12ihipStream_tbEUlT_E_NS1_11comp_targetILNS1_3genE4ELNS1_11target_archE910ELNS1_3gpuE8ELNS1_3repE0EEENS1_30default_config_static_selectorELNS0_4arch9wavefront6targetE1EEEvT1_,comdat
.Lfunc_end189:
	.size	_ZN7rocprim17ROCPRIM_400000_NS6detail17trampoline_kernelINS0_14default_configENS1_25transform_config_selectorImLb1EEEZNS1_14transform_implILb1ES3_S5_PmPlNS0_8identityIvEEEE10hipError_tT2_T3_mT4_P12ihipStream_tbEUlT_E_NS1_11comp_targetILNS1_3genE4ELNS1_11target_archE910ELNS1_3gpuE8ELNS1_3repE0EEENS1_30default_config_static_selectorELNS0_4arch9wavefront6targetE1EEEvT1_, .Lfunc_end189-_ZN7rocprim17ROCPRIM_400000_NS6detail17trampoline_kernelINS0_14default_configENS1_25transform_config_selectorImLb1EEEZNS1_14transform_implILb1ES3_S5_PmPlNS0_8identityIvEEEE10hipError_tT2_T3_mT4_P12ihipStream_tbEUlT_E_NS1_11comp_targetILNS1_3genE4ELNS1_11target_archE910ELNS1_3gpuE8ELNS1_3repE0EEENS1_30default_config_static_selectorELNS0_4arch9wavefront6targetE1EEEvT1_
                                        ; -- End function
	.set _ZN7rocprim17ROCPRIM_400000_NS6detail17trampoline_kernelINS0_14default_configENS1_25transform_config_selectorImLb1EEEZNS1_14transform_implILb1ES3_S5_PmPlNS0_8identityIvEEEE10hipError_tT2_T3_mT4_P12ihipStream_tbEUlT_E_NS1_11comp_targetILNS1_3genE4ELNS1_11target_archE910ELNS1_3gpuE8ELNS1_3repE0EEENS1_30default_config_static_selectorELNS0_4arch9wavefront6targetE1EEEvT1_.num_vgpr, 0
	.set _ZN7rocprim17ROCPRIM_400000_NS6detail17trampoline_kernelINS0_14default_configENS1_25transform_config_selectorImLb1EEEZNS1_14transform_implILb1ES3_S5_PmPlNS0_8identityIvEEEE10hipError_tT2_T3_mT4_P12ihipStream_tbEUlT_E_NS1_11comp_targetILNS1_3genE4ELNS1_11target_archE910ELNS1_3gpuE8ELNS1_3repE0EEENS1_30default_config_static_selectorELNS0_4arch9wavefront6targetE1EEEvT1_.num_agpr, 0
	.set _ZN7rocprim17ROCPRIM_400000_NS6detail17trampoline_kernelINS0_14default_configENS1_25transform_config_selectorImLb1EEEZNS1_14transform_implILb1ES3_S5_PmPlNS0_8identityIvEEEE10hipError_tT2_T3_mT4_P12ihipStream_tbEUlT_E_NS1_11comp_targetILNS1_3genE4ELNS1_11target_archE910ELNS1_3gpuE8ELNS1_3repE0EEENS1_30default_config_static_selectorELNS0_4arch9wavefront6targetE1EEEvT1_.numbered_sgpr, 0
	.set _ZN7rocprim17ROCPRIM_400000_NS6detail17trampoline_kernelINS0_14default_configENS1_25transform_config_selectorImLb1EEEZNS1_14transform_implILb1ES3_S5_PmPlNS0_8identityIvEEEE10hipError_tT2_T3_mT4_P12ihipStream_tbEUlT_E_NS1_11comp_targetILNS1_3genE4ELNS1_11target_archE910ELNS1_3gpuE8ELNS1_3repE0EEENS1_30default_config_static_selectorELNS0_4arch9wavefront6targetE1EEEvT1_.num_named_barrier, 0
	.set _ZN7rocprim17ROCPRIM_400000_NS6detail17trampoline_kernelINS0_14default_configENS1_25transform_config_selectorImLb1EEEZNS1_14transform_implILb1ES3_S5_PmPlNS0_8identityIvEEEE10hipError_tT2_T3_mT4_P12ihipStream_tbEUlT_E_NS1_11comp_targetILNS1_3genE4ELNS1_11target_archE910ELNS1_3gpuE8ELNS1_3repE0EEENS1_30default_config_static_selectorELNS0_4arch9wavefront6targetE1EEEvT1_.private_seg_size, 0
	.set _ZN7rocprim17ROCPRIM_400000_NS6detail17trampoline_kernelINS0_14default_configENS1_25transform_config_selectorImLb1EEEZNS1_14transform_implILb1ES3_S5_PmPlNS0_8identityIvEEEE10hipError_tT2_T3_mT4_P12ihipStream_tbEUlT_E_NS1_11comp_targetILNS1_3genE4ELNS1_11target_archE910ELNS1_3gpuE8ELNS1_3repE0EEENS1_30default_config_static_selectorELNS0_4arch9wavefront6targetE1EEEvT1_.uses_vcc, 0
	.set _ZN7rocprim17ROCPRIM_400000_NS6detail17trampoline_kernelINS0_14default_configENS1_25transform_config_selectorImLb1EEEZNS1_14transform_implILb1ES3_S5_PmPlNS0_8identityIvEEEE10hipError_tT2_T3_mT4_P12ihipStream_tbEUlT_E_NS1_11comp_targetILNS1_3genE4ELNS1_11target_archE910ELNS1_3gpuE8ELNS1_3repE0EEENS1_30default_config_static_selectorELNS0_4arch9wavefront6targetE1EEEvT1_.uses_flat_scratch, 0
	.set _ZN7rocprim17ROCPRIM_400000_NS6detail17trampoline_kernelINS0_14default_configENS1_25transform_config_selectorImLb1EEEZNS1_14transform_implILb1ES3_S5_PmPlNS0_8identityIvEEEE10hipError_tT2_T3_mT4_P12ihipStream_tbEUlT_E_NS1_11comp_targetILNS1_3genE4ELNS1_11target_archE910ELNS1_3gpuE8ELNS1_3repE0EEENS1_30default_config_static_selectorELNS0_4arch9wavefront6targetE1EEEvT1_.has_dyn_sized_stack, 0
	.set _ZN7rocprim17ROCPRIM_400000_NS6detail17trampoline_kernelINS0_14default_configENS1_25transform_config_selectorImLb1EEEZNS1_14transform_implILb1ES3_S5_PmPlNS0_8identityIvEEEE10hipError_tT2_T3_mT4_P12ihipStream_tbEUlT_E_NS1_11comp_targetILNS1_3genE4ELNS1_11target_archE910ELNS1_3gpuE8ELNS1_3repE0EEENS1_30default_config_static_selectorELNS0_4arch9wavefront6targetE1EEEvT1_.has_recursion, 0
	.set _ZN7rocprim17ROCPRIM_400000_NS6detail17trampoline_kernelINS0_14default_configENS1_25transform_config_selectorImLb1EEEZNS1_14transform_implILb1ES3_S5_PmPlNS0_8identityIvEEEE10hipError_tT2_T3_mT4_P12ihipStream_tbEUlT_E_NS1_11comp_targetILNS1_3genE4ELNS1_11target_archE910ELNS1_3gpuE8ELNS1_3repE0EEENS1_30default_config_static_selectorELNS0_4arch9wavefront6targetE1EEEvT1_.has_indirect_call, 0
	.section	.AMDGPU.csdata,"",@progbits
; Kernel info:
; codeLenInByte = 0
; TotalNumSgprs: 6
; NumVgprs: 0
; NumAgprs: 0
; TotalNumVgprs: 0
; ScratchSize: 0
; MemoryBound: 0
; FloatMode: 240
; IeeeMode: 1
; LDSByteSize: 0 bytes/workgroup (compile time only)
; SGPRBlocks: 0
; VGPRBlocks: 0
; NumSGPRsForWavesPerEU: 6
; NumVGPRsForWavesPerEU: 1
; AccumOffset: 4
; Occupancy: 8
; WaveLimiterHint : 0
; COMPUTE_PGM_RSRC2:SCRATCH_EN: 0
; COMPUTE_PGM_RSRC2:USER_SGPR: 2
; COMPUTE_PGM_RSRC2:TRAP_HANDLER: 0
; COMPUTE_PGM_RSRC2:TGID_X_EN: 1
; COMPUTE_PGM_RSRC2:TGID_Y_EN: 0
; COMPUTE_PGM_RSRC2:TGID_Z_EN: 0
; COMPUTE_PGM_RSRC2:TIDIG_COMP_CNT: 0
; COMPUTE_PGM_RSRC3_GFX90A:ACCUM_OFFSET: 0
; COMPUTE_PGM_RSRC3_GFX90A:TG_SPLIT: 0
	.section	.text._ZN7rocprim17ROCPRIM_400000_NS6detail17trampoline_kernelINS0_14default_configENS1_25transform_config_selectorImLb1EEEZNS1_14transform_implILb1ES3_S5_PmPlNS0_8identityIvEEEE10hipError_tT2_T3_mT4_P12ihipStream_tbEUlT_E_NS1_11comp_targetILNS1_3genE3ELNS1_11target_archE908ELNS1_3gpuE7ELNS1_3repE0EEENS1_30default_config_static_selectorELNS0_4arch9wavefront6targetE1EEEvT1_,"axG",@progbits,_ZN7rocprim17ROCPRIM_400000_NS6detail17trampoline_kernelINS0_14default_configENS1_25transform_config_selectorImLb1EEEZNS1_14transform_implILb1ES3_S5_PmPlNS0_8identityIvEEEE10hipError_tT2_T3_mT4_P12ihipStream_tbEUlT_E_NS1_11comp_targetILNS1_3genE3ELNS1_11target_archE908ELNS1_3gpuE7ELNS1_3repE0EEENS1_30default_config_static_selectorELNS0_4arch9wavefront6targetE1EEEvT1_,comdat
	.protected	_ZN7rocprim17ROCPRIM_400000_NS6detail17trampoline_kernelINS0_14default_configENS1_25transform_config_selectorImLb1EEEZNS1_14transform_implILb1ES3_S5_PmPlNS0_8identityIvEEEE10hipError_tT2_T3_mT4_P12ihipStream_tbEUlT_E_NS1_11comp_targetILNS1_3genE3ELNS1_11target_archE908ELNS1_3gpuE7ELNS1_3repE0EEENS1_30default_config_static_selectorELNS0_4arch9wavefront6targetE1EEEvT1_ ; -- Begin function _ZN7rocprim17ROCPRIM_400000_NS6detail17trampoline_kernelINS0_14default_configENS1_25transform_config_selectorImLb1EEEZNS1_14transform_implILb1ES3_S5_PmPlNS0_8identityIvEEEE10hipError_tT2_T3_mT4_P12ihipStream_tbEUlT_E_NS1_11comp_targetILNS1_3genE3ELNS1_11target_archE908ELNS1_3gpuE7ELNS1_3repE0EEENS1_30default_config_static_selectorELNS0_4arch9wavefront6targetE1EEEvT1_
	.globl	_ZN7rocprim17ROCPRIM_400000_NS6detail17trampoline_kernelINS0_14default_configENS1_25transform_config_selectorImLb1EEEZNS1_14transform_implILb1ES3_S5_PmPlNS0_8identityIvEEEE10hipError_tT2_T3_mT4_P12ihipStream_tbEUlT_E_NS1_11comp_targetILNS1_3genE3ELNS1_11target_archE908ELNS1_3gpuE7ELNS1_3repE0EEENS1_30default_config_static_selectorELNS0_4arch9wavefront6targetE1EEEvT1_
	.p2align	8
	.type	_ZN7rocprim17ROCPRIM_400000_NS6detail17trampoline_kernelINS0_14default_configENS1_25transform_config_selectorImLb1EEEZNS1_14transform_implILb1ES3_S5_PmPlNS0_8identityIvEEEE10hipError_tT2_T3_mT4_P12ihipStream_tbEUlT_E_NS1_11comp_targetILNS1_3genE3ELNS1_11target_archE908ELNS1_3gpuE7ELNS1_3repE0EEENS1_30default_config_static_selectorELNS0_4arch9wavefront6targetE1EEEvT1_,@function
_ZN7rocprim17ROCPRIM_400000_NS6detail17trampoline_kernelINS0_14default_configENS1_25transform_config_selectorImLb1EEEZNS1_14transform_implILb1ES3_S5_PmPlNS0_8identityIvEEEE10hipError_tT2_T3_mT4_P12ihipStream_tbEUlT_E_NS1_11comp_targetILNS1_3genE3ELNS1_11target_archE908ELNS1_3gpuE7ELNS1_3repE0EEENS1_30default_config_static_selectorELNS0_4arch9wavefront6targetE1EEEvT1_: ; @_ZN7rocprim17ROCPRIM_400000_NS6detail17trampoline_kernelINS0_14default_configENS1_25transform_config_selectorImLb1EEEZNS1_14transform_implILb1ES3_S5_PmPlNS0_8identityIvEEEE10hipError_tT2_T3_mT4_P12ihipStream_tbEUlT_E_NS1_11comp_targetILNS1_3genE3ELNS1_11target_archE908ELNS1_3gpuE7ELNS1_3repE0EEENS1_30default_config_static_selectorELNS0_4arch9wavefront6targetE1EEEvT1_
; %bb.0:
	.section	.rodata,"a",@progbits
	.p2align	6, 0x0
	.amdhsa_kernel _ZN7rocprim17ROCPRIM_400000_NS6detail17trampoline_kernelINS0_14default_configENS1_25transform_config_selectorImLb1EEEZNS1_14transform_implILb1ES3_S5_PmPlNS0_8identityIvEEEE10hipError_tT2_T3_mT4_P12ihipStream_tbEUlT_E_NS1_11comp_targetILNS1_3genE3ELNS1_11target_archE908ELNS1_3gpuE7ELNS1_3repE0EEENS1_30default_config_static_selectorELNS0_4arch9wavefront6targetE1EEEvT1_
		.amdhsa_group_segment_fixed_size 0
		.amdhsa_private_segment_fixed_size 0
		.amdhsa_kernarg_size 40
		.amdhsa_user_sgpr_count 2
		.amdhsa_user_sgpr_dispatch_ptr 0
		.amdhsa_user_sgpr_queue_ptr 0
		.amdhsa_user_sgpr_kernarg_segment_ptr 1
		.amdhsa_user_sgpr_dispatch_id 0
		.amdhsa_user_sgpr_kernarg_preload_length 0
		.amdhsa_user_sgpr_kernarg_preload_offset 0
		.amdhsa_user_sgpr_private_segment_size 0
		.amdhsa_uses_dynamic_stack 0
		.amdhsa_enable_private_segment 0
		.amdhsa_system_sgpr_workgroup_id_x 1
		.amdhsa_system_sgpr_workgroup_id_y 0
		.amdhsa_system_sgpr_workgroup_id_z 0
		.amdhsa_system_sgpr_workgroup_info 0
		.amdhsa_system_vgpr_workitem_id 0
		.amdhsa_next_free_vgpr 1
		.amdhsa_next_free_sgpr 0
		.amdhsa_accum_offset 4
		.amdhsa_reserve_vcc 0
		.amdhsa_float_round_mode_32 0
		.amdhsa_float_round_mode_16_64 0
		.amdhsa_float_denorm_mode_32 3
		.amdhsa_float_denorm_mode_16_64 3
		.amdhsa_dx10_clamp 1
		.amdhsa_ieee_mode 1
		.amdhsa_fp16_overflow 0
		.amdhsa_tg_split 0
		.amdhsa_exception_fp_ieee_invalid_op 0
		.amdhsa_exception_fp_denorm_src 0
		.amdhsa_exception_fp_ieee_div_zero 0
		.amdhsa_exception_fp_ieee_overflow 0
		.amdhsa_exception_fp_ieee_underflow 0
		.amdhsa_exception_fp_ieee_inexact 0
		.amdhsa_exception_int_div_zero 0
	.end_amdhsa_kernel
	.section	.text._ZN7rocprim17ROCPRIM_400000_NS6detail17trampoline_kernelINS0_14default_configENS1_25transform_config_selectorImLb1EEEZNS1_14transform_implILb1ES3_S5_PmPlNS0_8identityIvEEEE10hipError_tT2_T3_mT4_P12ihipStream_tbEUlT_E_NS1_11comp_targetILNS1_3genE3ELNS1_11target_archE908ELNS1_3gpuE7ELNS1_3repE0EEENS1_30default_config_static_selectorELNS0_4arch9wavefront6targetE1EEEvT1_,"axG",@progbits,_ZN7rocprim17ROCPRIM_400000_NS6detail17trampoline_kernelINS0_14default_configENS1_25transform_config_selectorImLb1EEEZNS1_14transform_implILb1ES3_S5_PmPlNS0_8identityIvEEEE10hipError_tT2_T3_mT4_P12ihipStream_tbEUlT_E_NS1_11comp_targetILNS1_3genE3ELNS1_11target_archE908ELNS1_3gpuE7ELNS1_3repE0EEENS1_30default_config_static_selectorELNS0_4arch9wavefront6targetE1EEEvT1_,comdat
.Lfunc_end190:
	.size	_ZN7rocprim17ROCPRIM_400000_NS6detail17trampoline_kernelINS0_14default_configENS1_25transform_config_selectorImLb1EEEZNS1_14transform_implILb1ES3_S5_PmPlNS0_8identityIvEEEE10hipError_tT2_T3_mT4_P12ihipStream_tbEUlT_E_NS1_11comp_targetILNS1_3genE3ELNS1_11target_archE908ELNS1_3gpuE7ELNS1_3repE0EEENS1_30default_config_static_selectorELNS0_4arch9wavefront6targetE1EEEvT1_, .Lfunc_end190-_ZN7rocprim17ROCPRIM_400000_NS6detail17trampoline_kernelINS0_14default_configENS1_25transform_config_selectorImLb1EEEZNS1_14transform_implILb1ES3_S5_PmPlNS0_8identityIvEEEE10hipError_tT2_T3_mT4_P12ihipStream_tbEUlT_E_NS1_11comp_targetILNS1_3genE3ELNS1_11target_archE908ELNS1_3gpuE7ELNS1_3repE0EEENS1_30default_config_static_selectorELNS0_4arch9wavefront6targetE1EEEvT1_
                                        ; -- End function
	.set _ZN7rocprim17ROCPRIM_400000_NS6detail17trampoline_kernelINS0_14default_configENS1_25transform_config_selectorImLb1EEEZNS1_14transform_implILb1ES3_S5_PmPlNS0_8identityIvEEEE10hipError_tT2_T3_mT4_P12ihipStream_tbEUlT_E_NS1_11comp_targetILNS1_3genE3ELNS1_11target_archE908ELNS1_3gpuE7ELNS1_3repE0EEENS1_30default_config_static_selectorELNS0_4arch9wavefront6targetE1EEEvT1_.num_vgpr, 0
	.set _ZN7rocprim17ROCPRIM_400000_NS6detail17trampoline_kernelINS0_14default_configENS1_25transform_config_selectorImLb1EEEZNS1_14transform_implILb1ES3_S5_PmPlNS0_8identityIvEEEE10hipError_tT2_T3_mT4_P12ihipStream_tbEUlT_E_NS1_11comp_targetILNS1_3genE3ELNS1_11target_archE908ELNS1_3gpuE7ELNS1_3repE0EEENS1_30default_config_static_selectorELNS0_4arch9wavefront6targetE1EEEvT1_.num_agpr, 0
	.set _ZN7rocprim17ROCPRIM_400000_NS6detail17trampoline_kernelINS0_14default_configENS1_25transform_config_selectorImLb1EEEZNS1_14transform_implILb1ES3_S5_PmPlNS0_8identityIvEEEE10hipError_tT2_T3_mT4_P12ihipStream_tbEUlT_E_NS1_11comp_targetILNS1_3genE3ELNS1_11target_archE908ELNS1_3gpuE7ELNS1_3repE0EEENS1_30default_config_static_selectorELNS0_4arch9wavefront6targetE1EEEvT1_.numbered_sgpr, 0
	.set _ZN7rocprim17ROCPRIM_400000_NS6detail17trampoline_kernelINS0_14default_configENS1_25transform_config_selectorImLb1EEEZNS1_14transform_implILb1ES3_S5_PmPlNS0_8identityIvEEEE10hipError_tT2_T3_mT4_P12ihipStream_tbEUlT_E_NS1_11comp_targetILNS1_3genE3ELNS1_11target_archE908ELNS1_3gpuE7ELNS1_3repE0EEENS1_30default_config_static_selectorELNS0_4arch9wavefront6targetE1EEEvT1_.num_named_barrier, 0
	.set _ZN7rocprim17ROCPRIM_400000_NS6detail17trampoline_kernelINS0_14default_configENS1_25transform_config_selectorImLb1EEEZNS1_14transform_implILb1ES3_S5_PmPlNS0_8identityIvEEEE10hipError_tT2_T3_mT4_P12ihipStream_tbEUlT_E_NS1_11comp_targetILNS1_3genE3ELNS1_11target_archE908ELNS1_3gpuE7ELNS1_3repE0EEENS1_30default_config_static_selectorELNS0_4arch9wavefront6targetE1EEEvT1_.private_seg_size, 0
	.set _ZN7rocprim17ROCPRIM_400000_NS6detail17trampoline_kernelINS0_14default_configENS1_25transform_config_selectorImLb1EEEZNS1_14transform_implILb1ES3_S5_PmPlNS0_8identityIvEEEE10hipError_tT2_T3_mT4_P12ihipStream_tbEUlT_E_NS1_11comp_targetILNS1_3genE3ELNS1_11target_archE908ELNS1_3gpuE7ELNS1_3repE0EEENS1_30default_config_static_selectorELNS0_4arch9wavefront6targetE1EEEvT1_.uses_vcc, 0
	.set _ZN7rocprim17ROCPRIM_400000_NS6detail17trampoline_kernelINS0_14default_configENS1_25transform_config_selectorImLb1EEEZNS1_14transform_implILb1ES3_S5_PmPlNS0_8identityIvEEEE10hipError_tT2_T3_mT4_P12ihipStream_tbEUlT_E_NS1_11comp_targetILNS1_3genE3ELNS1_11target_archE908ELNS1_3gpuE7ELNS1_3repE0EEENS1_30default_config_static_selectorELNS0_4arch9wavefront6targetE1EEEvT1_.uses_flat_scratch, 0
	.set _ZN7rocprim17ROCPRIM_400000_NS6detail17trampoline_kernelINS0_14default_configENS1_25transform_config_selectorImLb1EEEZNS1_14transform_implILb1ES3_S5_PmPlNS0_8identityIvEEEE10hipError_tT2_T3_mT4_P12ihipStream_tbEUlT_E_NS1_11comp_targetILNS1_3genE3ELNS1_11target_archE908ELNS1_3gpuE7ELNS1_3repE0EEENS1_30default_config_static_selectorELNS0_4arch9wavefront6targetE1EEEvT1_.has_dyn_sized_stack, 0
	.set _ZN7rocprim17ROCPRIM_400000_NS6detail17trampoline_kernelINS0_14default_configENS1_25transform_config_selectorImLb1EEEZNS1_14transform_implILb1ES3_S5_PmPlNS0_8identityIvEEEE10hipError_tT2_T3_mT4_P12ihipStream_tbEUlT_E_NS1_11comp_targetILNS1_3genE3ELNS1_11target_archE908ELNS1_3gpuE7ELNS1_3repE0EEENS1_30default_config_static_selectorELNS0_4arch9wavefront6targetE1EEEvT1_.has_recursion, 0
	.set _ZN7rocprim17ROCPRIM_400000_NS6detail17trampoline_kernelINS0_14default_configENS1_25transform_config_selectorImLb1EEEZNS1_14transform_implILb1ES3_S5_PmPlNS0_8identityIvEEEE10hipError_tT2_T3_mT4_P12ihipStream_tbEUlT_E_NS1_11comp_targetILNS1_3genE3ELNS1_11target_archE908ELNS1_3gpuE7ELNS1_3repE0EEENS1_30default_config_static_selectorELNS0_4arch9wavefront6targetE1EEEvT1_.has_indirect_call, 0
	.section	.AMDGPU.csdata,"",@progbits
; Kernel info:
; codeLenInByte = 0
; TotalNumSgprs: 6
; NumVgprs: 0
; NumAgprs: 0
; TotalNumVgprs: 0
; ScratchSize: 0
; MemoryBound: 0
; FloatMode: 240
; IeeeMode: 1
; LDSByteSize: 0 bytes/workgroup (compile time only)
; SGPRBlocks: 0
; VGPRBlocks: 0
; NumSGPRsForWavesPerEU: 6
; NumVGPRsForWavesPerEU: 1
; AccumOffset: 4
; Occupancy: 8
; WaveLimiterHint : 0
; COMPUTE_PGM_RSRC2:SCRATCH_EN: 0
; COMPUTE_PGM_RSRC2:USER_SGPR: 2
; COMPUTE_PGM_RSRC2:TRAP_HANDLER: 0
; COMPUTE_PGM_RSRC2:TGID_X_EN: 1
; COMPUTE_PGM_RSRC2:TGID_Y_EN: 0
; COMPUTE_PGM_RSRC2:TGID_Z_EN: 0
; COMPUTE_PGM_RSRC2:TIDIG_COMP_CNT: 0
; COMPUTE_PGM_RSRC3_GFX90A:ACCUM_OFFSET: 0
; COMPUTE_PGM_RSRC3_GFX90A:TG_SPLIT: 0
	.section	.text._ZN7rocprim17ROCPRIM_400000_NS6detail17trampoline_kernelINS0_14default_configENS1_25transform_config_selectorImLb1EEEZNS1_14transform_implILb1ES3_S5_PmPlNS0_8identityIvEEEE10hipError_tT2_T3_mT4_P12ihipStream_tbEUlT_E_NS1_11comp_targetILNS1_3genE2ELNS1_11target_archE906ELNS1_3gpuE6ELNS1_3repE0EEENS1_30default_config_static_selectorELNS0_4arch9wavefront6targetE1EEEvT1_,"axG",@progbits,_ZN7rocprim17ROCPRIM_400000_NS6detail17trampoline_kernelINS0_14default_configENS1_25transform_config_selectorImLb1EEEZNS1_14transform_implILb1ES3_S5_PmPlNS0_8identityIvEEEE10hipError_tT2_T3_mT4_P12ihipStream_tbEUlT_E_NS1_11comp_targetILNS1_3genE2ELNS1_11target_archE906ELNS1_3gpuE6ELNS1_3repE0EEENS1_30default_config_static_selectorELNS0_4arch9wavefront6targetE1EEEvT1_,comdat
	.protected	_ZN7rocprim17ROCPRIM_400000_NS6detail17trampoline_kernelINS0_14default_configENS1_25transform_config_selectorImLb1EEEZNS1_14transform_implILb1ES3_S5_PmPlNS0_8identityIvEEEE10hipError_tT2_T3_mT4_P12ihipStream_tbEUlT_E_NS1_11comp_targetILNS1_3genE2ELNS1_11target_archE906ELNS1_3gpuE6ELNS1_3repE0EEENS1_30default_config_static_selectorELNS0_4arch9wavefront6targetE1EEEvT1_ ; -- Begin function _ZN7rocprim17ROCPRIM_400000_NS6detail17trampoline_kernelINS0_14default_configENS1_25transform_config_selectorImLb1EEEZNS1_14transform_implILb1ES3_S5_PmPlNS0_8identityIvEEEE10hipError_tT2_T3_mT4_P12ihipStream_tbEUlT_E_NS1_11comp_targetILNS1_3genE2ELNS1_11target_archE906ELNS1_3gpuE6ELNS1_3repE0EEENS1_30default_config_static_selectorELNS0_4arch9wavefront6targetE1EEEvT1_
	.globl	_ZN7rocprim17ROCPRIM_400000_NS6detail17trampoline_kernelINS0_14default_configENS1_25transform_config_selectorImLb1EEEZNS1_14transform_implILb1ES3_S5_PmPlNS0_8identityIvEEEE10hipError_tT2_T3_mT4_P12ihipStream_tbEUlT_E_NS1_11comp_targetILNS1_3genE2ELNS1_11target_archE906ELNS1_3gpuE6ELNS1_3repE0EEENS1_30default_config_static_selectorELNS0_4arch9wavefront6targetE1EEEvT1_
	.p2align	8
	.type	_ZN7rocprim17ROCPRIM_400000_NS6detail17trampoline_kernelINS0_14default_configENS1_25transform_config_selectorImLb1EEEZNS1_14transform_implILb1ES3_S5_PmPlNS0_8identityIvEEEE10hipError_tT2_T3_mT4_P12ihipStream_tbEUlT_E_NS1_11comp_targetILNS1_3genE2ELNS1_11target_archE906ELNS1_3gpuE6ELNS1_3repE0EEENS1_30default_config_static_selectorELNS0_4arch9wavefront6targetE1EEEvT1_,@function
_ZN7rocprim17ROCPRIM_400000_NS6detail17trampoline_kernelINS0_14default_configENS1_25transform_config_selectorImLb1EEEZNS1_14transform_implILb1ES3_S5_PmPlNS0_8identityIvEEEE10hipError_tT2_T3_mT4_P12ihipStream_tbEUlT_E_NS1_11comp_targetILNS1_3genE2ELNS1_11target_archE906ELNS1_3gpuE6ELNS1_3repE0EEENS1_30default_config_static_selectorELNS0_4arch9wavefront6targetE1EEEvT1_: ; @_ZN7rocprim17ROCPRIM_400000_NS6detail17trampoline_kernelINS0_14default_configENS1_25transform_config_selectorImLb1EEEZNS1_14transform_implILb1ES3_S5_PmPlNS0_8identityIvEEEE10hipError_tT2_T3_mT4_P12ihipStream_tbEUlT_E_NS1_11comp_targetILNS1_3genE2ELNS1_11target_archE906ELNS1_3gpuE6ELNS1_3repE0EEENS1_30default_config_static_selectorELNS0_4arch9wavefront6targetE1EEEvT1_
; %bb.0:
	.section	.rodata,"a",@progbits
	.p2align	6, 0x0
	.amdhsa_kernel _ZN7rocprim17ROCPRIM_400000_NS6detail17trampoline_kernelINS0_14default_configENS1_25transform_config_selectorImLb1EEEZNS1_14transform_implILb1ES3_S5_PmPlNS0_8identityIvEEEE10hipError_tT2_T3_mT4_P12ihipStream_tbEUlT_E_NS1_11comp_targetILNS1_3genE2ELNS1_11target_archE906ELNS1_3gpuE6ELNS1_3repE0EEENS1_30default_config_static_selectorELNS0_4arch9wavefront6targetE1EEEvT1_
		.amdhsa_group_segment_fixed_size 0
		.amdhsa_private_segment_fixed_size 0
		.amdhsa_kernarg_size 40
		.amdhsa_user_sgpr_count 2
		.amdhsa_user_sgpr_dispatch_ptr 0
		.amdhsa_user_sgpr_queue_ptr 0
		.amdhsa_user_sgpr_kernarg_segment_ptr 1
		.amdhsa_user_sgpr_dispatch_id 0
		.amdhsa_user_sgpr_kernarg_preload_length 0
		.amdhsa_user_sgpr_kernarg_preload_offset 0
		.amdhsa_user_sgpr_private_segment_size 0
		.amdhsa_uses_dynamic_stack 0
		.amdhsa_enable_private_segment 0
		.amdhsa_system_sgpr_workgroup_id_x 1
		.amdhsa_system_sgpr_workgroup_id_y 0
		.amdhsa_system_sgpr_workgroup_id_z 0
		.amdhsa_system_sgpr_workgroup_info 0
		.amdhsa_system_vgpr_workitem_id 0
		.amdhsa_next_free_vgpr 1
		.amdhsa_next_free_sgpr 0
		.amdhsa_accum_offset 4
		.amdhsa_reserve_vcc 0
		.amdhsa_float_round_mode_32 0
		.amdhsa_float_round_mode_16_64 0
		.amdhsa_float_denorm_mode_32 3
		.amdhsa_float_denorm_mode_16_64 3
		.amdhsa_dx10_clamp 1
		.amdhsa_ieee_mode 1
		.amdhsa_fp16_overflow 0
		.amdhsa_tg_split 0
		.amdhsa_exception_fp_ieee_invalid_op 0
		.amdhsa_exception_fp_denorm_src 0
		.amdhsa_exception_fp_ieee_div_zero 0
		.amdhsa_exception_fp_ieee_overflow 0
		.amdhsa_exception_fp_ieee_underflow 0
		.amdhsa_exception_fp_ieee_inexact 0
		.amdhsa_exception_int_div_zero 0
	.end_amdhsa_kernel
	.section	.text._ZN7rocprim17ROCPRIM_400000_NS6detail17trampoline_kernelINS0_14default_configENS1_25transform_config_selectorImLb1EEEZNS1_14transform_implILb1ES3_S5_PmPlNS0_8identityIvEEEE10hipError_tT2_T3_mT4_P12ihipStream_tbEUlT_E_NS1_11comp_targetILNS1_3genE2ELNS1_11target_archE906ELNS1_3gpuE6ELNS1_3repE0EEENS1_30default_config_static_selectorELNS0_4arch9wavefront6targetE1EEEvT1_,"axG",@progbits,_ZN7rocprim17ROCPRIM_400000_NS6detail17trampoline_kernelINS0_14default_configENS1_25transform_config_selectorImLb1EEEZNS1_14transform_implILb1ES3_S5_PmPlNS0_8identityIvEEEE10hipError_tT2_T3_mT4_P12ihipStream_tbEUlT_E_NS1_11comp_targetILNS1_3genE2ELNS1_11target_archE906ELNS1_3gpuE6ELNS1_3repE0EEENS1_30default_config_static_selectorELNS0_4arch9wavefront6targetE1EEEvT1_,comdat
.Lfunc_end191:
	.size	_ZN7rocprim17ROCPRIM_400000_NS6detail17trampoline_kernelINS0_14default_configENS1_25transform_config_selectorImLb1EEEZNS1_14transform_implILb1ES3_S5_PmPlNS0_8identityIvEEEE10hipError_tT2_T3_mT4_P12ihipStream_tbEUlT_E_NS1_11comp_targetILNS1_3genE2ELNS1_11target_archE906ELNS1_3gpuE6ELNS1_3repE0EEENS1_30default_config_static_selectorELNS0_4arch9wavefront6targetE1EEEvT1_, .Lfunc_end191-_ZN7rocprim17ROCPRIM_400000_NS6detail17trampoline_kernelINS0_14default_configENS1_25transform_config_selectorImLb1EEEZNS1_14transform_implILb1ES3_S5_PmPlNS0_8identityIvEEEE10hipError_tT2_T3_mT4_P12ihipStream_tbEUlT_E_NS1_11comp_targetILNS1_3genE2ELNS1_11target_archE906ELNS1_3gpuE6ELNS1_3repE0EEENS1_30default_config_static_selectorELNS0_4arch9wavefront6targetE1EEEvT1_
                                        ; -- End function
	.set _ZN7rocprim17ROCPRIM_400000_NS6detail17trampoline_kernelINS0_14default_configENS1_25transform_config_selectorImLb1EEEZNS1_14transform_implILb1ES3_S5_PmPlNS0_8identityIvEEEE10hipError_tT2_T3_mT4_P12ihipStream_tbEUlT_E_NS1_11comp_targetILNS1_3genE2ELNS1_11target_archE906ELNS1_3gpuE6ELNS1_3repE0EEENS1_30default_config_static_selectorELNS0_4arch9wavefront6targetE1EEEvT1_.num_vgpr, 0
	.set _ZN7rocprim17ROCPRIM_400000_NS6detail17trampoline_kernelINS0_14default_configENS1_25transform_config_selectorImLb1EEEZNS1_14transform_implILb1ES3_S5_PmPlNS0_8identityIvEEEE10hipError_tT2_T3_mT4_P12ihipStream_tbEUlT_E_NS1_11comp_targetILNS1_3genE2ELNS1_11target_archE906ELNS1_3gpuE6ELNS1_3repE0EEENS1_30default_config_static_selectorELNS0_4arch9wavefront6targetE1EEEvT1_.num_agpr, 0
	.set _ZN7rocprim17ROCPRIM_400000_NS6detail17trampoline_kernelINS0_14default_configENS1_25transform_config_selectorImLb1EEEZNS1_14transform_implILb1ES3_S5_PmPlNS0_8identityIvEEEE10hipError_tT2_T3_mT4_P12ihipStream_tbEUlT_E_NS1_11comp_targetILNS1_3genE2ELNS1_11target_archE906ELNS1_3gpuE6ELNS1_3repE0EEENS1_30default_config_static_selectorELNS0_4arch9wavefront6targetE1EEEvT1_.numbered_sgpr, 0
	.set _ZN7rocprim17ROCPRIM_400000_NS6detail17trampoline_kernelINS0_14default_configENS1_25transform_config_selectorImLb1EEEZNS1_14transform_implILb1ES3_S5_PmPlNS0_8identityIvEEEE10hipError_tT2_T3_mT4_P12ihipStream_tbEUlT_E_NS1_11comp_targetILNS1_3genE2ELNS1_11target_archE906ELNS1_3gpuE6ELNS1_3repE0EEENS1_30default_config_static_selectorELNS0_4arch9wavefront6targetE1EEEvT1_.num_named_barrier, 0
	.set _ZN7rocprim17ROCPRIM_400000_NS6detail17trampoline_kernelINS0_14default_configENS1_25transform_config_selectorImLb1EEEZNS1_14transform_implILb1ES3_S5_PmPlNS0_8identityIvEEEE10hipError_tT2_T3_mT4_P12ihipStream_tbEUlT_E_NS1_11comp_targetILNS1_3genE2ELNS1_11target_archE906ELNS1_3gpuE6ELNS1_3repE0EEENS1_30default_config_static_selectorELNS0_4arch9wavefront6targetE1EEEvT1_.private_seg_size, 0
	.set _ZN7rocprim17ROCPRIM_400000_NS6detail17trampoline_kernelINS0_14default_configENS1_25transform_config_selectorImLb1EEEZNS1_14transform_implILb1ES3_S5_PmPlNS0_8identityIvEEEE10hipError_tT2_T3_mT4_P12ihipStream_tbEUlT_E_NS1_11comp_targetILNS1_3genE2ELNS1_11target_archE906ELNS1_3gpuE6ELNS1_3repE0EEENS1_30default_config_static_selectorELNS0_4arch9wavefront6targetE1EEEvT1_.uses_vcc, 0
	.set _ZN7rocprim17ROCPRIM_400000_NS6detail17trampoline_kernelINS0_14default_configENS1_25transform_config_selectorImLb1EEEZNS1_14transform_implILb1ES3_S5_PmPlNS0_8identityIvEEEE10hipError_tT2_T3_mT4_P12ihipStream_tbEUlT_E_NS1_11comp_targetILNS1_3genE2ELNS1_11target_archE906ELNS1_3gpuE6ELNS1_3repE0EEENS1_30default_config_static_selectorELNS0_4arch9wavefront6targetE1EEEvT1_.uses_flat_scratch, 0
	.set _ZN7rocprim17ROCPRIM_400000_NS6detail17trampoline_kernelINS0_14default_configENS1_25transform_config_selectorImLb1EEEZNS1_14transform_implILb1ES3_S5_PmPlNS0_8identityIvEEEE10hipError_tT2_T3_mT4_P12ihipStream_tbEUlT_E_NS1_11comp_targetILNS1_3genE2ELNS1_11target_archE906ELNS1_3gpuE6ELNS1_3repE0EEENS1_30default_config_static_selectorELNS0_4arch9wavefront6targetE1EEEvT1_.has_dyn_sized_stack, 0
	.set _ZN7rocprim17ROCPRIM_400000_NS6detail17trampoline_kernelINS0_14default_configENS1_25transform_config_selectorImLb1EEEZNS1_14transform_implILb1ES3_S5_PmPlNS0_8identityIvEEEE10hipError_tT2_T3_mT4_P12ihipStream_tbEUlT_E_NS1_11comp_targetILNS1_3genE2ELNS1_11target_archE906ELNS1_3gpuE6ELNS1_3repE0EEENS1_30default_config_static_selectorELNS0_4arch9wavefront6targetE1EEEvT1_.has_recursion, 0
	.set _ZN7rocprim17ROCPRIM_400000_NS6detail17trampoline_kernelINS0_14default_configENS1_25transform_config_selectorImLb1EEEZNS1_14transform_implILb1ES3_S5_PmPlNS0_8identityIvEEEE10hipError_tT2_T3_mT4_P12ihipStream_tbEUlT_E_NS1_11comp_targetILNS1_3genE2ELNS1_11target_archE906ELNS1_3gpuE6ELNS1_3repE0EEENS1_30default_config_static_selectorELNS0_4arch9wavefront6targetE1EEEvT1_.has_indirect_call, 0
	.section	.AMDGPU.csdata,"",@progbits
; Kernel info:
; codeLenInByte = 0
; TotalNumSgprs: 6
; NumVgprs: 0
; NumAgprs: 0
; TotalNumVgprs: 0
; ScratchSize: 0
; MemoryBound: 0
; FloatMode: 240
; IeeeMode: 1
; LDSByteSize: 0 bytes/workgroup (compile time only)
; SGPRBlocks: 0
; VGPRBlocks: 0
; NumSGPRsForWavesPerEU: 6
; NumVGPRsForWavesPerEU: 1
; AccumOffset: 4
; Occupancy: 8
; WaveLimiterHint : 0
; COMPUTE_PGM_RSRC2:SCRATCH_EN: 0
; COMPUTE_PGM_RSRC2:USER_SGPR: 2
; COMPUTE_PGM_RSRC2:TRAP_HANDLER: 0
; COMPUTE_PGM_RSRC2:TGID_X_EN: 1
; COMPUTE_PGM_RSRC2:TGID_Y_EN: 0
; COMPUTE_PGM_RSRC2:TGID_Z_EN: 0
; COMPUTE_PGM_RSRC2:TIDIG_COMP_CNT: 0
; COMPUTE_PGM_RSRC3_GFX90A:ACCUM_OFFSET: 0
; COMPUTE_PGM_RSRC3_GFX90A:TG_SPLIT: 0
	.section	.text._ZN7rocprim17ROCPRIM_400000_NS6detail17trampoline_kernelINS0_14default_configENS1_25transform_config_selectorImLb1EEEZNS1_14transform_implILb1ES3_S5_PmPlNS0_8identityIvEEEE10hipError_tT2_T3_mT4_P12ihipStream_tbEUlT_E_NS1_11comp_targetILNS1_3genE9ELNS1_11target_archE1100ELNS1_3gpuE3ELNS1_3repE0EEENS1_30default_config_static_selectorELNS0_4arch9wavefront6targetE1EEEvT1_,"axG",@progbits,_ZN7rocprim17ROCPRIM_400000_NS6detail17trampoline_kernelINS0_14default_configENS1_25transform_config_selectorImLb1EEEZNS1_14transform_implILb1ES3_S5_PmPlNS0_8identityIvEEEE10hipError_tT2_T3_mT4_P12ihipStream_tbEUlT_E_NS1_11comp_targetILNS1_3genE9ELNS1_11target_archE1100ELNS1_3gpuE3ELNS1_3repE0EEENS1_30default_config_static_selectorELNS0_4arch9wavefront6targetE1EEEvT1_,comdat
	.protected	_ZN7rocprim17ROCPRIM_400000_NS6detail17trampoline_kernelINS0_14default_configENS1_25transform_config_selectorImLb1EEEZNS1_14transform_implILb1ES3_S5_PmPlNS0_8identityIvEEEE10hipError_tT2_T3_mT4_P12ihipStream_tbEUlT_E_NS1_11comp_targetILNS1_3genE9ELNS1_11target_archE1100ELNS1_3gpuE3ELNS1_3repE0EEENS1_30default_config_static_selectorELNS0_4arch9wavefront6targetE1EEEvT1_ ; -- Begin function _ZN7rocprim17ROCPRIM_400000_NS6detail17trampoline_kernelINS0_14default_configENS1_25transform_config_selectorImLb1EEEZNS1_14transform_implILb1ES3_S5_PmPlNS0_8identityIvEEEE10hipError_tT2_T3_mT4_P12ihipStream_tbEUlT_E_NS1_11comp_targetILNS1_3genE9ELNS1_11target_archE1100ELNS1_3gpuE3ELNS1_3repE0EEENS1_30default_config_static_selectorELNS0_4arch9wavefront6targetE1EEEvT1_
	.globl	_ZN7rocprim17ROCPRIM_400000_NS6detail17trampoline_kernelINS0_14default_configENS1_25transform_config_selectorImLb1EEEZNS1_14transform_implILb1ES3_S5_PmPlNS0_8identityIvEEEE10hipError_tT2_T3_mT4_P12ihipStream_tbEUlT_E_NS1_11comp_targetILNS1_3genE9ELNS1_11target_archE1100ELNS1_3gpuE3ELNS1_3repE0EEENS1_30default_config_static_selectorELNS0_4arch9wavefront6targetE1EEEvT1_
	.p2align	8
	.type	_ZN7rocprim17ROCPRIM_400000_NS6detail17trampoline_kernelINS0_14default_configENS1_25transform_config_selectorImLb1EEEZNS1_14transform_implILb1ES3_S5_PmPlNS0_8identityIvEEEE10hipError_tT2_T3_mT4_P12ihipStream_tbEUlT_E_NS1_11comp_targetILNS1_3genE9ELNS1_11target_archE1100ELNS1_3gpuE3ELNS1_3repE0EEENS1_30default_config_static_selectorELNS0_4arch9wavefront6targetE1EEEvT1_,@function
_ZN7rocprim17ROCPRIM_400000_NS6detail17trampoline_kernelINS0_14default_configENS1_25transform_config_selectorImLb1EEEZNS1_14transform_implILb1ES3_S5_PmPlNS0_8identityIvEEEE10hipError_tT2_T3_mT4_P12ihipStream_tbEUlT_E_NS1_11comp_targetILNS1_3genE9ELNS1_11target_archE1100ELNS1_3gpuE3ELNS1_3repE0EEENS1_30default_config_static_selectorELNS0_4arch9wavefront6targetE1EEEvT1_: ; @_ZN7rocprim17ROCPRIM_400000_NS6detail17trampoline_kernelINS0_14default_configENS1_25transform_config_selectorImLb1EEEZNS1_14transform_implILb1ES3_S5_PmPlNS0_8identityIvEEEE10hipError_tT2_T3_mT4_P12ihipStream_tbEUlT_E_NS1_11comp_targetILNS1_3genE9ELNS1_11target_archE1100ELNS1_3gpuE3ELNS1_3repE0EEENS1_30default_config_static_selectorELNS0_4arch9wavefront6targetE1EEEvT1_
; %bb.0:
	.section	.rodata,"a",@progbits
	.p2align	6, 0x0
	.amdhsa_kernel _ZN7rocprim17ROCPRIM_400000_NS6detail17trampoline_kernelINS0_14default_configENS1_25transform_config_selectorImLb1EEEZNS1_14transform_implILb1ES3_S5_PmPlNS0_8identityIvEEEE10hipError_tT2_T3_mT4_P12ihipStream_tbEUlT_E_NS1_11comp_targetILNS1_3genE9ELNS1_11target_archE1100ELNS1_3gpuE3ELNS1_3repE0EEENS1_30default_config_static_selectorELNS0_4arch9wavefront6targetE1EEEvT1_
		.amdhsa_group_segment_fixed_size 0
		.amdhsa_private_segment_fixed_size 0
		.amdhsa_kernarg_size 40
		.amdhsa_user_sgpr_count 2
		.amdhsa_user_sgpr_dispatch_ptr 0
		.amdhsa_user_sgpr_queue_ptr 0
		.amdhsa_user_sgpr_kernarg_segment_ptr 1
		.amdhsa_user_sgpr_dispatch_id 0
		.amdhsa_user_sgpr_kernarg_preload_length 0
		.amdhsa_user_sgpr_kernarg_preload_offset 0
		.amdhsa_user_sgpr_private_segment_size 0
		.amdhsa_uses_dynamic_stack 0
		.amdhsa_enable_private_segment 0
		.amdhsa_system_sgpr_workgroup_id_x 1
		.amdhsa_system_sgpr_workgroup_id_y 0
		.amdhsa_system_sgpr_workgroup_id_z 0
		.amdhsa_system_sgpr_workgroup_info 0
		.amdhsa_system_vgpr_workitem_id 0
		.amdhsa_next_free_vgpr 1
		.amdhsa_next_free_sgpr 0
		.amdhsa_accum_offset 4
		.amdhsa_reserve_vcc 0
		.amdhsa_float_round_mode_32 0
		.amdhsa_float_round_mode_16_64 0
		.amdhsa_float_denorm_mode_32 3
		.amdhsa_float_denorm_mode_16_64 3
		.amdhsa_dx10_clamp 1
		.amdhsa_ieee_mode 1
		.amdhsa_fp16_overflow 0
		.amdhsa_tg_split 0
		.amdhsa_exception_fp_ieee_invalid_op 0
		.amdhsa_exception_fp_denorm_src 0
		.amdhsa_exception_fp_ieee_div_zero 0
		.amdhsa_exception_fp_ieee_overflow 0
		.amdhsa_exception_fp_ieee_underflow 0
		.amdhsa_exception_fp_ieee_inexact 0
		.amdhsa_exception_int_div_zero 0
	.end_amdhsa_kernel
	.section	.text._ZN7rocprim17ROCPRIM_400000_NS6detail17trampoline_kernelINS0_14default_configENS1_25transform_config_selectorImLb1EEEZNS1_14transform_implILb1ES3_S5_PmPlNS0_8identityIvEEEE10hipError_tT2_T3_mT4_P12ihipStream_tbEUlT_E_NS1_11comp_targetILNS1_3genE9ELNS1_11target_archE1100ELNS1_3gpuE3ELNS1_3repE0EEENS1_30default_config_static_selectorELNS0_4arch9wavefront6targetE1EEEvT1_,"axG",@progbits,_ZN7rocprim17ROCPRIM_400000_NS6detail17trampoline_kernelINS0_14default_configENS1_25transform_config_selectorImLb1EEEZNS1_14transform_implILb1ES3_S5_PmPlNS0_8identityIvEEEE10hipError_tT2_T3_mT4_P12ihipStream_tbEUlT_E_NS1_11comp_targetILNS1_3genE9ELNS1_11target_archE1100ELNS1_3gpuE3ELNS1_3repE0EEENS1_30default_config_static_selectorELNS0_4arch9wavefront6targetE1EEEvT1_,comdat
.Lfunc_end192:
	.size	_ZN7rocprim17ROCPRIM_400000_NS6detail17trampoline_kernelINS0_14default_configENS1_25transform_config_selectorImLb1EEEZNS1_14transform_implILb1ES3_S5_PmPlNS0_8identityIvEEEE10hipError_tT2_T3_mT4_P12ihipStream_tbEUlT_E_NS1_11comp_targetILNS1_3genE9ELNS1_11target_archE1100ELNS1_3gpuE3ELNS1_3repE0EEENS1_30default_config_static_selectorELNS0_4arch9wavefront6targetE1EEEvT1_, .Lfunc_end192-_ZN7rocprim17ROCPRIM_400000_NS6detail17trampoline_kernelINS0_14default_configENS1_25transform_config_selectorImLb1EEEZNS1_14transform_implILb1ES3_S5_PmPlNS0_8identityIvEEEE10hipError_tT2_T3_mT4_P12ihipStream_tbEUlT_E_NS1_11comp_targetILNS1_3genE9ELNS1_11target_archE1100ELNS1_3gpuE3ELNS1_3repE0EEENS1_30default_config_static_selectorELNS0_4arch9wavefront6targetE1EEEvT1_
                                        ; -- End function
	.set _ZN7rocprim17ROCPRIM_400000_NS6detail17trampoline_kernelINS0_14default_configENS1_25transform_config_selectorImLb1EEEZNS1_14transform_implILb1ES3_S5_PmPlNS0_8identityIvEEEE10hipError_tT2_T3_mT4_P12ihipStream_tbEUlT_E_NS1_11comp_targetILNS1_3genE9ELNS1_11target_archE1100ELNS1_3gpuE3ELNS1_3repE0EEENS1_30default_config_static_selectorELNS0_4arch9wavefront6targetE1EEEvT1_.num_vgpr, 0
	.set _ZN7rocprim17ROCPRIM_400000_NS6detail17trampoline_kernelINS0_14default_configENS1_25transform_config_selectorImLb1EEEZNS1_14transform_implILb1ES3_S5_PmPlNS0_8identityIvEEEE10hipError_tT2_T3_mT4_P12ihipStream_tbEUlT_E_NS1_11comp_targetILNS1_3genE9ELNS1_11target_archE1100ELNS1_3gpuE3ELNS1_3repE0EEENS1_30default_config_static_selectorELNS0_4arch9wavefront6targetE1EEEvT1_.num_agpr, 0
	.set _ZN7rocprim17ROCPRIM_400000_NS6detail17trampoline_kernelINS0_14default_configENS1_25transform_config_selectorImLb1EEEZNS1_14transform_implILb1ES3_S5_PmPlNS0_8identityIvEEEE10hipError_tT2_T3_mT4_P12ihipStream_tbEUlT_E_NS1_11comp_targetILNS1_3genE9ELNS1_11target_archE1100ELNS1_3gpuE3ELNS1_3repE0EEENS1_30default_config_static_selectorELNS0_4arch9wavefront6targetE1EEEvT1_.numbered_sgpr, 0
	.set _ZN7rocprim17ROCPRIM_400000_NS6detail17trampoline_kernelINS0_14default_configENS1_25transform_config_selectorImLb1EEEZNS1_14transform_implILb1ES3_S5_PmPlNS0_8identityIvEEEE10hipError_tT2_T3_mT4_P12ihipStream_tbEUlT_E_NS1_11comp_targetILNS1_3genE9ELNS1_11target_archE1100ELNS1_3gpuE3ELNS1_3repE0EEENS1_30default_config_static_selectorELNS0_4arch9wavefront6targetE1EEEvT1_.num_named_barrier, 0
	.set _ZN7rocprim17ROCPRIM_400000_NS6detail17trampoline_kernelINS0_14default_configENS1_25transform_config_selectorImLb1EEEZNS1_14transform_implILb1ES3_S5_PmPlNS0_8identityIvEEEE10hipError_tT2_T3_mT4_P12ihipStream_tbEUlT_E_NS1_11comp_targetILNS1_3genE9ELNS1_11target_archE1100ELNS1_3gpuE3ELNS1_3repE0EEENS1_30default_config_static_selectorELNS0_4arch9wavefront6targetE1EEEvT1_.private_seg_size, 0
	.set _ZN7rocprim17ROCPRIM_400000_NS6detail17trampoline_kernelINS0_14default_configENS1_25transform_config_selectorImLb1EEEZNS1_14transform_implILb1ES3_S5_PmPlNS0_8identityIvEEEE10hipError_tT2_T3_mT4_P12ihipStream_tbEUlT_E_NS1_11comp_targetILNS1_3genE9ELNS1_11target_archE1100ELNS1_3gpuE3ELNS1_3repE0EEENS1_30default_config_static_selectorELNS0_4arch9wavefront6targetE1EEEvT1_.uses_vcc, 0
	.set _ZN7rocprim17ROCPRIM_400000_NS6detail17trampoline_kernelINS0_14default_configENS1_25transform_config_selectorImLb1EEEZNS1_14transform_implILb1ES3_S5_PmPlNS0_8identityIvEEEE10hipError_tT2_T3_mT4_P12ihipStream_tbEUlT_E_NS1_11comp_targetILNS1_3genE9ELNS1_11target_archE1100ELNS1_3gpuE3ELNS1_3repE0EEENS1_30default_config_static_selectorELNS0_4arch9wavefront6targetE1EEEvT1_.uses_flat_scratch, 0
	.set _ZN7rocprim17ROCPRIM_400000_NS6detail17trampoline_kernelINS0_14default_configENS1_25transform_config_selectorImLb1EEEZNS1_14transform_implILb1ES3_S5_PmPlNS0_8identityIvEEEE10hipError_tT2_T3_mT4_P12ihipStream_tbEUlT_E_NS1_11comp_targetILNS1_3genE9ELNS1_11target_archE1100ELNS1_3gpuE3ELNS1_3repE0EEENS1_30default_config_static_selectorELNS0_4arch9wavefront6targetE1EEEvT1_.has_dyn_sized_stack, 0
	.set _ZN7rocprim17ROCPRIM_400000_NS6detail17trampoline_kernelINS0_14default_configENS1_25transform_config_selectorImLb1EEEZNS1_14transform_implILb1ES3_S5_PmPlNS0_8identityIvEEEE10hipError_tT2_T3_mT4_P12ihipStream_tbEUlT_E_NS1_11comp_targetILNS1_3genE9ELNS1_11target_archE1100ELNS1_3gpuE3ELNS1_3repE0EEENS1_30default_config_static_selectorELNS0_4arch9wavefront6targetE1EEEvT1_.has_recursion, 0
	.set _ZN7rocprim17ROCPRIM_400000_NS6detail17trampoline_kernelINS0_14default_configENS1_25transform_config_selectorImLb1EEEZNS1_14transform_implILb1ES3_S5_PmPlNS0_8identityIvEEEE10hipError_tT2_T3_mT4_P12ihipStream_tbEUlT_E_NS1_11comp_targetILNS1_3genE9ELNS1_11target_archE1100ELNS1_3gpuE3ELNS1_3repE0EEENS1_30default_config_static_selectorELNS0_4arch9wavefront6targetE1EEEvT1_.has_indirect_call, 0
	.section	.AMDGPU.csdata,"",@progbits
; Kernel info:
; codeLenInByte = 0
; TotalNumSgprs: 6
; NumVgprs: 0
; NumAgprs: 0
; TotalNumVgprs: 0
; ScratchSize: 0
; MemoryBound: 0
; FloatMode: 240
; IeeeMode: 1
; LDSByteSize: 0 bytes/workgroup (compile time only)
; SGPRBlocks: 0
; VGPRBlocks: 0
; NumSGPRsForWavesPerEU: 6
; NumVGPRsForWavesPerEU: 1
; AccumOffset: 4
; Occupancy: 8
; WaveLimiterHint : 0
; COMPUTE_PGM_RSRC2:SCRATCH_EN: 0
; COMPUTE_PGM_RSRC2:USER_SGPR: 2
; COMPUTE_PGM_RSRC2:TRAP_HANDLER: 0
; COMPUTE_PGM_RSRC2:TGID_X_EN: 1
; COMPUTE_PGM_RSRC2:TGID_Y_EN: 0
; COMPUTE_PGM_RSRC2:TGID_Z_EN: 0
; COMPUTE_PGM_RSRC2:TIDIG_COMP_CNT: 0
; COMPUTE_PGM_RSRC3_GFX90A:ACCUM_OFFSET: 0
; COMPUTE_PGM_RSRC3_GFX90A:TG_SPLIT: 0
	.section	.text._ZN7rocprim17ROCPRIM_400000_NS6detail17trampoline_kernelINS0_14default_configENS1_25transform_config_selectorImLb1EEEZNS1_14transform_implILb1ES3_S5_PmPlNS0_8identityIvEEEE10hipError_tT2_T3_mT4_P12ihipStream_tbEUlT_E_NS1_11comp_targetILNS1_3genE8ELNS1_11target_archE1030ELNS1_3gpuE2ELNS1_3repE0EEENS1_30default_config_static_selectorELNS0_4arch9wavefront6targetE1EEEvT1_,"axG",@progbits,_ZN7rocprim17ROCPRIM_400000_NS6detail17trampoline_kernelINS0_14default_configENS1_25transform_config_selectorImLb1EEEZNS1_14transform_implILb1ES3_S5_PmPlNS0_8identityIvEEEE10hipError_tT2_T3_mT4_P12ihipStream_tbEUlT_E_NS1_11comp_targetILNS1_3genE8ELNS1_11target_archE1030ELNS1_3gpuE2ELNS1_3repE0EEENS1_30default_config_static_selectorELNS0_4arch9wavefront6targetE1EEEvT1_,comdat
	.protected	_ZN7rocprim17ROCPRIM_400000_NS6detail17trampoline_kernelINS0_14default_configENS1_25transform_config_selectorImLb1EEEZNS1_14transform_implILb1ES3_S5_PmPlNS0_8identityIvEEEE10hipError_tT2_T3_mT4_P12ihipStream_tbEUlT_E_NS1_11comp_targetILNS1_3genE8ELNS1_11target_archE1030ELNS1_3gpuE2ELNS1_3repE0EEENS1_30default_config_static_selectorELNS0_4arch9wavefront6targetE1EEEvT1_ ; -- Begin function _ZN7rocprim17ROCPRIM_400000_NS6detail17trampoline_kernelINS0_14default_configENS1_25transform_config_selectorImLb1EEEZNS1_14transform_implILb1ES3_S5_PmPlNS0_8identityIvEEEE10hipError_tT2_T3_mT4_P12ihipStream_tbEUlT_E_NS1_11comp_targetILNS1_3genE8ELNS1_11target_archE1030ELNS1_3gpuE2ELNS1_3repE0EEENS1_30default_config_static_selectorELNS0_4arch9wavefront6targetE1EEEvT1_
	.globl	_ZN7rocprim17ROCPRIM_400000_NS6detail17trampoline_kernelINS0_14default_configENS1_25transform_config_selectorImLb1EEEZNS1_14transform_implILb1ES3_S5_PmPlNS0_8identityIvEEEE10hipError_tT2_T3_mT4_P12ihipStream_tbEUlT_E_NS1_11comp_targetILNS1_3genE8ELNS1_11target_archE1030ELNS1_3gpuE2ELNS1_3repE0EEENS1_30default_config_static_selectorELNS0_4arch9wavefront6targetE1EEEvT1_
	.p2align	8
	.type	_ZN7rocprim17ROCPRIM_400000_NS6detail17trampoline_kernelINS0_14default_configENS1_25transform_config_selectorImLb1EEEZNS1_14transform_implILb1ES3_S5_PmPlNS0_8identityIvEEEE10hipError_tT2_T3_mT4_P12ihipStream_tbEUlT_E_NS1_11comp_targetILNS1_3genE8ELNS1_11target_archE1030ELNS1_3gpuE2ELNS1_3repE0EEENS1_30default_config_static_selectorELNS0_4arch9wavefront6targetE1EEEvT1_,@function
_ZN7rocprim17ROCPRIM_400000_NS6detail17trampoline_kernelINS0_14default_configENS1_25transform_config_selectorImLb1EEEZNS1_14transform_implILb1ES3_S5_PmPlNS0_8identityIvEEEE10hipError_tT2_T3_mT4_P12ihipStream_tbEUlT_E_NS1_11comp_targetILNS1_3genE8ELNS1_11target_archE1030ELNS1_3gpuE2ELNS1_3repE0EEENS1_30default_config_static_selectorELNS0_4arch9wavefront6targetE1EEEvT1_: ; @_ZN7rocprim17ROCPRIM_400000_NS6detail17trampoline_kernelINS0_14default_configENS1_25transform_config_selectorImLb1EEEZNS1_14transform_implILb1ES3_S5_PmPlNS0_8identityIvEEEE10hipError_tT2_T3_mT4_P12ihipStream_tbEUlT_E_NS1_11comp_targetILNS1_3genE8ELNS1_11target_archE1030ELNS1_3gpuE2ELNS1_3repE0EEENS1_30default_config_static_selectorELNS0_4arch9wavefront6targetE1EEEvT1_
; %bb.0:
	.section	.rodata,"a",@progbits
	.p2align	6, 0x0
	.amdhsa_kernel _ZN7rocprim17ROCPRIM_400000_NS6detail17trampoline_kernelINS0_14default_configENS1_25transform_config_selectorImLb1EEEZNS1_14transform_implILb1ES3_S5_PmPlNS0_8identityIvEEEE10hipError_tT2_T3_mT4_P12ihipStream_tbEUlT_E_NS1_11comp_targetILNS1_3genE8ELNS1_11target_archE1030ELNS1_3gpuE2ELNS1_3repE0EEENS1_30default_config_static_selectorELNS0_4arch9wavefront6targetE1EEEvT1_
		.amdhsa_group_segment_fixed_size 0
		.amdhsa_private_segment_fixed_size 0
		.amdhsa_kernarg_size 40
		.amdhsa_user_sgpr_count 2
		.amdhsa_user_sgpr_dispatch_ptr 0
		.amdhsa_user_sgpr_queue_ptr 0
		.amdhsa_user_sgpr_kernarg_segment_ptr 1
		.amdhsa_user_sgpr_dispatch_id 0
		.amdhsa_user_sgpr_kernarg_preload_length 0
		.amdhsa_user_sgpr_kernarg_preload_offset 0
		.amdhsa_user_sgpr_private_segment_size 0
		.amdhsa_uses_dynamic_stack 0
		.amdhsa_enable_private_segment 0
		.amdhsa_system_sgpr_workgroup_id_x 1
		.amdhsa_system_sgpr_workgroup_id_y 0
		.amdhsa_system_sgpr_workgroup_id_z 0
		.amdhsa_system_sgpr_workgroup_info 0
		.amdhsa_system_vgpr_workitem_id 0
		.amdhsa_next_free_vgpr 1
		.amdhsa_next_free_sgpr 0
		.amdhsa_accum_offset 4
		.amdhsa_reserve_vcc 0
		.amdhsa_float_round_mode_32 0
		.amdhsa_float_round_mode_16_64 0
		.amdhsa_float_denorm_mode_32 3
		.amdhsa_float_denorm_mode_16_64 3
		.amdhsa_dx10_clamp 1
		.amdhsa_ieee_mode 1
		.amdhsa_fp16_overflow 0
		.amdhsa_tg_split 0
		.amdhsa_exception_fp_ieee_invalid_op 0
		.amdhsa_exception_fp_denorm_src 0
		.amdhsa_exception_fp_ieee_div_zero 0
		.amdhsa_exception_fp_ieee_overflow 0
		.amdhsa_exception_fp_ieee_underflow 0
		.amdhsa_exception_fp_ieee_inexact 0
		.amdhsa_exception_int_div_zero 0
	.end_amdhsa_kernel
	.section	.text._ZN7rocprim17ROCPRIM_400000_NS6detail17trampoline_kernelINS0_14default_configENS1_25transform_config_selectorImLb1EEEZNS1_14transform_implILb1ES3_S5_PmPlNS0_8identityIvEEEE10hipError_tT2_T3_mT4_P12ihipStream_tbEUlT_E_NS1_11comp_targetILNS1_3genE8ELNS1_11target_archE1030ELNS1_3gpuE2ELNS1_3repE0EEENS1_30default_config_static_selectorELNS0_4arch9wavefront6targetE1EEEvT1_,"axG",@progbits,_ZN7rocprim17ROCPRIM_400000_NS6detail17trampoline_kernelINS0_14default_configENS1_25transform_config_selectorImLb1EEEZNS1_14transform_implILb1ES3_S5_PmPlNS0_8identityIvEEEE10hipError_tT2_T3_mT4_P12ihipStream_tbEUlT_E_NS1_11comp_targetILNS1_3genE8ELNS1_11target_archE1030ELNS1_3gpuE2ELNS1_3repE0EEENS1_30default_config_static_selectorELNS0_4arch9wavefront6targetE1EEEvT1_,comdat
.Lfunc_end193:
	.size	_ZN7rocprim17ROCPRIM_400000_NS6detail17trampoline_kernelINS0_14default_configENS1_25transform_config_selectorImLb1EEEZNS1_14transform_implILb1ES3_S5_PmPlNS0_8identityIvEEEE10hipError_tT2_T3_mT4_P12ihipStream_tbEUlT_E_NS1_11comp_targetILNS1_3genE8ELNS1_11target_archE1030ELNS1_3gpuE2ELNS1_3repE0EEENS1_30default_config_static_selectorELNS0_4arch9wavefront6targetE1EEEvT1_, .Lfunc_end193-_ZN7rocprim17ROCPRIM_400000_NS6detail17trampoline_kernelINS0_14default_configENS1_25transform_config_selectorImLb1EEEZNS1_14transform_implILb1ES3_S5_PmPlNS0_8identityIvEEEE10hipError_tT2_T3_mT4_P12ihipStream_tbEUlT_E_NS1_11comp_targetILNS1_3genE8ELNS1_11target_archE1030ELNS1_3gpuE2ELNS1_3repE0EEENS1_30default_config_static_selectorELNS0_4arch9wavefront6targetE1EEEvT1_
                                        ; -- End function
	.set _ZN7rocprim17ROCPRIM_400000_NS6detail17trampoline_kernelINS0_14default_configENS1_25transform_config_selectorImLb1EEEZNS1_14transform_implILb1ES3_S5_PmPlNS0_8identityIvEEEE10hipError_tT2_T3_mT4_P12ihipStream_tbEUlT_E_NS1_11comp_targetILNS1_3genE8ELNS1_11target_archE1030ELNS1_3gpuE2ELNS1_3repE0EEENS1_30default_config_static_selectorELNS0_4arch9wavefront6targetE1EEEvT1_.num_vgpr, 0
	.set _ZN7rocprim17ROCPRIM_400000_NS6detail17trampoline_kernelINS0_14default_configENS1_25transform_config_selectorImLb1EEEZNS1_14transform_implILb1ES3_S5_PmPlNS0_8identityIvEEEE10hipError_tT2_T3_mT4_P12ihipStream_tbEUlT_E_NS1_11comp_targetILNS1_3genE8ELNS1_11target_archE1030ELNS1_3gpuE2ELNS1_3repE0EEENS1_30default_config_static_selectorELNS0_4arch9wavefront6targetE1EEEvT1_.num_agpr, 0
	.set _ZN7rocprim17ROCPRIM_400000_NS6detail17trampoline_kernelINS0_14default_configENS1_25transform_config_selectorImLb1EEEZNS1_14transform_implILb1ES3_S5_PmPlNS0_8identityIvEEEE10hipError_tT2_T3_mT4_P12ihipStream_tbEUlT_E_NS1_11comp_targetILNS1_3genE8ELNS1_11target_archE1030ELNS1_3gpuE2ELNS1_3repE0EEENS1_30default_config_static_selectorELNS0_4arch9wavefront6targetE1EEEvT1_.numbered_sgpr, 0
	.set _ZN7rocprim17ROCPRIM_400000_NS6detail17trampoline_kernelINS0_14default_configENS1_25transform_config_selectorImLb1EEEZNS1_14transform_implILb1ES3_S5_PmPlNS0_8identityIvEEEE10hipError_tT2_T3_mT4_P12ihipStream_tbEUlT_E_NS1_11comp_targetILNS1_3genE8ELNS1_11target_archE1030ELNS1_3gpuE2ELNS1_3repE0EEENS1_30default_config_static_selectorELNS0_4arch9wavefront6targetE1EEEvT1_.num_named_barrier, 0
	.set _ZN7rocprim17ROCPRIM_400000_NS6detail17trampoline_kernelINS0_14default_configENS1_25transform_config_selectorImLb1EEEZNS1_14transform_implILb1ES3_S5_PmPlNS0_8identityIvEEEE10hipError_tT2_T3_mT4_P12ihipStream_tbEUlT_E_NS1_11comp_targetILNS1_3genE8ELNS1_11target_archE1030ELNS1_3gpuE2ELNS1_3repE0EEENS1_30default_config_static_selectorELNS0_4arch9wavefront6targetE1EEEvT1_.private_seg_size, 0
	.set _ZN7rocprim17ROCPRIM_400000_NS6detail17trampoline_kernelINS0_14default_configENS1_25transform_config_selectorImLb1EEEZNS1_14transform_implILb1ES3_S5_PmPlNS0_8identityIvEEEE10hipError_tT2_T3_mT4_P12ihipStream_tbEUlT_E_NS1_11comp_targetILNS1_3genE8ELNS1_11target_archE1030ELNS1_3gpuE2ELNS1_3repE0EEENS1_30default_config_static_selectorELNS0_4arch9wavefront6targetE1EEEvT1_.uses_vcc, 0
	.set _ZN7rocprim17ROCPRIM_400000_NS6detail17trampoline_kernelINS0_14default_configENS1_25transform_config_selectorImLb1EEEZNS1_14transform_implILb1ES3_S5_PmPlNS0_8identityIvEEEE10hipError_tT2_T3_mT4_P12ihipStream_tbEUlT_E_NS1_11comp_targetILNS1_3genE8ELNS1_11target_archE1030ELNS1_3gpuE2ELNS1_3repE0EEENS1_30default_config_static_selectorELNS0_4arch9wavefront6targetE1EEEvT1_.uses_flat_scratch, 0
	.set _ZN7rocprim17ROCPRIM_400000_NS6detail17trampoline_kernelINS0_14default_configENS1_25transform_config_selectorImLb1EEEZNS1_14transform_implILb1ES3_S5_PmPlNS0_8identityIvEEEE10hipError_tT2_T3_mT4_P12ihipStream_tbEUlT_E_NS1_11comp_targetILNS1_3genE8ELNS1_11target_archE1030ELNS1_3gpuE2ELNS1_3repE0EEENS1_30default_config_static_selectorELNS0_4arch9wavefront6targetE1EEEvT1_.has_dyn_sized_stack, 0
	.set _ZN7rocprim17ROCPRIM_400000_NS6detail17trampoline_kernelINS0_14default_configENS1_25transform_config_selectorImLb1EEEZNS1_14transform_implILb1ES3_S5_PmPlNS0_8identityIvEEEE10hipError_tT2_T3_mT4_P12ihipStream_tbEUlT_E_NS1_11comp_targetILNS1_3genE8ELNS1_11target_archE1030ELNS1_3gpuE2ELNS1_3repE0EEENS1_30default_config_static_selectorELNS0_4arch9wavefront6targetE1EEEvT1_.has_recursion, 0
	.set _ZN7rocprim17ROCPRIM_400000_NS6detail17trampoline_kernelINS0_14default_configENS1_25transform_config_selectorImLb1EEEZNS1_14transform_implILb1ES3_S5_PmPlNS0_8identityIvEEEE10hipError_tT2_T3_mT4_P12ihipStream_tbEUlT_E_NS1_11comp_targetILNS1_3genE8ELNS1_11target_archE1030ELNS1_3gpuE2ELNS1_3repE0EEENS1_30default_config_static_selectorELNS0_4arch9wavefront6targetE1EEEvT1_.has_indirect_call, 0
	.section	.AMDGPU.csdata,"",@progbits
; Kernel info:
; codeLenInByte = 0
; TotalNumSgprs: 6
; NumVgprs: 0
; NumAgprs: 0
; TotalNumVgprs: 0
; ScratchSize: 0
; MemoryBound: 0
; FloatMode: 240
; IeeeMode: 1
; LDSByteSize: 0 bytes/workgroup (compile time only)
; SGPRBlocks: 0
; VGPRBlocks: 0
; NumSGPRsForWavesPerEU: 6
; NumVGPRsForWavesPerEU: 1
; AccumOffset: 4
; Occupancy: 8
; WaveLimiterHint : 0
; COMPUTE_PGM_RSRC2:SCRATCH_EN: 0
; COMPUTE_PGM_RSRC2:USER_SGPR: 2
; COMPUTE_PGM_RSRC2:TRAP_HANDLER: 0
; COMPUTE_PGM_RSRC2:TGID_X_EN: 1
; COMPUTE_PGM_RSRC2:TGID_Y_EN: 0
; COMPUTE_PGM_RSRC2:TGID_Z_EN: 0
; COMPUTE_PGM_RSRC2:TIDIG_COMP_CNT: 0
; COMPUTE_PGM_RSRC3_GFX90A:ACCUM_OFFSET: 0
; COMPUTE_PGM_RSRC3_GFX90A:TG_SPLIT: 0
	.section	.text._ZN7rocprim17ROCPRIM_400000_NS6detail31init_lookback_scan_state_kernelINS1_19lookback_scan_stateIjLb1ELb1EEENS1_16block_id_wrapperIjLb1EEEEEvT_jT0_jPNS7_10value_typeE,"axG",@progbits,_ZN7rocprim17ROCPRIM_400000_NS6detail31init_lookback_scan_state_kernelINS1_19lookback_scan_stateIjLb1ELb1EEENS1_16block_id_wrapperIjLb1EEEEEvT_jT0_jPNS7_10value_typeE,comdat
	.protected	_ZN7rocprim17ROCPRIM_400000_NS6detail31init_lookback_scan_state_kernelINS1_19lookback_scan_stateIjLb1ELb1EEENS1_16block_id_wrapperIjLb1EEEEEvT_jT0_jPNS7_10value_typeE ; -- Begin function _ZN7rocprim17ROCPRIM_400000_NS6detail31init_lookback_scan_state_kernelINS1_19lookback_scan_stateIjLb1ELb1EEENS1_16block_id_wrapperIjLb1EEEEEvT_jT0_jPNS7_10value_typeE
	.globl	_ZN7rocprim17ROCPRIM_400000_NS6detail31init_lookback_scan_state_kernelINS1_19lookback_scan_stateIjLb1ELb1EEENS1_16block_id_wrapperIjLb1EEEEEvT_jT0_jPNS7_10value_typeE
	.p2align	8
	.type	_ZN7rocprim17ROCPRIM_400000_NS6detail31init_lookback_scan_state_kernelINS1_19lookback_scan_stateIjLb1ELb1EEENS1_16block_id_wrapperIjLb1EEEEEvT_jT0_jPNS7_10value_typeE,@function
_ZN7rocprim17ROCPRIM_400000_NS6detail31init_lookback_scan_state_kernelINS1_19lookback_scan_stateIjLb1ELb1EEENS1_16block_id_wrapperIjLb1EEEEEvT_jT0_jPNS7_10value_typeE: ; @_ZN7rocprim17ROCPRIM_400000_NS6detail31init_lookback_scan_state_kernelINS1_19lookback_scan_stateIjLb1ELb1EEENS1_16block_id_wrapperIjLb1EEEEEvT_jT0_jPNS7_10value_typeE
; %bb.0:
	s_load_dword s3, s[0:1], 0x34
	s_load_dwordx2 s[6:7], s[0:1], 0x20
	s_load_dwordx2 s[4:5], s[0:1], 0x0
	s_load_dword s10, s[0:1], 0x8
	s_waitcnt lgkmcnt(0)
	s_and_b32 s3, s3, 0xffff
	s_mul_i32 s2, s2, s3
	s_cmp_eq_u64 s[6:7], 0
	v_add_u32_e32 v0, s2, v0
	s_cbranch_scc1 .LBB194_9
; %bb.1:
	s_load_dword s8, s[0:1], 0x18
	s_mov_b32 s9, 0
	s_waitcnt lgkmcnt(0)
	s_cmp_lt_u32 s8, s10
	s_cselect_b32 s2, s8, 0
	v_cmp_eq_u32_e32 vcc, s2, v0
	s_and_saveexec_b64 s[2:3], vcc
	s_cbranch_execz .LBB194_8
; %bb.2:
	s_add_i32 s8, s8, 64
	s_lshl_b64 s[8:9], s[8:9], 3
	s_add_u32 s8, s4, s8
	s_addc_u32 s9, s5, s9
	v_mov_b32_e32 v2, 0
	global_load_dwordx2 v[4:5], v2, s[8:9] sc1
	s_waitcnt vmcnt(0)
	v_and_b32_e32 v3, 0xff, v5
	v_cmp_ne_u64_e32 vcc, 0, v[2:3]
	s_cbranch_vccnz .LBB194_7
; %bb.3:
	s_mov_b32 s11, 1
.LBB194_4:                              ; =>This Loop Header: Depth=1
                                        ;     Child Loop BB194_5 Depth 2
	s_mov_b32 s12, s11
.LBB194_5:                              ;   Parent Loop BB194_4 Depth=1
                                        ; =>  This Inner Loop Header: Depth=2
	s_add_i32 s12, s12, -1
	s_cmp_eq_u32 s12, 0
	s_sleep 1
	s_cbranch_scc0 .LBB194_5
; %bb.6:                                ;   in Loop: Header=BB194_4 Depth=1
	global_load_dwordx2 v[4:5], v2, s[8:9] sc1
	s_cmp_lt_u32 s11, 32
	s_cselect_b64 s[12:13], -1, 0
	s_cmp_lg_u64 s[12:13], 0
	s_addc_u32 s11, s11, 0
	s_waitcnt vmcnt(0)
	v_and_b32_e32 v3, 0xff, v5
	v_cmp_ne_u64_e32 vcc, 0, v[2:3]
	s_cbranch_vccz .LBB194_4
.LBB194_7:
	v_mov_b32_e32 v1, 0
	global_store_dword v1, v4, s[6:7]
.LBB194_8:
	s_or_b64 exec, exec, s[2:3]
.LBB194_9:
	v_cmp_eq_u32_e32 vcc, 0, v0
	s_and_saveexec_b64 s[2:3], vcc
	s_cbranch_execnz .LBB194_13
; %bb.10:
	s_or_b64 exec, exec, s[2:3]
	v_cmp_gt_u32_e32 vcc, s10, v0
	s_and_saveexec_b64 s[0:1], vcc
	s_cbranch_execnz .LBB194_14
.LBB194_11:
	s_or_b64 exec, exec, s[0:1]
	v_cmp_gt_u32_e32 vcc, 64, v0
	s_and_saveexec_b64 s[0:1], vcc
	s_cbranch_execnz .LBB194_15
.LBB194_12:
	s_endpgm
.LBB194_13:
	s_load_dwordx2 s[0:1], s[0:1], 0x10
	v_mov_b32_e32 v1, 0
	s_waitcnt lgkmcnt(0)
	global_store_dword v1, v1, s[0:1]
	s_or_b64 exec, exec, s[2:3]
	v_cmp_gt_u32_e32 vcc, s10, v0
	s_and_saveexec_b64 s[0:1], vcc
	s_cbranch_execz .LBB194_11
.LBB194_14:
	v_add_u32_e32 v2, 64, v0
	v_mov_b32_e32 v3, 0
	v_lshl_add_u64 v[4:5], v[2:3], 3, s[4:5]
	v_mov_b32_e32 v2, v3
	global_store_dwordx2 v[4:5], v[2:3], off
	s_or_b64 exec, exec, s[0:1]
	v_cmp_gt_u32_e32 vcc, 64, v0
	s_and_saveexec_b64 s[0:1], vcc
	s_cbranch_execz .LBB194_12
.LBB194_15:
	v_mov_b32_e32 v1, 0
	v_lshl_add_u64 v[2:3], v[0:1], 3, s[4:5]
	v_mov_b32_e32 v5, 0xff
	v_mov_b32_e32 v4, v1
	global_store_dwordx2 v[2:3], v[4:5], off
	s_endpgm
	.section	.rodata,"a",@progbits
	.p2align	6, 0x0
	.amdhsa_kernel _ZN7rocprim17ROCPRIM_400000_NS6detail31init_lookback_scan_state_kernelINS1_19lookback_scan_stateIjLb1ELb1EEENS1_16block_id_wrapperIjLb1EEEEEvT_jT0_jPNS7_10value_typeE
		.amdhsa_group_segment_fixed_size 0
		.amdhsa_private_segment_fixed_size 0
		.amdhsa_kernarg_size 296
		.amdhsa_user_sgpr_count 2
		.amdhsa_user_sgpr_dispatch_ptr 0
		.amdhsa_user_sgpr_queue_ptr 0
		.amdhsa_user_sgpr_kernarg_segment_ptr 1
		.amdhsa_user_sgpr_dispatch_id 0
		.amdhsa_user_sgpr_kernarg_preload_length 0
		.amdhsa_user_sgpr_kernarg_preload_offset 0
		.amdhsa_user_sgpr_private_segment_size 0
		.amdhsa_uses_dynamic_stack 0
		.amdhsa_enable_private_segment 0
		.amdhsa_system_sgpr_workgroup_id_x 1
		.amdhsa_system_sgpr_workgroup_id_y 0
		.amdhsa_system_sgpr_workgroup_id_z 0
		.amdhsa_system_sgpr_workgroup_info 0
		.amdhsa_system_vgpr_workitem_id 0
		.amdhsa_next_free_vgpr 6
		.amdhsa_next_free_sgpr 14
		.amdhsa_accum_offset 8
		.amdhsa_reserve_vcc 1
		.amdhsa_float_round_mode_32 0
		.amdhsa_float_round_mode_16_64 0
		.amdhsa_float_denorm_mode_32 3
		.amdhsa_float_denorm_mode_16_64 3
		.amdhsa_dx10_clamp 1
		.amdhsa_ieee_mode 1
		.amdhsa_fp16_overflow 0
		.amdhsa_tg_split 0
		.amdhsa_exception_fp_ieee_invalid_op 0
		.amdhsa_exception_fp_denorm_src 0
		.amdhsa_exception_fp_ieee_div_zero 0
		.amdhsa_exception_fp_ieee_overflow 0
		.amdhsa_exception_fp_ieee_underflow 0
		.amdhsa_exception_fp_ieee_inexact 0
		.amdhsa_exception_int_div_zero 0
	.end_amdhsa_kernel
	.section	.text._ZN7rocprim17ROCPRIM_400000_NS6detail31init_lookback_scan_state_kernelINS1_19lookback_scan_stateIjLb1ELb1EEENS1_16block_id_wrapperIjLb1EEEEEvT_jT0_jPNS7_10value_typeE,"axG",@progbits,_ZN7rocprim17ROCPRIM_400000_NS6detail31init_lookback_scan_state_kernelINS1_19lookback_scan_stateIjLb1ELb1EEENS1_16block_id_wrapperIjLb1EEEEEvT_jT0_jPNS7_10value_typeE,comdat
.Lfunc_end194:
	.size	_ZN7rocprim17ROCPRIM_400000_NS6detail31init_lookback_scan_state_kernelINS1_19lookback_scan_stateIjLb1ELb1EEENS1_16block_id_wrapperIjLb1EEEEEvT_jT0_jPNS7_10value_typeE, .Lfunc_end194-_ZN7rocprim17ROCPRIM_400000_NS6detail31init_lookback_scan_state_kernelINS1_19lookback_scan_stateIjLb1ELb1EEENS1_16block_id_wrapperIjLb1EEEEEvT_jT0_jPNS7_10value_typeE
                                        ; -- End function
	.set _ZN7rocprim17ROCPRIM_400000_NS6detail31init_lookback_scan_state_kernelINS1_19lookback_scan_stateIjLb1ELb1EEENS1_16block_id_wrapperIjLb1EEEEEvT_jT0_jPNS7_10value_typeE.num_vgpr, 6
	.set _ZN7rocprim17ROCPRIM_400000_NS6detail31init_lookback_scan_state_kernelINS1_19lookback_scan_stateIjLb1ELb1EEENS1_16block_id_wrapperIjLb1EEEEEvT_jT0_jPNS7_10value_typeE.num_agpr, 0
	.set _ZN7rocprim17ROCPRIM_400000_NS6detail31init_lookback_scan_state_kernelINS1_19lookback_scan_stateIjLb1ELb1EEENS1_16block_id_wrapperIjLb1EEEEEvT_jT0_jPNS7_10value_typeE.numbered_sgpr, 14
	.set _ZN7rocprim17ROCPRIM_400000_NS6detail31init_lookback_scan_state_kernelINS1_19lookback_scan_stateIjLb1ELb1EEENS1_16block_id_wrapperIjLb1EEEEEvT_jT0_jPNS7_10value_typeE.num_named_barrier, 0
	.set _ZN7rocprim17ROCPRIM_400000_NS6detail31init_lookback_scan_state_kernelINS1_19lookback_scan_stateIjLb1ELb1EEENS1_16block_id_wrapperIjLb1EEEEEvT_jT0_jPNS7_10value_typeE.private_seg_size, 0
	.set _ZN7rocprim17ROCPRIM_400000_NS6detail31init_lookback_scan_state_kernelINS1_19lookback_scan_stateIjLb1ELb1EEENS1_16block_id_wrapperIjLb1EEEEEvT_jT0_jPNS7_10value_typeE.uses_vcc, 1
	.set _ZN7rocprim17ROCPRIM_400000_NS6detail31init_lookback_scan_state_kernelINS1_19lookback_scan_stateIjLb1ELb1EEENS1_16block_id_wrapperIjLb1EEEEEvT_jT0_jPNS7_10value_typeE.uses_flat_scratch, 0
	.set _ZN7rocprim17ROCPRIM_400000_NS6detail31init_lookback_scan_state_kernelINS1_19lookback_scan_stateIjLb1ELb1EEENS1_16block_id_wrapperIjLb1EEEEEvT_jT0_jPNS7_10value_typeE.has_dyn_sized_stack, 0
	.set _ZN7rocprim17ROCPRIM_400000_NS6detail31init_lookback_scan_state_kernelINS1_19lookback_scan_stateIjLb1ELb1EEENS1_16block_id_wrapperIjLb1EEEEEvT_jT0_jPNS7_10value_typeE.has_recursion, 0
	.set _ZN7rocprim17ROCPRIM_400000_NS6detail31init_lookback_scan_state_kernelINS1_19lookback_scan_stateIjLb1ELb1EEENS1_16block_id_wrapperIjLb1EEEEEvT_jT0_jPNS7_10value_typeE.has_indirect_call, 0
	.section	.AMDGPU.csdata,"",@progbits
; Kernel info:
; codeLenInByte = 396
; TotalNumSgprs: 20
; NumVgprs: 6
; NumAgprs: 0
; TotalNumVgprs: 6
; ScratchSize: 0
; MemoryBound: 0
; FloatMode: 240
; IeeeMode: 1
; LDSByteSize: 0 bytes/workgroup (compile time only)
; SGPRBlocks: 2
; VGPRBlocks: 0
; NumSGPRsForWavesPerEU: 20
; NumVGPRsForWavesPerEU: 6
; AccumOffset: 8
; Occupancy: 8
; WaveLimiterHint : 0
; COMPUTE_PGM_RSRC2:SCRATCH_EN: 0
; COMPUTE_PGM_RSRC2:USER_SGPR: 2
; COMPUTE_PGM_RSRC2:TRAP_HANDLER: 0
; COMPUTE_PGM_RSRC2:TGID_X_EN: 1
; COMPUTE_PGM_RSRC2:TGID_Y_EN: 0
; COMPUTE_PGM_RSRC2:TGID_Z_EN: 0
; COMPUTE_PGM_RSRC2:TIDIG_COMP_CNT: 0
; COMPUTE_PGM_RSRC3_GFX90A:ACCUM_OFFSET: 1
; COMPUTE_PGM_RSRC3_GFX90A:TG_SPLIT: 0
	.section	.text._ZN7rocprim17ROCPRIM_400000_NS6detail17trampoline_kernelINS0_14default_configENS1_25partition_config_selectorILNS1_17partition_subalgoE8EiNS0_10empty_typeEbEEZZNS1_14partition_implILS5_8ELb0ES3_jPKiPS6_PKS6_NS0_5tupleIJPiS6_EEENSE_IJSB_SB_EEENS0_18inequality_wrapperIN6hipcub16HIPCUB_304000_NS8EqualityEEEPlJS6_EEE10hipError_tPvRmT3_T4_T5_T6_T7_T9_mT8_P12ihipStream_tbDpT10_ENKUlT_T0_E_clISt17integral_constantIbLb1EES17_EEDaS12_S13_EUlS12_E_NS1_11comp_targetILNS1_3genE0ELNS1_11target_archE4294967295ELNS1_3gpuE0ELNS1_3repE0EEENS1_30default_config_static_selectorELNS0_4arch9wavefront6targetE1EEEvT1_,"axG",@progbits,_ZN7rocprim17ROCPRIM_400000_NS6detail17trampoline_kernelINS0_14default_configENS1_25partition_config_selectorILNS1_17partition_subalgoE8EiNS0_10empty_typeEbEEZZNS1_14partition_implILS5_8ELb0ES3_jPKiPS6_PKS6_NS0_5tupleIJPiS6_EEENSE_IJSB_SB_EEENS0_18inequality_wrapperIN6hipcub16HIPCUB_304000_NS8EqualityEEEPlJS6_EEE10hipError_tPvRmT3_T4_T5_T6_T7_T9_mT8_P12ihipStream_tbDpT10_ENKUlT_T0_E_clISt17integral_constantIbLb1EES17_EEDaS12_S13_EUlS12_E_NS1_11comp_targetILNS1_3genE0ELNS1_11target_archE4294967295ELNS1_3gpuE0ELNS1_3repE0EEENS1_30default_config_static_selectorELNS0_4arch9wavefront6targetE1EEEvT1_,comdat
	.protected	_ZN7rocprim17ROCPRIM_400000_NS6detail17trampoline_kernelINS0_14default_configENS1_25partition_config_selectorILNS1_17partition_subalgoE8EiNS0_10empty_typeEbEEZZNS1_14partition_implILS5_8ELb0ES3_jPKiPS6_PKS6_NS0_5tupleIJPiS6_EEENSE_IJSB_SB_EEENS0_18inequality_wrapperIN6hipcub16HIPCUB_304000_NS8EqualityEEEPlJS6_EEE10hipError_tPvRmT3_T4_T5_T6_T7_T9_mT8_P12ihipStream_tbDpT10_ENKUlT_T0_E_clISt17integral_constantIbLb1EES17_EEDaS12_S13_EUlS12_E_NS1_11comp_targetILNS1_3genE0ELNS1_11target_archE4294967295ELNS1_3gpuE0ELNS1_3repE0EEENS1_30default_config_static_selectorELNS0_4arch9wavefront6targetE1EEEvT1_ ; -- Begin function _ZN7rocprim17ROCPRIM_400000_NS6detail17trampoline_kernelINS0_14default_configENS1_25partition_config_selectorILNS1_17partition_subalgoE8EiNS0_10empty_typeEbEEZZNS1_14partition_implILS5_8ELb0ES3_jPKiPS6_PKS6_NS0_5tupleIJPiS6_EEENSE_IJSB_SB_EEENS0_18inequality_wrapperIN6hipcub16HIPCUB_304000_NS8EqualityEEEPlJS6_EEE10hipError_tPvRmT3_T4_T5_T6_T7_T9_mT8_P12ihipStream_tbDpT10_ENKUlT_T0_E_clISt17integral_constantIbLb1EES17_EEDaS12_S13_EUlS12_E_NS1_11comp_targetILNS1_3genE0ELNS1_11target_archE4294967295ELNS1_3gpuE0ELNS1_3repE0EEENS1_30default_config_static_selectorELNS0_4arch9wavefront6targetE1EEEvT1_
	.globl	_ZN7rocprim17ROCPRIM_400000_NS6detail17trampoline_kernelINS0_14default_configENS1_25partition_config_selectorILNS1_17partition_subalgoE8EiNS0_10empty_typeEbEEZZNS1_14partition_implILS5_8ELb0ES3_jPKiPS6_PKS6_NS0_5tupleIJPiS6_EEENSE_IJSB_SB_EEENS0_18inequality_wrapperIN6hipcub16HIPCUB_304000_NS8EqualityEEEPlJS6_EEE10hipError_tPvRmT3_T4_T5_T6_T7_T9_mT8_P12ihipStream_tbDpT10_ENKUlT_T0_E_clISt17integral_constantIbLb1EES17_EEDaS12_S13_EUlS12_E_NS1_11comp_targetILNS1_3genE0ELNS1_11target_archE4294967295ELNS1_3gpuE0ELNS1_3repE0EEENS1_30default_config_static_selectorELNS0_4arch9wavefront6targetE1EEEvT1_
	.p2align	8
	.type	_ZN7rocprim17ROCPRIM_400000_NS6detail17trampoline_kernelINS0_14default_configENS1_25partition_config_selectorILNS1_17partition_subalgoE8EiNS0_10empty_typeEbEEZZNS1_14partition_implILS5_8ELb0ES3_jPKiPS6_PKS6_NS0_5tupleIJPiS6_EEENSE_IJSB_SB_EEENS0_18inequality_wrapperIN6hipcub16HIPCUB_304000_NS8EqualityEEEPlJS6_EEE10hipError_tPvRmT3_T4_T5_T6_T7_T9_mT8_P12ihipStream_tbDpT10_ENKUlT_T0_E_clISt17integral_constantIbLb1EES17_EEDaS12_S13_EUlS12_E_NS1_11comp_targetILNS1_3genE0ELNS1_11target_archE4294967295ELNS1_3gpuE0ELNS1_3repE0EEENS1_30default_config_static_selectorELNS0_4arch9wavefront6targetE1EEEvT1_,@function
_ZN7rocprim17ROCPRIM_400000_NS6detail17trampoline_kernelINS0_14default_configENS1_25partition_config_selectorILNS1_17partition_subalgoE8EiNS0_10empty_typeEbEEZZNS1_14partition_implILS5_8ELb0ES3_jPKiPS6_PKS6_NS0_5tupleIJPiS6_EEENSE_IJSB_SB_EEENS0_18inequality_wrapperIN6hipcub16HIPCUB_304000_NS8EqualityEEEPlJS6_EEE10hipError_tPvRmT3_T4_T5_T6_T7_T9_mT8_P12ihipStream_tbDpT10_ENKUlT_T0_E_clISt17integral_constantIbLb1EES17_EEDaS12_S13_EUlS12_E_NS1_11comp_targetILNS1_3genE0ELNS1_11target_archE4294967295ELNS1_3gpuE0ELNS1_3repE0EEENS1_30default_config_static_selectorELNS0_4arch9wavefront6targetE1EEEvT1_: ; @_ZN7rocprim17ROCPRIM_400000_NS6detail17trampoline_kernelINS0_14default_configENS1_25partition_config_selectorILNS1_17partition_subalgoE8EiNS0_10empty_typeEbEEZZNS1_14partition_implILS5_8ELb0ES3_jPKiPS6_PKS6_NS0_5tupleIJPiS6_EEENSE_IJSB_SB_EEENS0_18inequality_wrapperIN6hipcub16HIPCUB_304000_NS8EqualityEEEPlJS6_EEE10hipError_tPvRmT3_T4_T5_T6_T7_T9_mT8_P12ihipStream_tbDpT10_ENKUlT_T0_E_clISt17integral_constantIbLb1EES17_EEDaS12_S13_EUlS12_E_NS1_11comp_targetILNS1_3genE0ELNS1_11target_archE4294967295ELNS1_3gpuE0ELNS1_3repE0EEENS1_30default_config_static_selectorELNS0_4arch9wavefront6targetE1EEEvT1_
; %bb.0:
	s_endpgm
	.section	.rodata,"a",@progbits
	.p2align	6, 0x0
	.amdhsa_kernel _ZN7rocprim17ROCPRIM_400000_NS6detail17trampoline_kernelINS0_14default_configENS1_25partition_config_selectorILNS1_17partition_subalgoE8EiNS0_10empty_typeEbEEZZNS1_14partition_implILS5_8ELb0ES3_jPKiPS6_PKS6_NS0_5tupleIJPiS6_EEENSE_IJSB_SB_EEENS0_18inequality_wrapperIN6hipcub16HIPCUB_304000_NS8EqualityEEEPlJS6_EEE10hipError_tPvRmT3_T4_T5_T6_T7_T9_mT8_P12ihipStream_tbDpT10_ENKUlT_T0_E_clISt17integral_constantIbLb1EES17_EEDaS12_S13_EUlS12_E_NS1_11comp_targetILNS1_3genE0ELNS1_11target_archE4294967295ELNS1_3gpuE0ELNS1_3repE0EEENS1_30default_config_static_selectorELNS0_4arch9wavefront6targetE1EEEvT1_
		.amdhsa_group_segment_fixed_size 0
		.amdhsa_private_segment_fixed_size 0
		.amdhsa_kernarg_size 128
		.amdhsa_user_sgpr_count 2
		.amdhsa_user_sgpr_dispatch_ptr 0
		.amdhsa_user_sgpr_queue_ptr 0
		.amdhsa_user_sgpr_kernarg_segment_ptr 1
		.amdhsa_user_sgpr_dispatch_id 0
		.amdhsa_user_sgpr_kernarg_preload_length 0
		.amdhsa_user_sgpr_kernarg_preload_offset 0
		.amdhsa_user_sgpr_private_segment_size 0
		.amdhsa_uses_dynamic_stack 0
		.amdhsa_enable_private_segment 0
		.amdhsa_system_sgpr_workgroup_id_x 1
		.amdhsa_system_sgpr_workgroup_id_y 0
		.amdhsa_system_sgpr_workgroup_id_z 0
		.amdhsa_system_sgpr_workgroup_info 0
		.amdhsa_system_vgpr_workitem_id 0
		.amdhsa_next_free_vgpr 1
		.amdhsa_next_free_sgpr 0
		.amdhsa_accum_offset 4
		.amdhsa_reserve_vcc 0
		.amdhsa_float_round_mode_32 0
		.amdhsa_float_round_mode_16_64 0
		.amdhsa_float_denorm_mode_32 3
		.amdhsa_float_denorm_mode_16_64 3
		.amdhsa_dx10_clamp 1
		.amdhsa_ieee_mode 1
		.amdhsa_fp16_overflow 0
		.amdhsa_tg_split 0
		.amdhsa_exception_fp_ieee_invalid_op 0
		.amdhsa_exception_fp_denorm_src 0
		.amdhsa_exception_fp_ieee_div_zero 0
		.amdhsa_exception_fp_ieee_overflow 0
		.amdhsa_exception_fp_ieee_underflow 0
		.amdhsa_exception_fp_ieee_inexact 0
		.amdhsa_exception_int_div_zero 0
	.end_amdhsa_kernel
	.section	.text._ZN7rocprim17ROCPRIM_400000_NS6detail17trampoline_kernelINS0_14default_configENS1_25partition_config_selectorILNS1_17partition_subalgoE8EiNS0_10empty_typeEbEEZZNS1_14partition_implILS5_8ELb0ES3_jPKiPS6_PKS6_NS0_5tupleIJPiS6_EEENSE_IJSB_SB_EEENS0_18inequality_wrapperIN6hipcub16HIPCUB_304000_NS8EqualityEEEPlJS6_EEE10hipError_tPvRmT3_T4_T5_T6_T7_T9_mT8_P12ihipStream_tbDpT10_ENKUlT_T0_E_clISt17integral_constantIbLb1EES17_EEDaS12_S13_EUlS12_E_NS1_11comp_targetILNS1_3genE0ELNS1_11target_archE4294967295ELNS1_3gpuE0ELNS1_3repE0EEENS1_30default_config_static_selectorELNS0_4arch9wavefront6targetE1EEEvT1_,"axG",@progbits,_ZN7rocprim17ROCPRIM_400000_NS6detail17trampoline_kernelINS0_14default_configENS1_25partition_config_selectorILNS1_17partition_subalgoE8EiNS0_10empty_typeEbEEZZNS1_14partition_implILS5_8ELb0ES3_jPKiPS6_PKS6_NS0_5tupleIJPiS6_EEENSE_IJSB_SB_EEENS0_18inequality_wrapperIN6hipcub16HIPCUB_304000_NS8EqualityEEEPlJS6_EEE10hipError_tPvRmT3_T4_T5_T6_T7_T9_mT8_P12ihipStream_tbDpT10_ENKUlT_T0_E_clISt17integral_constantIbLb1EES17_EEDaS12_S13_EUlS12_E_NS1_11comp_targetILNS1_3genE0ELNS1_11target_archE4294967295ELNS1_3gpuE0ELNS1_3repE0EEENS1_30default_config_static_selectorELNS0_4arch9wavefront6targetE1EEEvT1_,comdat
.Lfunc_end195:
	.size	_ZN7rocprim17ROCPRIM_400000_NS6detail17trampoline_kernelINS0_14default_configENS1_25partition_config_selectorILNS1_17partition_subalgoE8EiNS0_10empty_typeEbEEZZNS1_14partition_implILS5_8ELb0ES3_jPKiPS6_PKS6_NS0_5tupleIJPiS6_EEENSE_IJSB_SB_EEENS0_18inequality_wrapperIN6hipcub16HIPCUB_304000_NS8EqualityEEEPlJS6_EEE10hipError_tPvRmT3_T4_T5_T6_T7_T9_mT8_P12ihipStream_tbDpT10_ENKUlT_T0_E_clISt17integral_constantIbLb1EES17_EEDaS12_S13_EUlS12_E_NS1_11comp_targetILNS1_3genE0ELNS1_11target_archE4294967295ELNS1_3gpuE0ELNS1_3repE0EEENS1_30default_config_static_selectorELNS0_4arch9wavefront6targetE1EEEvT1_, .Lfunc_end195-_ZN7rocprim17ROCPRIM_400000_NS6detail17trampoline_kernelINS0_14default_configENS1_25partition_config_selectorILNS1_17partition_subalgoE8EiNS0_10empty_typeEbEEZZNS1_14partition_implILS5_8ELb0ES3_jPKiPS6_PKS6_NS0_5tupleIJPiS6_EEENSE_IJSB_SB_EEENS0_18inequality_wrapperIN6hipcub16HIPCUB_304000_NS8EqualityEEEPlJS6_EEE10hipError_tPvRmT3_T4_T5_T6_T7_T9_mT8_P12ihipStream_tbDpT10_ENKUlT_T0_E_clISt17integral_constantIbLb1EES17_EEDaS12_S13_EUlS12_E_NS1_11comp_targetILNS1_3genE0ELNS1_11target_archE4294967295ELNS1_3gpuE0ELNS1_3repE0EEENS1_30default_config_static_selectorELNS0_4arch9wavefront6targetE1EEEvT1_
                                        ; -- End function
	.set _ZN7rocprim17ROCPRIM_400000_NS6detail17trampoline_kernelINS0_14default_configENS1_25partition_config_selectorILNS1_17partition_subalgoE8EiNS0_10empty_typeEbEEZZNS1_14partition_implILS5_8ELb0ES3_jPKiPS6_PKS6_NS0_5tupleIJPiS6_EEENSE_IJSB_SB_EEENS0_18inequality_wrapperIN6hipcub16HIPCUB_304000_NS8EqualityEEEPlJS6_EEE10hipError_tPvRmT3_T4_T5_T6_T7_T9_mT8_P12ihipStream_tbDpT10_ENKUlT_T0_E_clISt17integral_constantIbLb1EES17_EEDaS12_S13_EUlS12_E_NS1_11comp_targetILNS1_3genE0ELNS1_11target_archE4294967295ELNS1_3gpuE0ELNS1_3repE0EEENS1_30default_config_static_selectorELNS0_4arch9wavefront6targetE1EEEvT1_.num_vgpr, 0
	.set _ZN7rocprim17ROCPRIM_400000_NS6detail17trampoline_kernelINS0_14default_configENS1_25partition_config_selectorILNS1_17partition_subalgoE8EiNS0_10empty_typeEbEEZZNS1_14partition_implILS5_8ELb0ES3_jPKiPS6_PKS6_NS0_5tupleIJPiS6_EEENSE_IJSB_SB_EEENS0_18inequality_wrapperIN6hipcub16HIPCUB_304000_NS8EqualityEEEPlJS6_EEE10hipError_tPvRmT3_T4_T5_T6_T7_T9_mT8_P12ihipStream_tbDpT10_ENKUlT_T0_E_clISt17integral_constantIbLb1EES17_EEDaS12_S13_EUlS12_E_NS1_11comp_targetILNS1_3genE0ELNS1_11target_archE4294967295ELNS1_3gpuE0ELNS1_3repE0EEENS1_30default_config_static_selectorELNS0_4arch9wavefront6targetE1EEEvT1_.num_agpr, 0
	.set _ZN7rocprim17ROCPRIM_400000_NS6detail17trampoline_kernelINS0_14default_configENS1_25partition_config_selectorILNS1_17partition_subalgoE8EiNS0_10empty_typeEbEEZZNS1_14partition_implILS5_8ELb0ES3_jPKiPS6_PKS6_NS0_5tupleIJPiS6_EEENSE_IJSB_SB_EEENS0_18inequality_wrapperIN6hipcub16HIPCUB_304000_NS8EqualityEEEPlJS6_EEE10hipError_tPvRmT3_T4_T5_T6_T7_T9_mT8_P12ihipStream_tbDpT10_ENKUlT_T0_E_clISt17integral_constantIbLb1EES17_EEDaS12_S13_EUlS12_E_NS1_11comp_targetILNS1_3genE0ELNS1_11target_archE4294967295ELNS1_3gpuE0ELNS1_3repE0EEENS1_30default_config_static_selectorELNS0_4arch9wavefront6targetE1EEEvT1_.numbered_sgpr, 0
	.set _ZN7rocprim17ROCPRIM_400000_NS6detail17trampoline_kernelINS0_14default_configENS1_25partition_config_selectorILNS1_17partition_subalgoE8EiNS0_10empty_typeEbEEZZNS1_14partition_implILS5_8ELb0ES3_jPKiPS6_PKS6_NS0_5tupleIJPiS6_EEENSE_IJSB_SB_EEENS0_18inequality_wrapperIN6hipcub16HIPCUB_304000_NS8EqualityEEEPlJS6_EEE10hipError_tPvRmT3_T4_T5_T6_T7_T9_mT8_P12ihipStream_tbDpT10_ENKUlT_T0_E_clISt17integral_constantIbLb1EES17_EEDaS12_S13_EUlS12_E_NS1_11comp_targetILNS1_3genE0ELNS1_11target_archE4294967295ELNS1_3gpuE0ELNS1_3repE0EEENS1_30default_config_static_selectorELNS0_4arch9wavefront6targetE1EEEvT1_.num_named_barrier, 0
	.set _ZN7rocprim17ROCPRIM_400000_NS6detail17trampoline_kernelINS0_14default_configENS1_25partition_config_selectorILNS1_17partition_subalgoE8EiNS0_10empty_typeEbEEZZNS1_14partition_implILS5_8ELb0ES3_jPKiPS6_PKS6_NS0_5tupleIJPiS6_EEENSE_IJSB_SB_EEENS0_18inequality_wrapperIN6hipcub16HIPCUB_304000_NS8EqualityEEEPlJS6_EEE10hipError_tPvRmT3_T4_T5_T6_T7_T9_mT8_P12ihipStream_tbDpT10_ENKUlT_T0_E_clISt17integral_constantIbLb1EES17_EEDaS12_S13_EUlS12_E_NS1_11comp_targetILNS1_3genE0ELNS1_11target_archE4294967295ELNS1_3gpuE0ELNS1_3repE0EEENS1_30default_config_static_selectorELNS0_4arch9wavefront6targetE1EEEvT1_.private_seg_size, 0
	.set _ZN7rocprim17ROCPRIM_400000_NS6detail17trampoline_kernelINS0_14default_configENS1_25partition_config_selectorILNS1_17partition_subalgoE8EiNS0_10empty_typeEbEEZZNS1_14partition_implILS5_8ELb0ES3_jPKiPS6_PKS6_NS0_5tupleIJPiS6_EEENSE_IJSB_SB_EEENS0_18inequality_wrapperIN6hipcub16HIPCUB_304000_NS8EqualityEEEPlJS6_EEE10hipError_tPvRmT3_T4_T5_T6_T7_T9_mT8_P12ihipStream_tbDpT10_ENKUlT_T0_E_clISt17integral_constantIbLb1EES17_EEDaS12_S13_EUlS12_E_NS1_11comp_targetILNS1_3genE0ELNS1_11target_archE4294967295ELNS1_3gpuE0ELNS1_3repE0EEENS1_30default_config_static_selectorELNS0_4arch9wavefront6targetE1EEEvT1_.uses_vcc, 0
	.set _ZN7rocprim17ROCPRIM_400000_NS6detail17trampoline_kernelINS0_14default_configENS1_25partition_config_selectorILNS1_17partition_subalgoE8EiNS0_10empty_typeEbEEZZNS1_14partition_implILS5_8ELb0ES3_jPKiPS6_PKS6_NS0_5tupleIJPiS6_EEENSE_IJSB_SB_EEENS0_18inequality_wrapperIN6hipcub16HIPCUB_304000_NS8EqualityEEEPlJS6_EEE10hipError_tPvRmT3_T4_T5_T6_T7_T9_mT8_P12ihipStream_tbDpT10_ENKUlT_T0_E_clISt17integral_constantIbLb1EES17_EEDaS12_S13_EUlS12_E_NS1_11comp_targetILNS1_3genE0ELNS1_11target_archE4294967295ELNS1_3gpuE0ELNS1_3repE0EEENS1_30default_config_static_selectorELNS0_4arch9wavefront6targetE1EEEvT1_.uses_flat_scratch, 0
	.set _ZN7rocprim17ROCPRIM_400000_NS6detail17trampoline_kernelINS0_14default_configENS1_25partition_config_selectorILNS1_17partition_subalgoE8EiNS0_10empty_typeEbEEZZNS1_14partition_implILS5_8ELb0ES3_jPKiPS6_PKS6_NS0_5tupleIJPiS6_EEENSE_IJSB_SB_EEENS0_18inequality_wrapperIN6hipcub16HIPCUB_304000_NS8EqualityEEEPlJS6_EEE10hipError_tPvRmT3_T4_T5_T6_T7_T9_mT8_P12ihipStream_tbDpT10_ENKUlT_T0_E_clISt17integral_constantIbLb1EES17_EEDaS12_S13_EUlS12_E_NS1_11comp_targetILNS1_3genE0ELNS1_11target_archE4294967295ELNS1_3gpuE0ELNS1_3repE0EEENS1_30default_config_static_selectorELNS0_4arch9wavefront6targetE1EEEvT1_.has_dyn_sized_stack, 0
	.set _ZN7rocprim17ROCPRIM_400000_NS6detail17trampoline_kernelINS0_14default_configENS1_25partition_config_selectorILNS1_17partition_subalgoE8EiNS0_10empty_typeEbEEZZNS1_14partition_implILS5_8ELb0ES3_jPKiPS6_PKS6_NS0_5tupleIJPiS6_EEENSE_IJSB_SB_EEENS0_18inequality_wrapperIN6hipcub16HIPCUB_304000_NS8EqualityEEEPlJS6_EEE10hipError_tPvRmT3_T4_T5_T6_T7_T9_mT8_P12ihipStream_tbDpT10_ENKUlT_T0_E_clISt17integral_constantIbLb1EES17_EEDaS12_S13_EUlS12_E_NS1_11comp_targetILNS1_3genE0ELNS1_11target_archE4294967295ELNS1_3gpuE0ELNS1_3repE0EEENS1_30default_config_static_selectorELNS0_4arch9wavefront6targetE1EEEvT1_.has_recursion, 0
	.set _ZN7rocprim17ROCPRIM_400000_NS6detail17trampoline_kernelINS0_14default_configENS1_25partition_config_selectorILNS1_17partition_subalgoE8EiNS0_10empty_typeEbEEZZNS1_14partition_implILS5_8ELb0ES3_jPKiPS6_PKS6_NS0_5tupleIJPiS6_EEENSE_IJSB_SB_EEENS0_18inequality_wrapperIN6hipcub16HIPCUB_304000_NS8EqualityEEEPlJS6_EEE10hipError_tPvRmT3_T4_T5_T6_T7_T9_mT8_P12ihipStream_tbDpT10_ENKUlT_T0_E_clISt17integral_constantIbLb1EES17_EEDaS12_S13_EUlS12_E_NS1_11comp_targetILNS1_3genE0ELNS1_11target_archE4294967295ELNS1_3gpuE0ELNS1_3repE0EEENS1_30default_config_static_selectorELNS0_4arch9wavefront6targetE1EEEvT1_.has_indirect_call, 0
	.section	.AMDGPU.csdata,"",@progbits
; Kernel info:
; codeLenInByte = 4
; TotalNumSgprs: 6
; NumVgprs: 0
; NumAgprs: 0
; TotalNumVgprs: 0
; ScratchSize: 0
; MemoryBound: 0
; FloatMode: 240
; IeeeMode: 1
; LDSByteSize: 0 bytes/workgroup (compile time only)
; SGPRBlocks: 0
; VGPRBlocks: 0
; NumSGPRsForWavesPerEU: 6
; NumVGPRsForWavesPerEU: 1
; AccumOffset: 4
; Occupancy: 8
; WaveLimiterHint : 0
; COMPUTE_PGM_RSRC2:SCRATCH_EN: 0
; COMPUTE_PGM_RSRC2:USER_SGPR: 2
; COMPUTE_PGM_RSRC2:TRAP_HANDLER: 0
; COMPUTE_PGM_RSRC2:TGID_X_EN: 1
; COMPUTE_PGM_RSRC2:TGID_Y_EN: 0
; COMPUTE_PGM_RSRC2:TGID_Z_EN: 0
; COMPUTE_PGM_RSRC2:TIDIG_COMP_CNT: 0
; COMPUTE_PGM_RSRC3_GFX90A:ACCUM_OFFSET: 0
; COMPUTE_PGM_RSRC3_GFX90A:TG_SPLIT: 0
	.section	.text._ZN7rocprim17ROCPRIM_400000_NS6detail17trampoline_kernelINS0_14default_configENS1_25partition_config_selectorILNS1_17partition_subalgoE8EiNS0_10empty_typeEbEEZZNS1_14partition_implILS5_8ELb0ES3_jPKiPS6_PKS6_NS0_5tupleIJPiS6_EEENSE_IJSB_SB_EEENS0_18inequality_wrapperIN6hipcub16HIPCUB_304000_NS8EqualityEEEPlJS6_EEE10hipError_tPvRmT3_T4_T5_T6_T7_T9_mT8_P12ihipStream_tbDpT10_ENKUlT_T0_E_clISt17integral_constantIbLb1EES17_EEDaS12_S13_EUlS12_E_NS1_11comp_targetILNS1_3genE5ELNS1_11target_archE942ELNS1_3gpuE9ELNS1_3repE0EEENS1_30default_config_static_selectorELNS0_4arch9wavefront6targetE1EEEvT1_,"axG",@progbits,_ZN7rocprim17ROCPRIM_400000_NS6detail17trampoline_kernelINS0_14default_configENS1_25partition_config_selectorILNS1_17partition_subalgoE8EiNS0_10empty_typeEbEEZZNS1_14partition_implILS5_8ELb0ES3_jPKiPS6_PKS6_NS0_5tupleIJPiS6_EEENSE_IJSB_SB_EEENS0_18inequality_wrapperIN6hipcub16HIPCUB_304000_NS8EqualityEEEPlJS6_EEE10hipError_tPvRmT3_T4_T5_T6_T7_T9_mT8_P12ihipStream_tbDpT10_ENKUlT_T0_E_clISt17integral_constantIbLb1EES17_EEDaS12_S13_EUlS12_E_NS1_11comp_targetILNS1_3genE5ELNS1_11target_archE942ELNS1_3gpuE9ELNS1_3repE0EEENS1_30default_config_static_selectorELNS0_4arch9wavefront6targetE1EEEvT1_,comdat
	.protected	_ZN7rocprim17ROCPRIM_400000_NS6detail17trampoline_kernelINS0_14default_configENS1_25partition_config_selectorILNS1_17partition_subalgoE8EiNS0_10empty_typeEbEEZZNS1_14partition_implILS5_8ELb0ES3_jPKiPS6_PKS6_NS0_5tupleIJPiS6_EEENSE_IJSB_SB_EEENS0_18inequality_wrapperIN6hipcub16HIPCUB_304000_NS8EqualityEEEPlJS6_EEE10hipError_tPvRmT3_T4_T5_T6_T7_T9_mT8_P12ihipStream_tbDpT10_ENKUlT_T0_E_clISt17integral_constantIbLb1EES17_EEDaS12_S13_EUlS12_E_NS1_11comp_targetILNS1_3genE5ELNS1_11target_archE942ELNS1_3gpuE9ELNS1_3repE0EEENS1_30default_config_static_selectorELNS0_4arch9wavefront6targetE1EEEvT1_ ; -- Begin function _ZN7rocprim17ROCPRIM_400000_NS6detail17trampoline_kernelINS0_14default_configENS1_25partition_config_selectorILNS1_17partition_subalgoE8EiNS0_10empty_typeEbEEZZNS1_14partition_implILS5_8ELb0ES3_jPKiPS6_PKS6_NS0_5tupleIJPiS6_EEENSE_IJSB_SB_EEENS0_18inequality_wrapperIN6hipcub16HIPCUB_304000_NS8EqualityEEEPlJS6_EEE10hipError_tPvRmT3_T4_T5_T6_T7_T9_mT8_P12ihipStream_tbDpT10_ENKUlT_T0_E_clISt17integral_constantIbLb1EES17_EEDaS12_S13_EUlS12_E_NS1_11comp_targetILNS1_3genE5ELNS1_11target_archE942ELNS1_3gpuE9ELNS1_3repE0EEENS1_30default_config_static_selectorELNS0_4arch9wavefront6targetE1EEEvT1_
	.globl	_ZN7rocprim17ROCPRIM_400000_NS6detail17trampoline_kernelINS0_14default_configENS1_25partition_config_selectorILNS1_17partition_subalgoE8EiNS0_10empty_typeEbEEZZNS1_14partition_implILS5_8ELb0ES3_jPKiPS6_PKS6_NS0_5tupleIJPiS6_EEENSE_IJSB_SB_EEENS0_18inequality_wrapperIN6hipcub16HIPCUB_304000_NS8EqualityEEEPlJS6_EEE10hipError_tPvRmT3_T4_T5_T6_T7_T9_mT8_P12ihipStream_tbDpT10_ENKUlT_T0_E_clISt17integral_constantIbLb1EES17_EEDaS12_S13_EUlS12_E_NS1_11comp_targetILNS1_3genE5ELNS1_11target_archE942ELNS1_3gpuE9ELNS1_3repE0EEENS1_30default_config_static_selectorELNS0_4arch9wavefront6targetE1EEEvT1_
	.p2align	8
	.type	_ZN7rocprim17ROCPRIM_400000_NS6detail17trampoline_kernelINS0_14default_configENS1_25partition_config_selectorILNS1_17partition_subalgoE8EiNS0_10empty_typeEbEEZZNS1_14partition_implILS5_8ELb0ES3_jPKiPS6_PKS6_NS0_5tupleIJPiS6_EEENSE_IJSB_SB_EEENS0_18inequality_wrapperIN6hipcub16HIPCUB_304000_NS8EqualityEEEPlJS6_EEE10hipError_tPvRmT3_T4_T5_T6_T7_T9_mT8_P12ihipStream_tbDpT10_ENKUlT_T0_E_clISt17integral_constantIbLb1EES17_EEDaS12_S13_EUlS12_E_NS1_11comp_targetILNS1_3genE5ELNS1_11target_archE942ELNS1_3gpuE9ELNS1_3repE0EEENS1_30default_config_static_selectorELNS0_4arch9wavefront6targetE1EEEvT1_,@function
_ZN7rocprim17ROCPRIM_400000_NS6detail17trampoline_kernelINS0_14default_configENS1_25partition_config_selectorILNS1_17partition_subalgoE8EiNS0_10empty_typeEbEEZZNS1_14partition_implILS5_8ELb0ES3_jPKiPS6_PKS6_NS0_5tupleIJPiS6_EEENSE_IJSB_SB_EEENS0_18inequality_wrapperIN6hipcub16HIPCUB_304000_NS8EqualityEEEPlJS6_EEE10hipError_tPvRmT3_T4_T5_T6_T7_T9_mT8_P12ihipStream_tbDpT10_ENKUlT_T0_E_clISt17integral_constantIbLb1EES17_EEDaS12_S13_EUlS12_E_NS1_11comp_targetILNS1_3genE5ELNS1_11target_archE942ELNS1_3gpuE9ELNS1_3repE0EEENS1_30default_config_static_selectorELNS0_4arch9wavefront6targetE1EEEvT1_: ; @_ZN7rocprim17ROCPRIM_400000_NS6detail17trampoline_kernelINS0_14default_configENS1_25partition_config_selectorILNS1_17partition_subalgoE8EiNS0_10empty_typeEbEEZZNS1_14partition_implILS5_8ELb0ES3_jPKiPS6_PKS6_NS0_5tupleIJPiS6_EEENSE_IJSB_SB_EEENS0_18inequality_wrapperIN6hipcub16HIPCUB_304000_NS8EqualityEEEPlJS6_EEE10hipError_tPvRmT3_T4_T5_T6_T7_T9_mT8_P12ihipStream_tbDpT10_ENKUlT_T0_E_clISt17integral_constantIbLb1EES17_EEDaS12_S13_EUlS12_E_NS1_11comp_targetILNS1_3genE5ELNS1_11target_archE942ELNS1_3gpuE9ELNS1_3repE0EEENS1_30default_config_static_selectorELNS0_4arch9wavefront6targetE1EEEvT1_
; %bb.0:
	.section	.rodata,"a",@progbits
	.p2align	6, 0x0
	.amdhsa_kernel _ZN7rocprim17ROCPRIM_400000_NS6detail17trampoline_kernelINS0_14default_configENS1_25partition_config_selectorILNS1_17partition_subalgoE8EiNS0_10empty_typeEbEEZZNS1_14partition_implILS5_8ELb0ES3_jPKiPS6_PKS6_NS0_5tupleIJPiS6_EEENSE_IJSB_SB_EEENS0_18inequality_wrapperIN6hipcub16HIPCUB_304000_NS8EqualityEEEPlJS6_EEE10hipError_tPvRmT3_T4_T5_T6_T7_T9_mT8_P12ihipStream_tbDpT10_ENKUlT_T0_E_clISt17integral_constantIbLb1EES17_EEDaS12_S13_EUlS12_E_NS1_11comp_targetILNS1_3genE5ELNS1_11target_archE942ELNS1_3gpuE9ELNS1_3repE0EEENS1_30default_config_static_selectorELNS0_4arch9wavefront6targetE1EEEvT1_
		.amdhsa_group_segment_fixed_size 0
		.amdhsa_private_segment_fixed_size 0
		.amdhsa_kernarg_size 128
		.amdhsa_user_sgpr_count 2
		.amdhsa_user_sgpr_dispatch_ptr 0
		.amdhsa_user_sgpr_queue_ptr 0
		.amdhsa_user_sgpr_kernarg_segment_ptr 1
		.amdhsa_user_sgpr_dispatch_id 0
		.amdhsa_user_sgpr_kernarg_preload_length 0
		.amdhsa_user_sgpr_kernarg_preload_offset 0
		.amdhsa_user_sgpr_private_segment_size 0
		.amdhsa_uses_dynamic_stack 0
		.amdhsa_enable_private_segment 0
		.amdhsa_system_sgpr_workgroup_id_x 1
		.amdhsa_system_sgpr_workgroup_id_y 0
		.amdhsa_system_sgpr_workgroup_id_z 0
		.amdhsa_system_sgpr_workgroup_info 0
		.amdhsa_system_vgpr_workitem_id 0
		.amdhsa_next_free_vgpr 1
		.amdhsa_next_free_sgpr 0
		.amdhsa_accum_offset 4
		.amdhsa_reserve_vcc 0
		.amdhsa_float_round_mode_32 0
		.amdhsa_float_round_mode_16_64 0
		.amdhsa_float_denorm_mode_32 3
		.amdhsa_float_denorm_mode_16_64 3
		.amdhsa_dx10_clamp 1
		.amdhsa_ieee_mode 1
		.amdhsa_fp16_overflow 0
		.amdhsa_tg_split 0
		.amdhsa_exception_fp_ieee_invalid_op 0
		.amdhsa_exception_fp_denorm_src 0
		.amdhsa_exception_fp_ieee_div_zero 0
		.amdhsa_exception_fp_ieee_overflow 0
		.amdhsa_exception_fp_ieee_underflow 0
		.amdhsa_exception_fp_ieee_inexact 0
		.amdhsa_exception_int_div_zero 0
	.end_amdhsa_kernel
	.section	.text._ZN7rocprim17ROCPRIM_400000_NS6detail17trampoline_kernelINS0_14default_configENS1_25partition_config_selectorILNS1_17partition_subalgoE8EiNS0_10empty_typeEbEEZZNS1_14partition_implILS5_8ELb0ES3_jPKiPS6_PKS6_NS0_5tupleIJPiS6_EEENSE_IJSB_SB_EEENS0_18inequality_wrapperIN6hipcub16HIPCUB_304000_NS8EqualityEEEPlJS6_EEE10hipError_tPvRmT3_T4_T5_T6_T7_T9_mT8_P12ihipStream_tbDpT10_ENKUlT_T0_E_clISt17integral_constantIbLb1EES17_EEDaS12_S13_EUlS12_E_NS1_11comp_targetILNS1_3genE5ELNS1_11target_archE942ELNS1_3gpuE9ELNS1_3repE0EEENS1_30default_config_static_selectorELNS0_4arch9wavefront6targetE1EEEvT1_,"axG",@progbits,_ZN7rocprim17ROCPRIM_400000_NS6detail17trampoline_kernelINS0_14default_configENS1_25partition_config_selectorILNS1_17partition_subalgoE8EiNS0_10empty_typeEbEEZZNS1_14partition_implILS5_8ELb0ES3_jPKiPS6_PKS6_NS0_5tupleIJPiS6_EEENSE_IJSB_SB_EEENS0_18inequality_wrapperIN6hipcub16HIPCUB_304000_NS8EqualityEEEPlJS6_EEE10hipError_tPvRmT3_T4_T5_T6_T7_T9_mT8_P12ihipStream_tbDpT10_ENKUlT_T0_E_clISt17integral_constantIbLb1EES17_EEDaS12_S13_EUlS12_E_NS1_11comp_targetILNS1_3genE5ELNS1_11target_archE942ELNS1_3gpuE9ELNS1_3repE0EEENS1_30default_config_static_selectorELNS0_4arch9wavefront6targetE1EEEvT1_,comdat
.Lfunc_end196:
	.size	_ZN7rocprim17ROCPRIM_400000_NS6detail17trampoline_kernelINS0_14default_configENS1_25partition_config_selectorILNS1_17partition_subalgoE8EiNS0_10empty_typeEbEEZZNS1_14partition_implILS5_8ELb0ES3_jPKiPS6_PKS6_NS0_5tupleIJPiS6_EEENSE_IJSB_SB_EEENS0_18inequality_wrapperIN6hipcub16HIPCUB_304000_NS8EqualityEEEPlJS6_EEE10hipError_tPvRmT3_T4_T5_T6_T7_T9_mT8_P12ihipStream_tbDpT10_ENKUlT_T0_E_clISt17integral_constantIbLb1EES17_EEDaS12_S13_EUlS12_E_NS1_11comp_targetILNS1_3genE5ELNS1_11target_archE942ELNS1_3gpuE9ELNS1_3repE0EEENS1_30default_config_static_selectorELNS0_4arch9wavefront6targetE1EEEvT1_, .Lfunc_end196-_ZN7rocprim17ROCPRIM_400000_NS6detail17trampoline_kernelINS0_14default_configENS1_25partition_config_selectorILNS1_17partition_subalgoE8EiNS0_10empty_typeEbEEZZNS1_14partition_implILS5_8ELb0ES3_jPKiPS6_PKS6_NS0_5tupleIJPiS6_EEENSE_IJSB_SB_EEENS0_18inequality_wrapperIN6hipcub16HIPCUB_304000_NS8EqualityEEEPlJS6_EEE10hipError_tPvRmT3_T4_T5_T6_T7_T9_mT8_P12ihipStream_tbDpT10_ENKUlT_T0_E_clISt17integral_constantIbLb1EES17_EEDaS12_S13_EUlS12_E_NS1_11comp_targetILNS1_3genE5ELNS1_11target_archE942ELNS1_3gpuE9ELNS1_3repE0EEENS1_30default_config_static_selectorELNS0_4arch9wavefront6targetE1EEEvT1_
                                        ; -- End function
	.set _ZN7rocprim17ROCPRIM_400000_NS6detail17trampoline_kernelINS0_14default_configENS1_25partition_config_selectorILNS1_17partition_subalgoE8EiNS0_10empty_typeEbEEZZNS1_14partition_implILS5_8ELb0ES3_jPKiPS6_PKS6_NS0_5tupleIJPiS6_EEENSE_IJSB_SB_EEENS0_18inequality_wrapperIN6hipcub16HIPCUB_304000_NS8EqualityEEEPlJS6_EEE10hipError_tPvRmT3_T4_T5_T6_T7_T9_mT8_P12ihipStream_tbDpT10_ENKUlT_T0_E_clISt17integral_constantIbLb1EES17_EEDaS12_S13_EUlS12_E_NS1_11comp_targetILNS1_3genE5ELNS1_11target_archE942ELNS1_3gpuE9ELNS1_3repE0EEENS1_30default_config_static_selectorELNS0_4arch9wavefront6targetE1EEEvT1_.num_vgpr, 0
	.set _ZN7rocprim17ROCPRIM_400000_NS6detail17trampoline_kernelINS0_14default_configENS1_25partition_config_selectorILNS1_17partition_subalgoE8EiNS0_10empty_typeEbEEZZNS1_14partition_implILS5_8ELb0ES3_jPKiPS6_PKS6_NS0_5tupleIJPiS6_EEENSE_IJSB_SB_EEENS0_18inequality_wrapperIN6hipcub16HIPCUB_304000_NS8EqualityEEEPlJS6_EEE10hipError_tPvRmT3_T4_T5_T6_T7_T9_mT8_P12ihipStream_tbDpT10_ENKUlT_T0_E_clISt17integral_constantIbLb1EES17_EEDaS12_S13_EUlS12_E_NS1_11comp_targetILNS1_3genE5ELNS1_11target_archE942ELNS1_3gpuE9ELNS1_3repE0EEENS1_30default_config_static_selectorELNS0_4arch9wavefront6targetE1EEEvT1_.num_agpr, 0
	.set _ZN7rocprim17ROCPRIM_400000_NS6detail17trampoline_kernelINS0_14default_configENS1_25partition_config_selectorILNS1_17partition_subalgoE8EiNS0_10empty_typeEbEEZZNS1_14partition_implILS5_8ELb0ES3_jPKiPS6_PKS6_NS0_5tupleIJPiS6_EEENSE_IJSB_SB_EEENS0_18inequality_wrapperIN6hipcub16HIPCUB_304000_NS8EqualityEEEPlJS6_EEE10hipError_tPvRmT3_T4_T5_T6_T7_T9_mT8_P12ihipStream_tbDpT10_ENKUlT_T0_E_clISt17integral_constantIbLb1EES17_EEDaS12_S13_EUlS12_E_NS1_11comp_targetILNS1_3genE5ELNS1_11target_archE942ELNS1_3gpuE9ELNS1_3repE0EEENS1_30default_config_static_selectorELNS0_4arch9wavefront6targetE1EEEvT1_.numbered_sgpr, 0
	.set _ZN7rocprim17ROCPRIM_400000_NS6detail17trampoline_kernelINS0_14default_configENS1_25partition_config_selectorILNS1_17partition_subalgoE8EiNS0_10empty_typeEbEEZZNS1_14partition_implILS5_8ELb0ES3_jPKiPS6_PKS6_NS0_5tupleIJPiS6_EEENSE_IJSB_SB_EEENS0_18inequality_wrapperIN6hipcub16HIPCUB_304000_NS8EqualityEEEPlJS6_EEE10hipError_tPvRmT3_T4_T5_T6_T7_T9_mT8_P12ihipStream_tbDpT10_ENKUlT_T0_E_clISt17integral_constantIbLb1EES17_EEDaS12_S13_EUlS12_E_NS1_11comp_targetILNS1_3genE5ELNS1_11target_archE942ELNS1_3gpuE9ELNS1_3repE0EEENS1_30default_config_static_selectorELNS0_4arch9wavefront6targetE1EEEvT1_.num_named_barrier, 0
	.set _ZN7rocprim17ROCPRIM_400000_NS6detail17trampoline_kernelINS0_14default_configENS1_25partition_config_selectorILNS1_17partition_subalgoE8EiNS0_10empty_typeEbEEZZNS1_14partition_implILS5_8ELb0ES3_jPKiPS6_PKS6_NS0_5tupleIJPiS6_EEENSE_IJSB_SB_EEENS0_18inequality_wrapperIN6hipcub16HIPCUB_304000_NS8EqualityEEEPlJS6_EEE10hipError_tPvRmT3_T4_T5_T6_T7_T9_mT8_P12ihipStream_tbDpT10_ENKUlT_T0_E_clISt17integral_constantIbLb1EES17_EEDaS12_S13_EUlS12_E_NS1_11comp_targetILNS1_3genE5ELNS1_11target_archE942ELNS1_3gpuE9ELNS1_3repE0EEENS1_30default_config_static_selectorELNS0_4arch9wavefront6targetE1EEEvT1_.private_seg_size, 0
	.set _ZN7rocprim17ROCPRIM_400000_NS6detail17trampoline_kernelINS0_14default_configENS1_25partition_config_selectorILNS1_17partition_subalgoE8EiNS0_10empty_typeEbEEZZNS1_14partition_implILS5_8ELb0ES3_jPKiPS6_PKS6_NS0_5tupleIJPiS6_EEENSE_IJSB_SB_EEENS0_18inequality_wrapperIN6hipcub16HIPCUB_304000_NS8EqualityEEEPlJS6_EEE10hipError_tPvRmT3_T4_T5_T6_T7_T9_mT8_P12ihipStream_tbDpT10_ENKUlT_T0_E_clISt17integral_constantIbLb1EES17_EEDaS12_S13_EUlS12_E_NS1_11comp_targetILNS1_3genE5ELNS1_11target_archE942ELNS1_3gpuE9ELNS1_3repE0EEENS1_30default_config_static_selectorELNS0_4arch9wavefront6targetE1EEEvT1_.uses_vcc, 0
	.set _ZN7rocprim17ROCPRIM_400000_NS6detail17trampoline_kernelINS0_14default_configENS1_25partition_config_selectorILNS1_17partition_subalgoE8EiNS0_10empty_typeEbEEZZNS1_14partition_implILS5_8ELb0ES3_jPKiPS6_PKS6_NS0_5tupleIJPiS6_EEENSE_IJSB_SB_EEENS0_18inequality_wrapperIN6hipcub16HIPCUB_304000_NS8EqualityEEEPlJS6_EEE10hipError_tPvRmT3_T4_T5_T6_T7_T9_mT8_P12ihipStream_tbDpT10_ENKUlT_T0_E_clISt17integral_constantIbLb1EES17_EEDaS12_S13_EUlS12_E_NS1_11comp_targetILNS1_3genE5ELNS1_11target_archE942ELNS1_3gpuE9ELNS1_3repE0EEENS1_30default_config_static_selectorELNS0_4arch9wavefront6targetE1EEEvT1_.uses_flat_scratch, 0
	.set _ZN7rocprim17ROCPRIM_400000_NS6detail17trampoline_kernelINS0_14default_configENS1_25partition_config_selectorILNS1_17partition_subalgoE8EiNS0_10empty_typeEbEEZZNS1_14partition_implILS5_8ELb0ES3_jPKiPS6_PKS6_NS0_5tupleIJPiS6_EEENSE_IJSB_SB_EEENS0_18inequality_wrapperIN6hipcub16HIPCUB_304000_NS8EqualityEEEPlJS6_EEE10hipError_tPvRmT3_T4_T5_T6_T7_T9_mT8_P12ihipStream_tbDpT10_ENKUlT_T0_E_clISt17integral_constantIbLb1EES17_EEDaS12_S13_EUlS12_E_NS1_11comp_targetILNS1_3genE5ELNS1_11target_archE942ELNS1_3gpuE9ELNS1_3repE0EEENS1_30default_config_static_selectorELNS0_4arch9wavefront6targetE1EEEvT1_.has_dyn_sized_stack, 0
	.set _ZN7rocprim17ROCPRIM_400000_NS6detail17trampoline_kernelINS0_14default_configENS1_25partition_config_selectorILNS1_17partition_subalgoE8EiNS0_10empty_typeEbEEZZNS1_14partition_implILS5_8ELb0ES3_jPKiPS6_PKS6_NS0_5tupleIJPiS6_EEENSE_IJSB_SB_EEENS0_18inequality_wrapperIN6hipcub16HIPCUB_304000_NS8EqualityEEEPlJS6_EEE10hipError_tPvRmT3_T4_T5_T6_T7_T9_mT8_P12ihipStream_tbDpT10_ENKUlT_T0_E_clISt17integral_constantIbLb1EES17_EEDaS12_S13_EUlS12_E_NS1_11comp_targetILNS1_3genE5ELNS1_11target_archE942ELNS1_3gpuE9ELNS1_3repE0EEENS1_30default_config_static_selectorELNS0_4arch9wavefront6targetE1EEEvT1_.has_recursion, 0
	.set _ZN7rocprim17ROCPRIM_400000_NS6detail17trampoline_kernelINS0_14default_configENS1_25partition_config_selectorILNS1_17partition_subalgoE8EiNS0_10empty_typeEbEEZZNS1_14partition_implILS5_8ELb0ES3_jPKiPS6_PKS6_NS0_5tupleIJPiS6_EEENSE_IJSB_SB_EEENS0_18inequality_wrapperIN6hipcub16HIPCUB_304000_NS8EqualityEEEPlJS6_EEE10hipError_tPvRmT3_T4_T5_T6_T7_T9_mT8_P12ihipStream_tbDpT10_ENKUlT_T0_E_clISt17integral_constantIbLb1EES17_EEDaS12_S13_EUlS12_E_NS1_11comp_targetILNS1_3genE5ELNS1_11target_archE942ELNS1_3gpuE9ELNS1_3repE0EEENS1_30default_config_static_selectorELNS0_4arch9wavefront6targetE1EEEvT1_.has_indirect_call, 0
	.section	.AMDGPU.csdata,"",@progbits
; Kernel info:
; codeLenInByte = 0
; TotalNumSgprs: 6
; NumVgprs: 0
; NumAgprs: 0
; TotalNumVgprs: 0
; ScratchSize: 0
; MemoryBound: 0
; FloatMode: 240
; IeeeMode: 1
; LDSByteSize: 0 bytes/workgroup (compile time only)
; SGPRBlocks: 0
; VGPRBlocks: 0
; NumSGPRsForWavesPerEU: 6
; NumVGPRsForWavesPerEU: 1
; AccumOffset: 4
; Occupancy: 8
; WaveLimiterHint : 0
; COMPUTE_PGM_RSRC2:SCRATCH_EN: 0
; COMPUTE_PGM_RSRC2:USER_SGPR: 2
; COMPUTE_PGM_RSRC2:TRAP_HANDLER: 0
; COMPUTE_PGM_RSRC2:TGID_X_EN: 1
; COMPUTE_PGM_RSRC2:TGID_Y_EN: 0
; COMPUTE_PGM_RSRC2:TGID_Z_EN: 0
; COMPUTE_PGM_RSRC2:TIDIG_COMP_CNT: 0
; COMPUTE_PGM_RSRC3_GFX90A:ACCUM_OFFSET: 0
; COMPUTE_PGM_RSRC3_GFX90A:TG_SPLIT: 0
	.section	.text._ZN7rocprim17ROCPRIM_400000_NS6detail17trampoline_kernelINS0_14default_configENS1_25partition_config_selectorILNS1_17partition_subalgoE8EiNS0_10empty_typeEbEEZZNS1_14partition_implILS5_8ELb0ES3_jPKiPS6_PKS6_NS0_5tupleIJPiS6_EEENSE_IJSB_SB_EEENS0_18inequality_wrapperIN6hipcub16HIPCUB_304000_NS8EqualityEEEPlJS6_EEE10hipError_tPvRmT3_T4_T5_T6_T7_T9_mT8_P12ihipStream_tbDpT10_ENKUlT_T0_E_clISt17integral_constantIbLb1EES17_EEDaS12_S13_EUlS12_E_NS1_11comp_targetILNS1_3genE4ELNS1_11target_archE910ELNS1_3gpuE8ELNS1_3repE0EEENS1_30default_config_static_selectorELNS0_4arch9wavefront6targetE1EEEvT1_,"axG",@progbits,_ZN7rocprim17ROCPRIM_400000_NS6detail17trampoline_kernelINS0_14default_configENS1_25partition_config_selectorILNS1_17partition_subalgoE8EiNS0_10empty_typeEbEEZZNS1_14partition_implILS5_8ELb0ES3_jPKiPS6_PKS6_NS0_5tupleIJPiS6_EEENSE_IJSB_SB_EEENS0_18inequality_wrapperIN6hipcub16HIPCUB_304000_NS8EqualityEEEPlJS6_EEE10hipError_tPvRmT3_T4_T5_T6_T7_T9_mT8_P12ihipStream_tbDpT10_ENKUlT_T0_E_clISt17integral_constantIbLb1EES17_EEDaS12_S13_EUlS12_E_NS1_11comp_targetILNS1_3genE4ELNS1_11target_archE910ELNS1_3gpuE8ELNS1_3repE0EEENS1_30default_config_static_selectorELNS0_4arch9wavefront6targetE1EEEvT1_,comdat
	.protected	_ZN7rocprim17ROCPRIM_400000_NS6detail17trampoline_kernelINS0_14default_configENS1_25partition_config_selectorILNS1_17partition_subalgoE8EiNS0_10empty_typeEbEEZZNS1_14partition_implILS5_8ELb0ES3_jPKiPS6_PKS6_NS0_5tupleIJPiS6_EEENSE_IJSB_SB_EEENS0_18inequality_wrapperIN6hipcub16HIPCUB_304000_NS8EqualityEEEPlJS6_EEE10hipError_tPvRmT3_T4_T5_T6_T7_T9_mT8_P12ihipStream_tbDpT10_ENKUlT_T0_E_clISt17integral_constantIbLb1EES17_EEDaS12_S13_EUlS12_E_NS1_11comp_targetILNS1_3genE4ELNS1_11target_archE910ELNS1_3gpuE8ELNS1_3repE0EEENS1_30default_config_static_selectorELNS0_4arch9wavefront6targetE1EEEvT1_ ; -- Begin function _ZN7rocprim17ROCPRIM_400000_NS6detail17trampoline_kernelINS0_14default_configENS1_25partition_config_selectorILNS1_17partition_subalgoE8EiNS0_10empty_typeEbEEZZNS1_14partition_implILS5_8ELb0ES3_jPKiPS6_PKS6_NS0_5tupleIJPiS6_EEENSE_IJSB_SB_EEENS0_18inequality_wrapperIN6hipcub16HIPCUB_304000_NS8EqualityEEEPlJS6_EEE10hipError_tPvRmT3_T4_T5_T6_T7_T9_mT8_P12ihipStream_tbDpT10_ENKUlT_T0_E_clISt17integral_constantIbLb1EES17_EEDaS12_S13_EUlS12_E_NS1_11comp_targetILNS1_3genE4ELNS1_11target_archE910ELNS1_3gpuE8ELNS1_3repE0EEENS1_30default_config_static_selectorELNS0_4arch9wavefront6targetE1EEEvT1_
	.globl	_ZN7rocprim17ROCPRIM_400000_NS6detail17trampoline_kernelINS0_14default_configENS1_25partition_config_selectorILNS1_17partition_subalgoE8EiNS0_10empty_typeEbEEZZNS1_14partition_implILS5_8ELb0ES3_jPKiPS6_PKS6_NS0_5tupleIJPiS6_EEENSE_IJSB_SB_EEENS0_18inequality_wrapperIN6hipcub16HIPCUB_304000_NS8EqualityEEEPlJS6_EEE10hipError_tPvRmT3_T4_T5_T6_T7_T9_mT8_P12ihipStream_tbDpT10_ENKUlT_T0_E_clISt17integral_constantIbLb1EES17_EEDaS12_S13_EUlS12_E_NS1_11comp_targetILNS1_3genE4ELNS1_11target_archE910ELNS1_3gpuE8ELNS1_3repE0EEENS1_30default_config_static_selectorELNS0_4arch9wavefront6targetE1EEEvT1_
	.p2align	8
	.type	_ZN7rocprim17ROCPRIM_400000_NS6detail17trampoline_kernelINS0_14default_configENS1_25partition_config_selectorILNS1_17partition_subalgoE8EiNS0_10empty_typeEbEEZZNS1_14partition_implILS5_8ELb0ES3_jPKiPS6_PKS6_NS0_5tupleIJPiS6_EEENSE_IJSB_SB_EEENS0_18inequality_wrapperIN6hipcub16HIPCUB_304000_NS8EqualityEEEPlJS6_EEE10hipError_tPvRmT3_T4_T5_T6_T7_T9_mT8_P12ihipStream_tbDpT10_ENKUlT_T0_E_clISt17integral_constantIbLb1EES17_EEDaS12_S13_EUlS12_E_NS1_11comp_targetILNS1_3genE4ELNS1_11target_archE910ELNS1_3gpuE8ELNS1_3repE0EEENS1_30default_config_static_selectorELNS0_4arch9wavefront6targetE1EEEvT1_,@function
_ZN7rocprim17ROCPRIM_400000_NS6detail17trampoline_kernelINS0_14default_configENS1_25partition_config_selectorILNS1_17partition_subalgoE8EiNS0_10empty_typeEbEEZZNS1_14partition_implILS5_8ELb0ES3_jPKiPS6_PKS6_NS0_5tupleIJPiS6_EEENSE_IJSB_SB_EEENS0_18inequality_wrapperIN6hipcub16HIPCUB_304000_NS8EqualityEEEPlJS6_EEE10hipError_tPvRmT3_T4_T5_T6_T7_T9_mT8_P12ihipStream_tbDpT10_ENKUlT_T0_E_clISt17integral_constantIbLb1EES17_EEDaS12_S13_EUlS12_E_NS1_11comp_targetILNS1_3genE4ELNS1_11target_archE910ELNS1_3gpuE8ELNS1_3repE0EEENS1_30default_config_static_selectorELNS0_4arch9wavefront6targetE1EEEvT1_: ; @_ZN7rocprim17ROCPRIM_400000_NS6detail17trampoline_kernelINS0_14default_configENS1_25partition_config_selectorILNS1_17partition_subalgoE8EiNS0_10empty_typeEbEEZZNS1_14partition_implILS5_8ELb0ES3_jPKiPS6_PKS6_NS0_5tupleIJPiS6_EEENSE_IJSB_SB_EEENS0_18inequality_wrapperIN6hipcub16HIPCUB_304000_NS8EqualityEEEPlJS6_EEE10hipError_tPvRmT3_T4_T5_T6_T7_T9_mT8_P12ihipStream_tbDpT10_ENKUlT_T0_E_clISt17integral_constantIbLb1EES17_EEDaS12_S13_EUlS12_E_NS1_11comp_targetILNS1_3genE4ELNS1_11target_archE910ELNS1_3gpuE8ELNS1_3repE0EEENS1_30default_config_static_selectorELNS0_4arch9wavefront6targetE1EEEvT1_
; %bb.0:
	.section	.rodata,"a",@progbits
	.p2align	6, 0x0
	.amdhsa_kernel _ZN7rocprim17ROCPRIM_400000_NS6detail17trampoline_kernelINS0_14default_configENS1_25partition_config_selectorILNS1_17partition_subalgoE8EiNS0_10empty_typeEbEEZZNS1_14partition_implILS5_8ELb0ES3_jPKiPS6_PKS6_NS0_5tupleIJPiS6_EEENSE_IJSB_SB_EEENS0_18inequality_wrapperIN6hipcub16HIPCUB_304000_NS8EqualityEEEPlJS6_EEE10hipError_tPvRmT3_T4_T5_T6_T7_T9_mT8_P12ihipStream_tbDpT10_ENKUlT_T0_E_clISt17integral_constantIbLb1EES17_EEDaS12_S13_EUlS12_E_NS1_11comp_targetILNS1_3genE4ELNS1_11target_archE910ELNS1_3gpuE8ELNS1_3repE0EEENS1_30default_config_static_selectorELNS0_4arch9wavefront6targetE1EEEvT1_
		.amdhsa_group_segment_fixed_size 0
		.amdhsa_private_segment_fixed_size 0
		.amdhsa_kernarg_size 128
		.amdhsa_user_sgpr_count 2
		.amdhsa_user_sgpr_dispatch_ptr 0
		.amdhsa_user_sgpr_queue_ptr 0
		.amdhsa_user_sgpr_kernarg_segment_ptr 1
		.amdhsa_user_sgpr_dispatch_id 0
		.amdhsa_user_sgpr_kernarg_preload_length 0
		.amdhsa_user_sgpr_kernarg_preload_offset 0
		.amdhsa_user_sgpr_private_segment_size 0
		.amdhsa_uses_dynamic_stack 0
		.amdhsa_enable_private_segment 0
		.amdhsa_system_sgpr_workgroup_id_x 1
		.amdhsa_system_sgpr_workgroup_id_y 0
		.amdhsa_system_sgpr_workgroup_id_z 0
		.amdhsa_system_sgpr_workgroup_info 0
		.amdhsa_system_vgpr_workitem_id 0
		.amdhsa_next_free_vgpr 1
		.amdhsa_next_free_sgpr 0
		.amdhsa_accum_offset 4
		.amdhsa_reserve_vcc 0
		.amdhsa_float_round_mode_32 0
		.amdhsa_float_round_mode_16_64 0
		.amdhsa_float_denorm_mode_32 3
		.amdhsa_float_denorm_mode_16_64 3
		.amdhsa_dx10_clamp 1
		.amdhsa_ieee_mode 1
		.amdhsa_fp16_overflow 0
		.amdhsa_tg_split 0
		.amdhsa_exception_fp_ieee_invalid_op 0
		.amdhsa_exception_fp_denorm_src 0
		.amdhsa_exception_fp_ieee_div_zero 0
		.amdhsa_exception_fp_ieee_overflow 0
		.amdhsa_exception_fp_ieee_underflow 0
		.amdhsa_exception_fp_ieee_inexact 0
		.amdhsa_exception_int_div_zero 0
	.end_amdhsa_kernel
	.section	.text._ZN7rocprim17ROCPRIM_400000_NS6detail17trampoline_kernelINS0_14default_configENS1_25partition_config_selectorILNS1_17partition_subalgoE8EiNS0_10empty_typeEbEEZZNS1_14partition_implILS5_8ELb0ES3_jPKiPS6_PKS6_NS0_5tupleIJPiS6_EEENSE_IJSB_SB_EEENS0_18inequality_wrapperIN6hipcub16HIPCUB_304000_NS8EqualityEEEPlJS6_EEE10hipError_tPvRmT3_T4_T5_T6_T7_T9_mT8_P12ihipStream_tbDpT10_ENKUlT_T0_E_clISt17integral_constantIbLb1EES17_EEDaS12_S13_EUlS12_E_NS1_11comp_targetILNS1_3genE4ELNS1_11target_archE910ELNS1_3gpuE8ELNS1_3repE0EEENS1_30default_config_static_selectorELNS0_4arch9wavefront6targetE1EEEvT1_,"axG",@progbits,_ZN7rocprim17ROCPRIM_400000_NS6detail17trampoline_kernelINS0_14default_configENS1_25partition_config_selectorILNS1_17partition_subalgoE8EiNS0_10empty_typeEbEEZZNS1_14partition_implILS5_8ELb0ES3_jPKiPS6_PKS6_NS0_5tupleIJPiS6_EEENSE_IJSB_SB_EEENS0_18inequality_wrapperIN6hipcub16HIPCUB_304000_NS8EqualityEEEPlJS6_EEE10hipError_tPvRmT3_T4_T5_T6_T7_T9_mT8_P12ihipStream_tbDpT10_ENKUlT_T0_E_clISt17integral_constantIbLb1EES17_EEDaS12_S13_EUlS12_E_NS1_11comp_targetILNS1_3genE4ELNS1_11target_archE910ELNS1_3gpuE8ELNS1_3repE0EEENS1_30default_config_static_selectorELNS0_4arch9wavefront6targetE1EEEvT1_,comdat
.Lfunc_end197:
	.size	_ZN7rocprim17ROCPRIM_400000_NS6detail17trampoline_kernelINS0_14default_configENS1_25partition_config_selectorILNS1_17partition_subalgoE8EiNS0_10empty_typeEbEEZZNS1_14partition_implILS5_8ELb0ES3_jPKiPS6_PKS6_NS0_5tupleIJPiS6_EEENSE_IJSB_SB_EEENS0_18inequality_wrapperIN6hipcub16HIPCUB_304000_NS8EqualityEEEPlJS6_EEE10hipError_tPvRmT3_T4_T5_T6_T7_T9_mT8_P12ihipStream_tbDpT10_ENKUlT_T0_E_clISt17integral_constantIbLb1EES17_EEDaS12_S13_EUlS12_E_NS1_11comp_targetILNS1_3genE4ELNS1_11target_archE910ELNS1_3gpuE8ELNS1_3repE0EEENS1_30default_config_static_selectorELNS0_4arch9wavefront6targetE1EEEvT1_, .Lfunc_end197-_ZN7rocprim17ROCPRIM_400000_NS6detail17trampoline_kernelINS0_14default_configENS1_25partition_config_selectorILNS1_17partition_subalgoE8EiNS0_10empty_typeEbEEZZNS1_14partition_implILS5_8ELb0ES3_jPKiPS6_PKS6_NS0_5tupleIJPiS6_EEENSE_IJSB_SB_EEENS0_18inequality_wrapperIN6hipcub16HIPCUB_304000_NS8EqualityEEEPlJS6_EEE10hipError_tPvRmT3_T4_T5_T6_T7_T9_mT8_P12ihipStream_tbDpT10_ENKUlT_T0_E_clISt17integral_constantIbLb1EES17_EEDaS12_S13_EUlS12_E_NS1_11comp_targetILNS1_3genE4ELNS1_11target_archE910ELNS1_3gpuE8ELNS1_3repE0EEENS1_30default_config_static_selectorELNS0_4arch9wavefront6targetE1EEEvT1_
                                        ; -- End function
	.set _ZN7rocprim17ROCPRIM_400000_NS6detail17trampoline_kernelINS0_14default_configENS1_25partition_config_selectorILNS1_17partition_subalgoE8EiNS0_10empty_typeEbEEZZNS1_14partition_implILS5_8ELb0ES3_jPKiPS6_PKS6_NS0_5tupleIJPiS6_EEENSE_IJSB_SB_EEENS0_18inequality_wrapperIN6hipcub16HIPCUB_304000_NS8EqualityEEEPlJS6_EEE10hipError_tPvRmT3_T4_T5_T6_T7_T9_mT8_P12ihipStream_tbDpT10_ENKUlT_T0_E_clISt17integral_constantIbLb1EES17_EEDaS12_S13_EUlS12_E_NS1_11comp_targetILNS1_3genE4ELNS1_11target_archE910ELNS1_3gpuE8ELNS1_3repE0EEENS1_30default_config_static_selectorELNS0_4arch9wavefront6targetE1EEEvT1_.num_vgpr, 0
	.set _ZN7rocprim17ROCPRIM_400000_NS6detail17trampoline_kernelINS0_14default_configENS1_25partition_config_selectorILNS1_17partition_subalgoE8EiNS0_10empty_typeEbEEZZNS1_14partition_implILS5_8ELb0ES3_jPKiPS6_PKS6_NS0_5tupleIJPiS6_EEENSE_IJSB_SB_EEENS0_18inequality_wrapperIN6hipcub16HIPCUB_304000_NS8EqualityEEEPlJS6_EEE10hipError_tPvRmT3_T4_T5_T6_T7_T9_mT8_P12ihipStream_tbDpT10_ENKUlT_T0_E_clISt17integral_constantIbLb1EES17_EEDaS12_S13_EUlS12_E_NS1_11comp_targetILNS1_3genE4ELNS1_11target_archE910ELNS1_3gpuE8ELNS1_3repE0EEENS1_30default_config_static_selectorELNS0_4arch9wavefront6targetE1EEEvT1_.num_agpr, 0
	.set _ZN7rocprim17ROCPRIM_400000_NS6detail17trampoline_kernelINS0_14default_configENS1_25partition_config_selectorILNS1_17partition_subalgoE8EiNS0_10empty_typeEbEEZZNS1_14partition_implILS5_8ELb0ES3_jPKiPS6_PKS6_NS0_5tupleIJPiS6_EEENSE_IJSB_SB_EEENS0_18inequality_wrapperIN6hipcub16HIPCUB_304000_NS8EqualityEEEPlJS6_EEE10hipError_tPvRmT3_T4_T5_T6_T7_T9_mT8_P12ihipStream_tbDpT10_ENKUlT_T0_E_clISt17integral_constantIbLb1EES17_EEDaS12_S13_EUlS12_E_NS1_11comp_targetILNS1_3genE4ELNS1_11target_archE910ELNS1_3gpuE8ELNS1_3repE0EEENS1_30default_config_static_selectorELNS0_4arch9wavefront6targetE1EEEvT1_.numbered_sgpr, 0
	.set _ZN7rocprim17ROCPRIM_400000_NS6detail17trampoline_kernelINS0_14default_configENS1_25partition_config_selectorILNS1_17partition_subalgoE8EiNS0_10empty_typeEbEEZZNS1_14partition_implILS5_8ELb0ES3_jPKiPS6_PKS6_NS0_5tupleIJPiS6_EEENSE_IJSB_SB_EEENS0_18inequality_wrapperIN6hipcub16HIPCUB_304000_NS8EqualityEEEPlJS6_EEE10hipError_tPvRmT3_T4_T5_T6_T7_T9_mT8_P12ihipStream_tbDpT10_ENKUlT_T0_E_clISt17integral_constantIbLb1EES17_EEDaS12_S13_EUlS12_E_NS1_11comp_targetILNS1_3genE4ELNS1_11target_archE910ELNS1_3gpuE8ELNS1_3repE0EEENS1_30default_config_static_selectorELNS0_4arch9wavefront6targetE1EEEvT1_.num_named_barrier, 0
	.set _ZN7rocprim17ROCPRIM_400000_NS6detail17trampoline_kernelINS0_14default_configENS1_25partition_config_selectorILNS1_17partition_subalgoE8EiNS0_10empty_typeEbEEZZNS1_14partition_implILS5_8ELb0ES3_jPKiPS6_PKS6_NS0_5tupleIJPiS6_EEENSE_IJSB_SB_EEENS0_18inequality_wrapperIN6hipcub16HIPCUB_304000_NS8EqualityEEEPlJS6_EEE10hipError_tPvRmT3_T4_T5_T6_T7_T9_mT8_P12ihipStream_tbDpT10_ENKUlT_T0_E_clISt17integral_constantIbLb1EES17_EEDaS12_S13_EUlS12_E_NS1_11comp_targetILNS1_3genE4ELNS1_11target_archE910ELNS1_3gpuE8ELNS1_3repE0EEENS1_30default_config_static_selectorELNS0_4arch9wavefront6targetE1EEEvT1_.private_seg_size, 0
	.set _ZN7rocprim17ROCPRIM_400000_NS6detail17trampoline_kernelINS0_14default_configENS1_25partition_config_selectorILNS1_17partition_subalgoE8EiNS0_10empty_typeEbEEZZNS1_14partition_implILS5_8ELb0ES3_jPKiPS6_PKS6_NS0_5tupleIJPiS6_EEENSE_IJSB_SB_EEENS0_18inequality_wrapperIN6hipcub16HIPCUB_304000_NS8EqualityEEEPlJS6_EEE10hipError_tPvRmT3_T4_T5_T6_T7_T9_mT8_P12ihipStream_tbDpT10_ENKUlT_T0_E_clISt17integral_constantIbLb1EES17_EEDaS12_S13_EUlS12_E_NS1_11comp_targetILNS1_3genE4ELNS1_11target_archE910ELNS1_3gpuE8ELNS1_3repE0EEENS1_30default_config_static_selectorELNS0_4arch9wavefront6targetE1EEEvT1_.uses_vcc, 0
	.set _ZN7rocprim17ROCPRIM_400000_NS6detail17trampoline_kernelINS0_14default_configENS1_25partition_config_selectorILNS1_17partition_subalgoE8EiNS0_10empty_typeEbEEZZNS1_14partition_implILS5_8ELb0ES3_jPKiPS6_PKS6_NS0_5tupleIJPiS6_EEENSE_IJSB_SB_EEENS0_18inequality_wrapperIN6hipcub16HIPCUB_304000_NS8EqualityEEEPlJS6_EEE10hipError_tPvRmT3_T4_T5_T6_T7_T9_mT8_P12ihipStream_tbDpT10_ENKUlT_T0_E_clISt17integral_constantIbLb1EES17_EEDaS12_S13_EUlS12_E_NS1_11comp_targetILNS1_3genE4ELNS1_11target_archE910ELNS1_3gpuE8ELNS1_3repE0EEENS1_30default_config_static_selectorELNS0_4arch9wavefront6targetE1EEEvT1_.uses_flat_scratch, 0
	.set _ZN7rocprim17ROCPRIM_400000_NS6detail17trampoline_kernelINS0_14default_configENS1_25partition_config_selectorILNS1_17partition_subalgoE8EiNS0_10empty_typeEbEEZZNS1_14partition_implILS5_8ELb0ES3_jPKiPS6_PKS6_NS0_5tupleIJPiS6_EEENSE_IJSB_SB_EEENS0_18inequality_wrapperIN6hipcub16HIPCUB_304000_NS8EqualityEEEPlJS6_EEE10hipError_tPvRmT3_T4_T5_T6_T7_T9_mT8_P12ihipStream_tbDpT10_ENKUlT_T0_E_clISt17integral_constantIbLb1EES17_EEDaS12_S13_EUlS12_E_NS1_11comp_targetILNS1_3genE4ELNS1_11target_archE910ELNS1_3gpuE8ELNS1_3repE0EEENS1_30default_config_static_selectorELNS0_4arch9wavefront6targetE1EEEvT1_.has_dyn_sized_stack, 0
	.set _ZN7rocprim17ROCPRIM_400000_NS6detail17trampoline_kernelINS0_14default_configENS1_25partition_config_selectorILNS1_17partition_subalgoE8EiNS0_10empty_typeEbEEZZNS1_14partition_implILS5_8ELb0ES3_jPKiPS6_PKS6_NS0_5tupleIJPiS6_EEENSE_IJSB_SB_EEENS0_18inequality_wrapperIN6hipcub16HIPCUB_304000_NS8EqualityEEEPlJS6_EEE10hipError_tPvRmT3_T4_T5_T6_T7_T9_mT8_P12ihipStream_tbDpT10_ENKUlT_T0_E_clISt17integral_constantIbLb1EES17_EEDaS12_S13_EUlS12_E_NS1_11comp_targetILNS1_3genE4ELNS1_11target_archE910ELNS1_3gpuE8ELNS1_3repE0EEENS1_30default_config_static_selectorELNS0_4arch9wavefront6targetE1EEEvT1_.has_recursion, 0
	.set _ZN7rocprim17ROCPRIM_400000_NS6detail17trampoline_kernelINS0_14default_configENS1_25partition_config_selectorILNS1_17partition_subalgoE8EiNS0_10empty_typeEbEEZZNS1_14partition_implILS5_8ELb0ES3_jPKiPS6_PKS6_NS0_5tupleIJPiS6_EEENSE_IJSB_SB_EEENS0_18inequality_wrapperIN6hipcub16HIPCUB_304000_NS8EqualityEEEPlJS6_EEE10hipError_tPvRmT3_T4_T5_T6_T7_T9_mT8_P12ihipStream_tbDpT10_ENKUlT_T0_E_clISt17integral_constantIbLb1EES17_EEDaS12_S13_EUlS12_E_NS1_11comp_targetILNS1_3genE4ELNS1_11target_archE910ELNS1_3gpuE8ELNS1_3repE0EEENS1_30default_config_static_selectorELNS0_4arch9wavefront6targetE1EEEvT1_.has_indirect_call, 0
	.section	.AMDGPU.csdata,"",@progbits
; Kernel info:
; codeLenInByte = 0
; TotalNumSgprs: 6
; NumVgprs: 0
; NumAgprs: 0
; TotalNumVgprs: 0
; ScratchSize: 0
; MemoryBound: 0
; FloatMode: 240
; IeeeMode: 1
; LDSByteSize: 0 bytes/workgroup (compile time only)
; SGPRBlocks: 0
; VGPRBlocks: 0
; NumSGPRsForWavesPerEU: 6
; NumVGPRsForWavesPerEU: 1
; AccumOffset: 4
; Occupancy: 8
; WaveLimiterHint : 0
; COMPUTE_PGM_RSRC2:SCRATCH_EN: 0
; COMPUTE_PGM_RSRC2:USER_SGPR: 2
; COMPUTE_PGM_RSRC2:TRAP_HANDLER: 0
; COMPUTE_PGM_RSRC2:TGID_X_EN: 1
; COMPUTE_PGM_RSRC2:TGID_Y_EN: 0
; COMPUTE_PGM_RSRC2:TGID_Z_EN: 0
; COMPUTE_PGM_RSRC2:TIDIG_COMP_CNT: 0
; COMPUTE_PGM_RSRC3_GFX90A:ACCUM_OFFSET: 0
; COMPUTE_PGM_RSRC3_GFX90A:TG_SPLIT: 0
	.section	.text._ZN7rocprim17ROCPRIM_400000_NS6detail17trampoline_kernelINS0_14default_configENS1_25partition_config_selectorILNS1_17partition_subalgoE8EiNS0_10empty_typeEbEEZZNS1_14partition_implILS5_8ELb0ES3_jPKiPS6_PKS6_NS0_5tupleIJPiS6_EEENSE_IJSB_SB_EEENS0_18inequality_wrapperIN6hipcub16HIPCUB_304000_NS8EqualityEEEPlJS6_EEE10hipError_tPvRmT3_T4_T5_T6_T7_T9_mT8_P12ihipStream_tbDpT10_ENKUlT_T0_E_clISt17integral_constantIbLb1EES17_EEDaS12_S13_EUlS12_E_NS1_11comp_targetILNS1_3genE3ELNS1_11target_archE908ELNS1_3gpuE7ELNS1_3repE0EEENS1_30default_config_static_selectorELNS0_4arch9wavefront6targetE1EEEvT1_,"axG",@progbits,_ZN7rocprim17ROCPRIM_400000_NS6detail17trampoline_kernelINS0_14default_configENS1_25partition_config_selectorILNS1_17partition_subalgoE8EiNS0_10empty_typeEbEEZZNS1_14partition_implILS5_8ELb0ES3_jPKiPS6_PKS6_NS0_5tupleIJPiS6_EEENSE_IJSB_SB_EEENS0_18inequality_wrapperIN6hipcub16HIPCUB_304000_NS8EqualityEEEPlJS6_EEE10hipError_tPvRmT3_T4_T5_T6_T7_T9_mT8_P12ihipStream_tbDpT10_ENKUlT_T0_E_clISt17integral_constantIbLb1EES17_EEDaS12_S13_EUlS12_E_NS1_11comp_targetILNS1_3genE3ELNS1_11target_archE908ELNS1_3gpuE7ELNS1_3repE0EEENS1_30default_config_static_selectorELNS0_4arch9wavefront6targetE1EEEvT1_,comdat
	.protected	_ZN7rocprim17ROCPRIM_400000_NS6detail17trampoline_kernelINS0_14default_configENS1_25partition_config_selectorILNS1_17partition_subalgoE8EiNS0_10empty_typeEbEEZZNS1_14partition_implILS5_8ELb0ES3_jPKiPS6_PKS6_NS0_5tupleIJPiS6_EEENSE_IJSB_SB_EEENS0_18inequality_wrapperIN6hipcub16HIPCUB_304000_NS8EqualityEEEPlJS6_EEE10hipError_tPvRmT3_T4_T5_T6_T7_T9_mT8_P12ihipStream_tbDpT10_ENKUlT_T0_E_clISt17integral_constantIbLb1EES17_EEDaS12_S13_EUlS12_E_NS1_11comp_targetILNS1_3genE3ELNS1_11target_archE908ELNS1_3gpuE7ELNS1_3repE0EEENS1_30default_config_static_selectorELNS0_4arch9wavefront6targetE1EEEvT1_ ; -- Begin function _ZN7rocprim17ROCPRIM_400000_NS6detail17trampoline_kernelINS0_14default_configENS1_25partition_config_selectorILNS1_17partition_subalgoE8EiNS0_10empty_typeEbEEZZNS1_14partition_implILS5_8ELb0ES3_jPKiPS6_PKS6_NS0_5tupleIJPiS6_EEENSE_IJSB_SB_EEENS0_18inequality_wrapperIN6hipcub16HIPCUB_304000_NS8EqualityEEEPlJS6_EEE10hipError_tPvRmT3_T4_T5_T6_T7_T9_mT8_P12ihipStream_tbDpT10_ENKUlT_T0_E_clISt17integral_constantIbLb1EES17_EEDaS12_S13_EUlS12_E_NS1_11comp_targetILNS1_3genE3ELNS1_11target_archE908ELNS1_3gpuE7ELNS1_3repE0EEENS1_30default_config_static_selectorELNS0_4arch9wavefront6targetE1EEEvT1_
	.globl	_ZN7rocprim17ROCPRIM_400000_NS6detail17trampoline_kernelINS0_14default_configENS1_25partition_config_selectorILNS1_17partition_subalgoE8EiNS0_10empty_typeEbEEZZNS1_14partition_implILS5_8ELb0ES3_jPKiPS6_PKS6_NS0_5tupleIJPiS6_EEENSE_IJSB_SB_EEENS0_18inequality_wrapperIN6hipcub16HIPCUB_304000_NS8EqualityEEEPlJS6_EEE10hipError_tPvRmT3_T4_T5_T6_T7_T9_mT8_P12ihipStream_tbDpT10_ENKUlT_T0_E_clISt17integral_constantIbLb1EES17_EEDaS12_S13_EUlS12_E_NS1_11comp_targetILNS1_3genE3ELNS1_11target_archE908ELNS1_3gpuE7ELNS1_3repE0EEENS1_30default_config_static_selectorELNS0_4arch9wavefront6targetE1EEEvT1_
	.p2align	8
	.type	_ZN7rocprim17ROCPRIM_400000_NS6detail17trampoline_kernelINS0_14default_configENS1_25partition_config_selectorILNS1_17partition_subalgoE8EiNS0_10empty_typeEbEEZZNS1_14partition_implILS5_8ELb0ES3_jPKiPS6_PKS6_NS0_5tupleIJPiS6_EEENSE_IJSB_SB_EEENS0_18inequality_wrapperIN6hipcub16HIPCUB_304000_NS8EqualityEEEPlJS6_EEE10hipError_tPvRmT3_T4_T5_T6_T7_T9_mT8_P12ihipStream_tbDpT10_ENKUlT_T0_E_clISt17integral_constantIbLb1EES17_EEDaS12_S13_EUlS12_E_NS1_11comp_targetILNS1_3genE3ELNS1_11target_archE908ELNS1_3gpuE7ELNS1_3repE0EEENS1_30default_config_static_selectorELNS0_4arch9wavefront6targetE1EEEvT1_,@function
_ZN7rocprim17ROCPRIM_400000_NS6detail17trampoline_kernelINS0_14default_configENS1_25partition_config_selectorILNS1_17partition_subalgoE8EiNS0_10empty_typeEbEEZZNS1_14partition_implILS5_8ELb0ES3_jPKiPS6_PKS6_NS0_5tupleIJPiS6_EEENSE_IJSB_SB_EEENS0_18inequality_wrapperIN6hipcub16HIPCUB_304000_NS8EqualityEEEPlJS6_EEE10hipError_tPvRmT3_T4_T5_T6_T7_T9_mT8_P12ihipStream_tbDpT10_ENKUlT_T0_E_clISt17integral_constantIbLb1EES17_EEDaS12_S13_EUlS12_E_NS1_11comp_targetILNS1_3genE3ELNS1_11target_archE908ELNS1_3gpuE7ELNS1_3repE0EEENS1_30default_config_static_selectorELNS0_4arch9wavefront6targetE1EEEvT1_: ; @_ZN7rocprim17ROCPRIM_400000_NS6detail17trampoline_kernelINS0_14default_configENS1_25partition_config_selectorILNS1_17partition_subalgoE8EiNS0_10empty_typeEbEEZZNS1_14partition_implILS5_8ELb0ES3_jPKiPS6_PKS6_NS0_5tupleIJPiS6_EEENSE_IJSB_SB_EEENS0_18inequality_wrapperIN6hipcub16HIPCUB_304000_NS8EqualityEEEPlJS6_EEE10hipError_tPvRmT3_T4_T5_T6_T7_T9_mT8_P12ihipStream_tbDpT10_ENKUlT_T0_E_clISt17integral_constantIbLb1EES17_EEDaS12_S13_EUlS12_E_NS1_11comp_targetILNS1_3genE3ELNS1_11target_archE908ELNS1_3gpuE7ELNS1_3repE0EEENS1_30default_config_static_selectorELNS0_4arch9wavefront6targetE1EEEvT1_
; %bb.0:
	.section	.rodata,"a",@progbits
	.p2align	6, 0x0
	.amdhsa_kernel _ZN7rocprim17ROCPRIM_400000_NS6detail17trampoline_kernelINS0_14default_configENS1_25partition_config_selectorILNS1_17partition_subalgoE8EiNS0_10empty_typeEbEEZZNS1_14partition_implILS5_8ELb0ES3_jPKiPS6_PKS6_NS0_5tupleIJPiS6_EEENSE_IJSB_SB_EEENS0_18inequality_wrapperIN6hipcub16HIPCUB_304000_NS8EqualityEEEPlJS6_EEE10hipError_tPvRmT3_T4_T5_T6_T7_T9_mT8_P12ihipStream_tbDpT10_ENKUlT_T0_E_clISt17integral_constantIbLb1EES17_EEDaS12_S13_EUlS12_E_NS1_11comp_targetILNS1_3genE3ELNS1_11target_archE908ELNS1_3gpuE7ELNS1_3repE0EEENS1_30default_config_static_selectorELNS0_4arch9wavefront6targetE1EEEvT1_
		.amdhsa_group_segment_fixed_size 0
		.amdhsa_private_segment_fixed_size 0
		.amdhsa_kernarg_size 128
		.amdhsa_user_sgpr_count 2
		.amdhsa_user_sgpr_dispatch_ptr 0
		.amdhsa_user_sgpr_queue_ptr 0
		.amdhsa_user_sgpr_kernarg_segment_ptr 1
		.amdhsa_user_sgpr_dispatch_id 0
		.amdhsa_user_sgpr_kernarg_preload_length 0
		.amdhsa_user_sgpr_kernarg_preload_offset 0
		.amdhsa_user_sgpr_private_segment_size 0
		.amdhsa_uses_dynamic_stack 0
		.amdhsa_enable_private_segment 0
		.amdhsa_system_sgpr_workgroup_id_x 1
		.amdhsa_system_sgpr_workgroup_id_y 0
		.amdhsa_system_sgpr_workgroup_id_z 0
		.amdhsa_system_sgpr_workgroup_info 0
		.amdhsa_system_vgpr_workitem_id 0
		.amdhsa_next_free_vgpr 1
		.amdhsa_next_free_sgpr 0
		.amdhsa_accum_offset 4
		.amdhsa_reserve_vcc 0
		.amdhsa_float_round_mode_32 0
		.amdhsa_float_round_mode_16_64 0
		.amdhsa_float_denorm_mode_32 3
		.amdhsa_float_denorm_mode_16_64 3
		.amdhsa_dx10_clamp 1
		.amdhsa_ieee_mode 1
		.amdhsa_fp16_overflow 0
		.amdhsa_tg_split 0
		.amdhsa_exception_fp_ieee_invalid_op 0
		.amdhsa_exception_fp_denorm_src 0
		.amdhsa_exception_fp_ieee_div_zero 0
		.amdhsa_exception_fp_ieee_overflow 0
		.amdhsa_exception_fp_ieee_underflow 0
		.amdhsa_exception_fp_ieee_inexact 0
		.amdhsa_exception_int_div_zero 0
	.end_amdhsa_kernel
	.section	.text._ZN7rocprim17ROCPRIM_400000_NS6detail17trampoline_kernelINS0_14default_configENS1_25partition_config_selectorILNS1_17partition_subalgoE8EiNS0_10empty_typeEbEEZZNS1_14partition_implILS5_8ELb0ES3_jPKiPS6_PKS6_NS0_5tupleIJPiS6_EEENSE_IJSB_SB_EEENS0_18inequality_wrapperIN6hipcub16HIPCUB_304000_NS8EqualityEEEPlJS6_EEE10hipError_tPvRmT3_T4_T5_T6_T7_T9_mT8_P12ihipStream_tbDpT10_ENKUlT_T0_E_clISt17integral_constantIbLb1EES17_EEDaS12_S13_EUlS12_E_NS1_11comp_targetILNS1_3genE3ELNS1_11target_archE908ELNS1_3gpuE7ELNS1_3repE0EEENS1_30default_config_static_selectorELNS0_4arch9wavefront6targetE1EEEvT1_,"axG",@progbits,_ZN7rocprim17ROCPRIM_400000_NS6detail17trampoline_kernelINS0_14default_configENS1_25partition_config_selectorILNS1_17partition_subalgoE8EiNS0_10empty_typeEbEEZZNS1_14partition_implILS5_8ELb0ES3_jPKiPS6_PKS6_NS0_5tupleIJPiS6_EEENSE_IJSB_SB_EEENS0_18inequality_wrapperIN6hipcub16HIPCUB_304000_NS8EqualityEEEPlJS6_EEE10hipError_tPvRmT3_T4_T5_T6_T7_T9_mT8_P12ihipStream_tbDpT10_ENKUlT_T0_E_clISt17integral_constantIbLb1EES17_EEDaS12_S13_EUlS12_E_NS1_11comp_targetILNS1_3genE3ELNS1_11target_archE908ELNS1_3gpuE7ELNS1_3repE0EEENS1_30default_config_static_selectorELNS0_4arch9wavefront6targetE1EEEvT1_,comdat
.Lfunc_end198:
	.size	_ZN7rocprim17ROCPRIM_400000_NS6detail17trampoline_kernelINS0_14default_configENS1_25partition_config_selectorILNS1_17partition_subalgoE8EiNS0_10empty_typeEbEEZZNS1_14partition_implILS5_8ELb0ES3_jPKiPS6_PKS6_NS0_5tupleIJPiS6_EEENSE_IJSB_SB_EEENS0_18inequality_wrapperIN6hipcub16HIPCUB_304000_NS8EqualityEEEPlJS6_EEE10hipError_tPvRmT3_T4_T5_T6_T7_T9_mT8_P12ihipStream_tbDpT10_ENKUlT_T0_E_clISt17integral_constantIbLb1EES17_EEDaS12_S13_EUlS12_E_NS1_11comp_targetILNS1_3genE3ELNS1_11target_archE908ELNS1_3gpuE7ELNS1_3repE0EEENS1_30default_config_static_selectorELNS0_4arch9wavefront6targetE1EEEvT1_, .Lfunc_end198-_ZN7rocprim17ROCPRIM_400000_NS6detail17trampoline_kernelINS0_14default_configENS1_25partition_config_selectorILNS1_17partition_subalgoE8EiNS0_10empty_typeEbEEZZNS1_14partition_implILS5_8ELb0ES3_jPKiPS6_PKS6_NS0_5tupleIJPiS6_EEENSE_IJSB_SB_EEENS0_18inequality_wrapperIN6hipcub16HIPCUB_304000_NS8EqualityEEEPlJS6_EEE10hipError_tPvRmT3_T4_T5_T6_T7_T9_mT8_P12ihipStream_tbDpT10_ENKUlT_T0_E_clISt17integral_constantIbLb1EES17_EEDaS12_S13_EUlS12_E_NS1_11comp_targetILNS1_3genE3ELNS1_11target_archE908ELNS1_3gpuE7ELNS1_3repE0EEENS1_30default_config_static_selectorELNS0_4arch9wavefront6targetE1EEEvT1_
                                        ; -- End function
	.set _ZN7rocprim17ROCPRIM_400000_NS6detail17trampoline_kernelINS0_14default_configENS1_25partition_config_selectorILNS1_17partition_subalgoE8EiNS0_10empty_typeEbEEZZNS1_14partition_implILS5_8ELb0ES3_jPKiPS6_PKS6_NS0_5tupleIJPiS6_EEENSE_IJSB_SB_EEENS0_18inequality_wrapperIN6hipcub16HIPCUB_304000_NS8EqualityEEEPlJS6_EEE10hipError_tPvRmT3_T4_T5_T6_T7_T9_mT8_P12ihipStream_tbDpT10_ENKUlT_T0_E_clISt17integral_constantIbLb1EES17_EEDaS12_S13_EUlS12_E_NS1_11comp_targetILNS1_3genE3ELNS1_11target_archE908ELNS1_3gpuE7ELNS1_3repE0EEENS1_30default_config_static_selectorELNS0_4arch9wavefront6targetE1EEEvT1_.num_vgpr, 0
	.set _ZN7rocprim17ROCPRIM_400000_NS6detail17trampoline_kernelINS0_14default_configENS1_25partition_config_selectorILNS1_17partition_subalgoE8EiNS0_10empty_typeEbEEZZNS1_14partition_implILS5_8ELb0ES3_jPKiPS6_PKS6_NS0_5tupleIJPiS6_EEENSE_IJSB_SB_EEENS0_18inequality_wrapperIN6hipcub16HIPCUB_304000_NS8EqualityEEEPlJS6_EEE10hipError_tPvRmT3_T4_T5_T6_T7_T9_mT8_P12ihipStream_tbDpT10_ENKUlT_T0_E_clISt17integral_constantIbLb1EES17_EEDaS12_S13_EUlS12_E_NS1_11comp_targetILNS1_3genE3ELNS1_11target_archE908ELNS1_3gpuE7ELNS1_3repE0EEENS1_30default_config_static_selectorELNS0_4arch9wavefront6targetE1EEEvT1_.num_agpr, 0
	.set _ZN7rocprim17ROCPRIM_400000_NS6detail17trampoline_kernelINS0_14default_configENS1_25partition_config_selectorILNS1_17partition_subalgoE8EiNS0_10empty_typeEbEEZZNS1_14partition_implILS5_8ELb0ES3_jPKiPS6_PKS6_NS0_5tupleIJPiS6_EEENSE_IJSB_SB_EEENS0_18inequality_wrapperIN6hipcub16HIPCUB_304000_NS8EqualityEEEPlJS6_EEE10hipError_tPvRmT3_T4_T5_T6_T7_T9_mT8_P12ihipStream_tbDpT10_ENKUlT_T0_E_clISt17integral_constantIbLb1EES17_EEDaS12_S13_EUlS12_E_NS1_11comp_targetILNS1_3genE3ELNS1_11target_archE908ELNS1_3gpuE7ELNS1_3repE0EEENS1_30default_config_static_selectorELNS0_4arch9wavefront6targetE1EEEvT1_.numbered_sgpr, 0
	.set _ZN7rocprim17ROCPRIM_400000_NS6detail17trampoline_kernelINS0_14default_configENS1_25partition_config_selectorILNS1_17partition_subalgoE8EiNS0_10empty_typeEbEEZZNS1_14partition_implILS5_8ELb0ES3_jPKiPS6_PKS6_NS0_5tupleIJPiS6_EEENSE_IJSB_SB_EEENS0_18inequality_wrapperIN6hipcub16HIPCUB_304000_NS8EqualityEEEPlJS6_EEE10hipError_tPvRmT3_T4_T5_T6_T7_T9_mT8_P12ihipStream_tbDpT10_ENKUlT_T0_E_clISt17integral_constantIbLb1EES17_EEDaS12_S13_EUlS12_E_NS1_11comp_targetILNS1_3genE3ELNS1_11target_archE908ELNS1_3gpuE7ELNS1_3repE0EEENS1_30default_config_static_selectorELNS0_4arch9wavefront6targetE1EEEvT1_.num_named_barrier, 0
	.set _ZN7rocprim17ROCPRIM_400000_NS6detail17trampoline_kernelINS0_14default_configENS1_25partition_config_selectorILNS1_17partition_subalgoE8EiNS0_10empty_typeEbEEZZNS1_14partition_implILS5_8ELb0ES3_jPKiPS6_PKS6_NS0_5tupleIJPiS6_EEENSE_IJSB_SB_EEENS0_18inequality_wrapperIN6hipcub16HIPCUB_304000_NS8EqualityEEEPlJS6_EEE10hipError_tPvRmT3_T4_T5_T6_T7_T9_mT8_P12ihipStream_tbDpT10_ENKUlT_T0_E_clISt17integral_constantIbLb1EES17_EEDaS12_S13_EUlS12_E_NS1_11comp_targetILNS1_3genE3ELNS1_11target_archE908ELNS1_3gpuE7ELNS1_3repE0EEENS1_30default_config_static_selectorELNS0_4arch9wavefront6targetE1EEEvT1_.private_seg_size, 0
	.set _ZN7rocprim17ROCPRIM_400000_NS6detail17trampoline_kernelINS0_14default_configENS1_25partition_config_selectorILNS1_17partition_subalgoE8EiNS0_10empty_typeEbEEZZNS1_14partition_implILS5_8ELb0ES3_jPKiPS6_PKS6_NS0_5tupleIJPiS6_EEENSE_IJSB_SB_EEENS0_18inequality_wrapperIN6hipcub16HIPCUB_304000_NS8EqualityEEEPlJS6_EEE10hipError_tPvRmT3_T4_T5_T6_T7_T9_mT8_P12ihipStream_tbDpT10_ENKUlT_T0_E_clISt17integral_constantIbLb1EES17_EEDaS12_S13_EUlS12_E_NS1_11comp_targetILNS1_3genE3ELNS1_11target_archE908ELNS1_3gpuE7ELNS1_3repE0EEENS1_30default_config_static_selectorELNS0_4arch9wavefront6targetE1EEEvT1_.uses_vcc, 0
	.set _ZN7rocprim17ROCPRIM_400000_NS6detail17trampoline_kernelINS0_14default_configENS1_25partition_config_selectorILNS1_17partition_subalgoE8EiNS0_10empty_typeEbEEZZNS1_14partition_implILS5_8ELb0ES3_jPKiPS6_PKS6_NS0_5tupleIJPiS6_EEENSE_IJSB_SB_EEENS0_18inequality_wrapperIN6hipcub16HIPCUB_304000_NS8EqualityEEEPlJS6_EEE10hipError_tPvRmT3_T4_T5_T6_T7_T9_mT8_P12ihipStream_tbDpT10_ENKUlT_T0_E_clISt17integral_constantIbLb1EES17_EEDaS12_S13_EUlS12_E_NS1_11comp_targetILNS1_3genE3ELNS1_11target_archE908ELNS1_3gpuE7ELNS1_3repE0EEENS1_30default_config_static_selectorELNS0_4arch9wavefront6targetE1EEEvT1_.uses_flat_scratch, 0
	.set _ZN7rocprim17ROCPRIM_400000_NS6detail17trampoline_kernelINS0_14default_configENS1_25partition_config_selectorILNS1_17partition_subalgoE8EiNS0_10empty_typeEbEEZZNS1_14partition_implILS5_8ELb0ES3_jPKiPS6_PKS6_NS0_5tupleIJPiS6_EEENSE_IJSB_SB_EEENS0_18inequality_wrapperIN6hipcub16HIPCUB_304000_NS8EqualityEEEPlJS6_EEE10hipError_tPvRmT3_T4_T5_T6_T7_T9_mT8_P12ihipStream_tbDpT10_ENKUlT_T0_E_clISt17integral_constantIbLb1EES17_EEDaS12_S13_EUlS12_E_NS1_11comp_targetILNS1_3genE3ELNS1_11target_archE908ELNS1_3gpuE7ELNS1_3repE0EEENS1_30default_config_static_selectorELNS0_4arch9wavefront6targetE1EEEvT1_.has_dyn_sized_stack, 0
	.set _ZN7rocprim17ROCPRIM_400000_NS6detail17trampoline_kernelINS0_14default_configENS1_25partition_config_selectorILNS1_17partition_subalgoE8EiNS0_10empty_typeEbEEZZNS1_14partition_implILS5_8ELb0ES3_jPKiPS6_PKS6_NS0_5tupleIJPiS6_EEENSE_IJSB_SB_EEENS0_18inequality_wrapperIN6hipcub16HIPCUB_304000_NS8EqualityEEEPlJS6_EEE10hipError_tPvRmT3_T4_T5_T6_T7_T9_mT8_P12ihipStream_tbDpT10_ENKUlT_T0_E_clISt17integral_constantIbLb1EES17_EEDaS12_S13_EUlS12_E_NS1_11comp_targetILNS1_3genE3ELNS1_11target_archE908ELNS1_3gpuE7ELNS1_3repE0EEENS1_30default_config_static_selectorELNS0_4arch9wavefront6targetE1EEEvT1_.has_recursion, 0
	.set _ZN7rocprim17ROCPRIM_400000_NS6detail17trampoline_kernelINS0_14default_configENS1_25partition_config_selectorILNS1_17partition_subalgoE8EiNS0_10empty_typeEbEEZZNS1_14partition_implILS5_8ELb0ES3_jPKiPS6_PKS6_NS0_5tupleIJPiS6_EEENSE_IJSB_SB_EEENS0_18inequality_wrapperIN6hipcub16HIPCUB_304000_NS8EqualityEEEPlJS6_EEE10hipError_tPvRmT3_T4_T5_T6_T7_T9_mT8_P12ihipStream_tbDpT10_ENKUlT_T0_E_clISt17integral_constantIbLb1EES17_EEDaS12_S13_EUlS12_E_NS1_11comp_targetILNS1_3genE3ELNS1_11target_archE908ELNS1_3gpuE7ELNS1_3repE0EEENS1_30default_config_static_selectorELNS0_4arch9wavefront6targetE1EEEvT1_.has_indirect_call, 0
	.section	.AMDGPU.csdata,"",@progbits
; Kernel info:
; codeLenInByte = 0
; TotalNumSgprs: 6
; NumVgprs: 0
; NumAgprs: 0
; TotalNumVgprs: 0
; ScratchSize: 0
; MemoryBound: 0
; FloatMode: 240
; IeeeMode: 1
; LDSByteSize: 0 bytes/workgroup (compile time only)
; SGPRBlocks: 0
; VGPRBlocks: 0
; NumSGPRsForWavesPerEU: 6
; NumVGPRsForWavesPerEU: 1
; AccumOffset: 4
; Occupancy: 8
; WaveLimiterHint : 0
; COMPUTE_PGM_RSRC2:SCRATCH_EN: 0
; COMPUTE_PGM_RSRC2:USER_SGPR: 2
; COMPUTE_PGM_RSRC2:TRAP_HANDLER: 0
; COMPUTE_PGM_RSRC2:TGID_X_EN: 1
; COMPUTE_PGM_RSRC2:TGID_Y_EN: 0
; COMPUTE_PGM_RSRC2:TGID_Z_EN: 0
; COMPUTE_PGM_RSRC2:TIDIG_COMP_CNT: 0
; COMPUTE_PGM_RSRC3_GFX90A:ACCUM_OFFSET: 0
; COMPUTE_PGM_RSRC3_GFX90A:TG_SPLIT: 0
	.section	.text._ZN7rocprim17ROCPRIM_400000_NS6detail17trampoline_kernelINS0_14default_configENS1_25partition_config_selectorILNS1_17partition_subalgoE8EiNS0_10empty_typeEbEEZZNS1_14partition_implILS5_8ELb0ES3_jPKiPS6_PKS6_NS0_5tupleIJPiS6_EEENSE_IJSB_SB_EEENS0_18inequality_wrapperIN6hipcub16HIPCUB_304000_NS8EqualityEEEPlJS6_EEE10hipError_tPvRmT3_T4_T5_T6_T7_T9_mT8_P12ihipStream_tbDpT10_ENKUlT_T0_E_clISt17integral_constantIbLb1EES17_EEDaS12_S13_EUlS12_E_NS1_11comp_targetILNS1_3genE2ELNS1_11target_archE906ELNS1_3gpuE6ELNS1_3repE0EEENS1_30default_config_static_selectorELNS0_4arch9wavefront6targetE1EEEvT1_,"axG",@progbits,_ZN7rocprim17ROCPRIM_400000_NS6detail17trampoline_kernelINS0_14default_configENS1_25partition_config_selectorILNS1_17partition_subalgoE8EiNS0_10empty_typeEbEEZZNS1_14partition_implILS5_8ELb0ES3_jPKiPS6_PKS6_NS0_5tupleIJPiS6_EEENSE_IJSB_SB_EEENS0_18inequality_wrapperIN6hipcub16HIPCUB_304000_NS8EqualityEEEPlJS6_EEE10hipError_tPvRmT3_T4_T5_T6_T7_T9_mT8_P12ihipStream_tbDpT10_ENKUlT_T0_E_clISt17integral_constantIbLb1EES17_EEDaS12_S13_EUlS12_E_NS1_11comp_targetILNS1_3genE2ELNS1_11target_archE906ELNS1_3gpuE6ELNS1_3repE0EEENS1_30default_config_static_selectorELNS0_4arch9wavefront6targetE1EEEvT1_,comdat
	.protected	_ZN7rocprim17ROCPRIM_400000_NS6detail17trampoline_kernelINS0_14default_configENS1_25partition_config_selectorILNS1_17partition_subalgoE8EiNS0_10empty_typeEbEEZZNS1_14partition_implILS5_8ELb0ES3_jPKiPS6_PKS6_NS0_5tupleIJPiS6_EEENSE_IJSB_SB_EEENS0_18inequality_wrapperIN6hipcub16HIPCUB_304000_NS8EqualityEEEPlJS6_EEE10hipError_tPvRmT3_T4_T5_T6_T7_T9_mT8_P12ihipStream_tbDpT10_ENKUlT_T0_E_clISt17integral_constantIbLb1EES17_EEDaS12_S13_EUlS12_E_NS1_11comp_targetILNS1_3genE2ELNS1_11target_archE906ELNS1_3gpuE6ELNS1_3repE0EEENS1_30default_config_static_selectorELNS0_4arch9wavefront6targetE1EEEvT1_ ; -- Begin function _ZN7rocprim17ROCPRIM_400000_NS6detail17trampoline_kernelINS0_14default_configENS1_25partition_config_selectorILNS1_17partition_subalgoE8EiNS0_10empty_typeEbEEZZNS1_14partition_implILS5_8ELb0ES3_jPKiPS6_PKS6_NS0_5tupleIJPiS6_EEENSE_IJSB_SB_EEENS0_18inequality_wrapperIN6hipcub16HIPCUB_304000_NS8EqualityEEEPlJS6_EEE10hipError_tPvRmT3_T4_T5_T6_T7_T9_mT8_P12ihipStream_tbDpT10_ENKUlT_T0_E_clISt17integral_constantIbLb1EES17_EEDaS12_S13_EUlS12_E_NS1_11comp_targetILNS1_3genE2ELNS1_11target_archE906ELNS1_3gpuE6ELNS1_3repE0EEENS1_30default_config_static_selectorELNS0_4arch9wavefront6targetE1EEEvT1_
	.globl	_ZN7rocprim17ROCPRIM_400000_NS6detail17trampoline_kernelINS0_14default_configENS1_25partition_config_selectorILNS1_17partition_subalgoE8EiNS0_10empty_typeEbEEZZNS1_14partition_implILS5_8ELb0ES3_jPKiPS6_PKS6_NS0_5tupleIJPiS6_EEENSE_IJSB_SB_EEENS0_18inequality_wrapperIN6hipcub16HIPCUB_304000_NS8EqualityEEEPlJS6_EEE10hipError_tPvRmT3_T4_T5_T6_T7_T9_mT8_P12ihipStream_tbDpT10_ENKUlT_T0_E_clISt17integral_constantIbLb1EES17_EEDaS12_S13_EUlS12_E_NS1_11comp_targetILNS1_3genE2ELNS1_11target_archE906ELNS1_3gpuE6ELNS1_3repE0EEENS1_30default_config_static_selectorELNS0_4arch9wavefront6targetE1EEEvT1_
	.p2align	8
	.type	_ZN7rocprim17ROCPRIM_400000_NS6detail17trampoline_kernelINS0_14default_configENS1_25partition_config_selectorILNS1_17partition_subalgoE8EiNS0_10empty_typeEbEEZZNS1_14partition_implILS5_8ELb0ES3_jPKiPS6_PKS6_NS0_5tupleIJPiS6_EEENSE_IJSB_SB_EEENS0_18inequality_wrapperIN6hipcub16HIPCUB_304000_NS8EqualityEEEPlJS6_EEE10hipError_tPvRmT3_T4_T5_T6_T7_T9_mT8_P12ihipStream_tbDpT10_ENKUlT_T0_E_clISt17integral_constantIbLb1EES17_EEDaS12_S13_EUlS12_E_NS1_11comp_targetILNS1_3genE2ELNS1_11target_archE906ELNS1_3gpuE6ELNS1_3repE0EEENS1_30default_config_static_selectorELNS0_4arch9wavefront6targetE1EEEvT1_,@function
_ZN7rocprim17ROCPRIM_400000_NS6detail17trampoline_kernelINS0_14default_configENS1_25partition_config_selectorILNS1_17partition_subalgoE8EiNS0_10empty_typeEbEEZZNS1_14partition_implILS5_8ELb0ES3_jPKiPS6_PKS6_NS0_5tupleIJPiS6_EEENSE_IJSB_SB_EEENS0_18inequality_wrapperIN6hipcub16HIPCUB_304000_NS8EqualityEEEPlJS6_EEE10hipError_tPvRmT3_T4_T5_T6_T7_T9_mT8_P12ihipStream_tbDpT10_ENKUlT_T0_E_clISt17integral_constantIbLb1EES17_EEDaS12_S13_EUlS12_E_NS1_11comp_targetILNS1_3genE2ELNS1_11target_archE906ELNS1_3gpuE6ELNS1_3repE0EEENS1_30default_config_static_selectorELNS0_4arch9wavefront6targetE1EEEvT1_: ; @_ZN7rocprim17ROCPRIM_400000_NS6detail17trampoline_kernelINS0_14default_configENS1_25partition_config_selectorILNS1_17partition_subalgoE8EiNS0_10empty_typeEbEEZZNS1_14partition_implILS5_8ELb0ES3_jPKiPS6_PKS6_NS0_5tupleIJPiS6_EEENSE_IJSB_SB_EEENS0_18inequality_wrapperIN6hipcub16HIPCUB_304000_NS8EqualityEEEPlJS6_EEE10hipError_tPvRmT3_T4_T5_T6_T7_T9_mT8_P12ihipStream_tbDpT10_ENKUlT_T0_E_clISt17integral_constantIbLb1EES17_EEDaS12_S13_EUlS12_E_NS1_11comp_targetILNS1_3genE2ELNS1_11target_archE906ELNS1_3gpuE6ELNS1_3repE0EEENS1_30default_config_static_selectorELNS0_4arch9wavefront6targetE1EEEvT1_
; %bb.0:
	.section	.rodata,"a",@progbits
	.p2align	6, 0x0
	.amdhsa_kernel _ZN7rocprim17ROCPRIM_400000_NS6detail17trampoline_kernelINS0_14default_configENS1_25partition_config_selectorILNS1_17partition_subalgoE8EiNS0_10empty_typeEbEEZZNS1_14partition_implILS5_8ELb0ES3_jPKiPS6_PKS6_NS0_5tupleIJPiS6_EEENSE_IJSB_SB_EEENS0_18inequality_wrapperIN6hipcub16HIPCUB_304000_NS8EqualityEEEPlJS6_EEE10hipError_tPvRmT3_T4_T5_T6_T7_T9_mT8_P12ihipStream_tbDpT10_ENKUlT_T0_E_clISt17integral_constantIbLb1EES17_EEDaS12_S13_EUlS12_E_NS1_11comp_targetILNS1_3genE2ELNS1_11target_archE906ELNS1_3gpuE6ELNS1_3repE0EEENS1_30default_config_static_selectorELNS0_4arch9wavefront6targetE1EEEvT1_
		.amdhsa_group_segment_fixed_size 0
		.amdhsa_private_segment_fixed_size 0
		.amdhsa_kernarg_size 128
		.amdhsa_user_sgpr_count 2
		.amdhsa_user_sgpr_dispatch_ptr 0
		.amdhsa_user_sgpr_queue_ptr 0
		.amdhsa_user_sgpr_kernarg_segment_ptr 1
		.amdhsa_user_sgpr_dispatch_id 0
		.amdhsa_user_sgpr_kernarg_preload_length 0
		.amdhsa_user_sgpr_kernarg_preload_offset 0
		.amdhsa_user_sgpr_private_segment_size 0
		.amdhsa_uses_dynamic_stack 0
		.amdhsa_enable_private_segment 0
		.amdhsa_system_sgpr_workgroup_id_x 1
		.amdhsa_system_sgpr_workgroup_id_y 0
		.amdhsa_system_sgpr_workgroup_id_z 0
		.amdhsa_system_sgpr_workgroup_info 0
		.amdhsa_system_vgpr_workitem_id 0
		.amdhsa_next_free_vgpr 1
		.amdhsa_next_free_sgpr 0
		.amdhsa_accum_offset 4
		.amdhsa_reserve_vcc 0
		.amdhsa_float_round_mode_32 0
		.amdhsa_float_round_mode_16_64 0
		.amdhsa_float_denorm_mode_32 3
		.amdhsa_float_denorm_mode_16_64 3
		.amdhsa_dx10_clamp 1
		.amdhsa_ieee_mode 1
		.amdhsa_fp16_overflow 0
		.amdhsa_tg_split 0
		.amdhsa_exception_fp_ieee_invalid_op 0
		.amdhsa_exception_fp_denorm_src 0
		.amdhsa_exception_fp_ieee_div_zero 0
		.amdhsa_exception_fp_ieee_overflow 0
		.amdhsa_exception_fp_ieee_underflow 0
		.amdhsa_exception_fp_ieee_inexact 0
		.amdhsa_exception_int_div_zero 0
	.end_amdhsa_kernel
	.section	.text._ZN7rocprim17ROCPRIM_400000_NS6detail17trampoline_kernelINS0_14default_configENS1_25partition_config_selectorILNS1_17partition_subalgoE8EiNS0_10empty_typeEbEEZZNS1_14partition_implILS5_8ELb0ES3_jPKiPS6_PKS6_NS0_5tupleIJPiS6_EEENSE_IJSB_SB_EEENS0_18inequality_wrapperIN6hipcub16HIPCUB_304000_NS8EqualityEEEPlJS6_EEE10hipError_tPvRmT3_T4_T5_T6_T7_T9_mT8_P12ihipStream_tbDpT10_ENKUlT_T0_E_clISt17integral_constantIbLb1EES17_EEDaS12_S13_EUlS12_E_NS1_11comp_targetILNS1_3genE2ELNS1_11target_archE906ELNS1_3gpuE6ELNS1_3repE0EEENS1_30default_config_static_selectorELNS0_4arch9wavefront6targetE1EEEvT1_,"axG",@progbits,_ZN7rocprim17ROCPRIM_400000_NS6detail17trampoline_kernelINS0_14default_configENS1_25partition_config_selectorILNS1_17partition_subalgoE8EiNS0_10empty_typeEbEEZZNS1_14partition_implILS5_8ELb0ES3_jPKiPS6_PKS6_NS0_5tupleIJPiS6_EEENSE_IJSB_SB_EEENS0_18inequality_wrapperIN6hipcub16HIPCUB_304000_NS8EqualityEEEPlJS6_EEE10hipError_tPvRmT3_T4_T5_T6_T7_T9_mT8_P12ihipStream_tbDpT10_ENKUlT_T0_E_clISt17integral_constantIbLb1EES17_EEDaS12_S13_EUlS12_E_NS1_11comp_targetILNS1_3genE2ELNS1_11target_archE906ELNS1_3gpuE6ELNS1_3repE0EEENS1_30default_config_static_selectorELNS0_4arch9wavefront6targetE1EEEvT1_,comdat
.Lfunc_end199:
	.size	_ZN7rocprim17ROCPRIM_400000_NS6detail17trampoline_kernelINS0_14default_configENS1_25partition_config_selectorILNS1_17partition_subalgoE8EiNS0_10empty_typeEbEEZZNS1_14partition_implILS5_8ELb0ES3_jPKiPS6_PKS6_NS0_5tupleIJPiS6_EEENSE_IJSB_SB_EEENS0_18inequality_wrapperIN6hipcub16HIPCUB_304000_NS8EqualityEEEPlJS6_EEE10hipError_tPvRmT3_T4_T5_T6_T7_T9_mT8_P12ihipStream_tbDpT10_ENKUlT_T0_E_clISt17integral_constantIbLb1EES17_EEDaS12_S13_EUlS12_E_NS1_11comp_targetILNS1_3genE2ELNS1_11target_archE906ELNS1_3gpuE6ELNS1_3repE0EEENS1_30default_config_static_selectorELNS0_4arch9wavefront6targetE1EEEvT1_, .Lfunc_end199-_ZN7rocprim17ROCPRIM_400000_NS6detail17trampoline_kernelINS0_14default_configENS1_25partition_config_selectorILNS1_17partition_subalgoE8EiNS0_10empty_typeEbEEZZNS1_14partition_implILS5_8ELb0ES3_jPKiPS6_PKS6_NS0_5tupleIJPiS6_EEENSE_IJSB_SB_EEENS0_18inequality_wrapperIN6hipcub16HIPCUB_304000_NS8EqualityEEEPlJS6_EEE10hipError_tPvRmT3_T4_T5_T6_T7_T9_mT8_P12ihipStream_tbDpT10_ENKUlT_T0_E_clISt17integral_constantIbLb1EES17_EEDaS12_S13_EUlS12_E_NS1_11comp_targetILNS1_3genE2ELNS1_11target_archE906ELNS1_3gpuE6ELNS1_3repE0EEENS1_30default_config_static_selectorELNS0_4arch9wavefront6targetE1EEEvT1_
                                        ; -- End function
	.set _ZN7rocprim17ROCPRIM_400000_NS6detail17trampoline_kernelINS0_14default_configENS1_25partition_config_selectorILNS1_17partition_subalgoE8EiNS0_10empty_typeEbEEZZNS1_14partition_implILS5_8ELb0ES3_jPKiPS6_PKS6_NS0_5tupleIJPiS6_EEENSE_IJSB_SB_EEENS0_18inequality_wrapperIN6hipcub16HIPCUB_304000_NS8EqualityEEEPlJS6_EEE10hipError_tPvRmT3_T4_T5_T6_T7_T9_mT8_P12ihipStream_tbDpT10_ENKUlT_T0_E_clISt17integral_constantIbLb1EES17_EEDaS12_S13_EUlS12_E_NS1_11comp_targetILNS1_3genE2ELNS1_11target_archE906ELNS1_3gpuE6ELNS1_3repE0EEENS1_30default_config_static_selectorELNS0_4arch9wavefront6targetE1EEEvT1_.num_vgpr, 0
	.set _ZN7rocprim17ROCPRIM_400000_NS6detail17trampoline_kernelINS0_14default_configENS1_25partition_config_selectorILNS1_17partition_subalgoE8EiNS0_10empty_typeEbEEZZNS1_14partition_implILS5_8ELb0ES3_jPKiPS6_PKS6_NS0_5tupleIJPiS6_EEENSE_IJSB_SB_EEENS0_18inequality_wrapperIN6hipcub16HIPCUB_304000_NS8EqualityEEEPlJS6_EEE10hipError_tPvRmT3_T4_T5_T6_T7_T9_mT8_P12ihipStream_tbDpT10_ENKUlT_T0_E_clISt17integral_constantIbLb1EES17_EEDaS12_S13_EUlS12_E_NS1_11comp_targetILNS1_3genE2ELNS1_11target_archE906ELNS1_3gpuE6ELNS1_3repE0EEENS1_30default_config_static_selectorELNS0_4arch9wavefront6targetE1EEEvT1_.num_agpr, 0
	.set _ZN7rocprim17ROCPRIM_400000_NS6detail17trampoline_kernelINS0_14default_configENS1_25partition_config_selectorILNS1_17partition_subalgoE8EiNS0_10empty_typeEbEEZZNS1_14partition_implILS5_8ELb0ES3_jPKiPS6_PKS6_NS0_5tupleIJPiS6_EEENSE_IJSB_SB_EEENS0_18inequality_wrapperIN6hipcub16HIPCUB_304000_NS8EqualityEEEPlJS6_EEE10hipError_tPvRmT3_T4_T5_T6_T7_T9_mT8_P12ihipStream_tbDpT10_ENKUlT_T0_E_clISt17integral_constantIbLb1EES17_EEDaS12_S13_EUlS12_E_NS1_11comp_targetILNS1_3genE2ELNS1_11target_archE906ELNS1_3gpuE6ELNS1_3repE0EEENS1_30default_config_static_selectorELNS0_4arch9wavefront6targetE1EEEvT1_.numbered_sgpr, 0
	.set _ZN7rocprim17ROCPRIM_400000_NS6detail17trampoline_kernelINS0_14default_configENS1_25partition_config_selectorILNS1_17partition_subalgoE8EiNS0_10empty_typeEbEEZZNS1_14partition_implILS5_8ELb0ES3_jPKiPS6_PKS6_NS0_5tupleIJPiS6_EEENSE_IJSB_SB_EEENS0_18inequality_wrapperIN6hipcub16HIPCUB_304000_NS8EqualityEEEPlJS6_EEE10hipError_tPvRmT3_T4_T5_T6_T7_T9_mT8_P12ihipStream_tbDpT10_ENKUlT_T0_E_clISt17integral_constantIbLb1EES17_EEDaS12_S13_EUlS12_E_NS1_11comp_targetILNS1_3genE2ELNS1_11target_archE906ELNS1_3gpuE6ELNS1_3repE0EEENS1_30default_config_static_selectorELNS0_4arch9wavefront6targetE1EEEvT1_.num_named_barrier, 0
	.set _ZN7rocprim17ROCPRIM_400000_NS6detail17trampoline_kernelINS0_14default_configENS1_25partition_config_selectorILNS1_17partition_subalgoE8EiNS0_10empty_typeEbEEZZNS1_14partition_implILS5_8ELb0ES3_jPKiPS6_PKS6_NS0_5tupleIJPiS6_EEENSE_IJSB_SB_EEENS0_18inequality_wrapperIN6hipcub16HIPCUB_304000_NS8EqualityEEEPlJS6_EEE10hipError_tPvRmT3_T4_T5_T6_T7_T9_mT8_P12ihipStream_tbDpT10_ENKUlT_T0_E_clISt17integral_constantIbLb1EES17_EEDaS12_S13_EUlS12_E_NS1_11comp_targetILNS1_3genE2ELNS1_11target_archE906ELNS1_3gpuE6ELNS1_3repE0EEENS1_30default_config_static_selectorELNS0_4arch9wavefront6targetE1EEEvT1_.private_seg_size, 0
	.set _ZN7rocprim17ROCPRIM_400000_NS6detail17trampoline_kernelINS0_14default_configENS1_25partition_config_selectorILNS1_17partition_subalgoE8EiNS0_10empty_typeEbEEZZNS1_14partition_implILS5_8ELb0ES3_jPKiPS6_PKS6_NS0_5tupleIJPiS6_EEENSE_IJSB_SB_EEENS0_18inequality_wrapperIN6hipcub16HIPCUB_304000_NS8EqualityEEEPlJS6_EEE10hipError_tPvRmT3_T4_T5_T6_T7_T9_mT8_P12ihipStream_tbDpT10_ENKUlT_T0_E_clISt17integral_constantIbLb1EES17_EEDaS12_S13_EUlS12_E_NS1_11comp_targetILNS1_3genE2ELNS1_11target_archE906ELNS1_3gpuE6ELNS1_3repE0EEENS1_30default_config_static_selectorELNS0_4arch9wavefront6targetE1EEEvT1_.uses_vcc, 0
	.set _ZN7rocprim17ROCPRIM_400000_NS6detail17trampoline_kernelINS0_14default_configENS1_25partition_config_selectorILNS1_17partition_subalgoE8EiNS0_10empty_typeEbEEZZNS1_14partition_implILS5_8ELb0ES3_jPKiPS6_PKS6_NS0_5tupleIJPiS6_EEENSE_IJSB_SB_EEENS0_18inequality_wrapperIN6hipcub16HIPCUB_304000_NS8EqualityEEEPlJS6_EEE10hipError_tPvRmT3_T4_T5_T6_T7_T9_mT8_P12ihipStream_tbDpT10_ENKUlT_T0_E_clISt17integral_constantIbLb1EES17_EEDaS12_S13_EUlS12_E_NS1_11comp_targetILNS1_3genE2ELNS1_11target_archE906ELNS1_3gpuE6ELNS1_3repE0EEENS1_30default_config_static_selectorELNS0_4arch9wavefront6targetE1EEEvT1_.uses_flat_scratch, 0
	.set _ZN7rocprim17ROCPRIM_400000_NS6detail17trampoline_kernelINS0_14default_configENS1_25partition_config_selectorILNS1_17partition_subalgoE8EiNS0_10empty_typeEbEEZZNS1_14partition_implILS5_8ELb0ES3_jPKiPS6_PKS6_NS0_5tupleIJPiS6_EEENSE_IJSB_SB_EEENS0_18inequality_wrapperIN6hipcub16HIPCUB_304000_NS8EqualityEEEPlJS6_EEE10hipError_tPvRmT3_T4_T5_T6_T7_T9_mT8_P12ihipStream_tbDpT10_ENKUlT_T0_E_clISt17integral_constantIbLb1EES17_EEDaS12_S13_EUlS12_E_NS1_11comp_targetILNS1_3genE2ELNS1_11target_archE906ELNS1_3gpuE6ELNS1_3repE0EEENS1_30default_config_static_selectorELNS0_4arch9wavefront6targetE1EEEvT1_.has_dyn_sized_stack, 0
	.set _ZN7rocprim17ROCPRIM_400000_NS6detail17trampoline_kernelINS0_14default_configENS1_25partition_config_selectorILNS1_17partition_subalgoE8EiNS0_10empty_typeEbEEZZNS1_14partition_implILS5_8ELb0ES3_jPKiPS6_PKS6_NS0_5tupleIJPiS6_EEENSE_IJSB_SB_EEENS0_18inequality_wrapperIN6hipcub16HIPCUB_304000_NS8EqualityEEEPlJS6_EEE10hipError_tPvRmT3_T4_T5_T6_T7_T9_mT8_P12ihipStream_tbDpT10_ENKUlT_T0_E_clISt17integral_constantIbLb1EES17_EEDaS12_S13_EUlS12_E_NS1_11comp_targetILNS1_3genE2ELNS1_11target_archE906ELNS1_3gpuE6ELNS1_3repE0EEENS1_30default_config_static_selectorELNS0_4arch9wavefront6targetE1EEEvT1_.has_recursion, 0
	.set _ZN7rocprim17ROCPRIM_400000_NS6detail17trampoline_kernelINS0_14default_configENS1_25partition_config_selectorILNS1_17partition_subalgoE8EiNS0_10empty_typeEbEEZZNS1_14partition_implILS5_8ELb0ES3_jPKiPS6_PKS6_NS0_5tupleIJPiS6_EEENSE_IJSB_SB_EEENS0_18inequality_wrapperIN6hipcub16HIPCUB_304000_NS8EqualityEEEPlJS6_EEE10hipError_tPvRmT3_T4_T5_T6_T7_T9_mT8_P12ihipStream_tbDpT10_ENKUlT_T0_E_clISt17integral_constantIbLb1EES17_EEDaS12_S13_EUlS12_E_NS1_11comp_targetILNS1_3genE2ELNS1_11target_archE906ELNS1_3gpuE6ELNS1_3repE0EEENS1_30default_config_static_selectorELNS0_4arch9wavefront6targetE1EEEvT1_.has_indirect_call, 0
	.section	.AMDGPU.csdata,"",@progbits
; Kernel info:
; codeLenInByte = 0
; TotalNumSgprs: 6
; NumVgprs: 0
; NumAgprs: 0
; TotalNumVgprs: 0
; ScratchSize: 0
; MemoryBound: 0
; FloatMode: 240
; IeeeMode: 1
; LDSByteSize: 0 bytes/workgroup (compile time only)
; SGPRBlocks: 0
; VGPRBlocks: 0
; NumSGPRsForWavesPerEU: 6
; NumVGPRsForWavesPerEU: 1
; AccumOffset: 4
; Occupancy: 8
; WaveLimiterHint : 0
; COMPUTE_PGM_RSRC2:SCRATCH_EN: 0
; COMPUTE_PGM_RSRC2:USER_SGPR: 2
; COMPUTE_PGM_RSRC2:TRAP_HANDLER: 0
; COMPUTE_PGM_RSRC2:TGID_X_EN: 1
; COMPUTE_PGM_RSRC2:TGID_Y_EN: 0
; COMPUTE_PGM_RSRC2:TGID_Z_EN: 0
; COMPUTE_PGM_RSRC2:TIDIG_COMP_CNT: 0
; COMPUTE_PGM_RSRC3_GFX90A:ACCUM_OFFSET: 0
; COMPUTE_PGM_RSRC3_GFX90A:TG_SPLIT: 0
	.section	.text._ZN7rocprim17ROCPRIM_400000_NS6detail17trampoline_kernelINS0_14default_configENS1_25partition_config_selectorILNS1_17partition_subalgoE8EiNS0_10empty_typeEbEEZZNS1_14partition_implILS5_8ELb0ES3_jPKiPS6_PKS6_NS0_5tupleIJPiS6_EEENSE_IJSB_SB_EEENS0_18inequality_wrapperIN6hipcub16HIPCUB_304000_NS8EqualityEEEPlJS6_EEE10hipError_tPvRmT3_T4_T5_T6_T7_T9_mT8_P12ihipStream_tbDpT10_ENKUlT_T0_E_clISt17integral_constantIbLb1EES17_EEDaS12_S13_EUlS12_E_NS1_11comp_targetILNS1_3genE10ELNS1_11target_archE1200ELNS1_3gpuE4ELNS1_3repE0EEENS1_30default_config_static_selectorELNS0_4arch9wavefront6targetE1EEEvT1_,"axG",@progbits,_ZN7rocprim17ROCPRIM_400000_NS6detail17trampoline_kernelINS0_14default_configENS1_25partition_config_selectorILNS1_17partition_subalgoE8EiNS0_10empty_typeEbEEZZNS1_14partition_implILS5_8ELb0ES3_jPKiPS6_PKS6_NS0_5tupleIJPiS6_EEENSE_IJSB_SB_EEENS0_18inequality_wrapperIN6hipcub16HIPCUB_304000_NS8EqualityEEEPlJS6_EEE10hipError_tPvRmT3_T4_T5_T6_T7_T9_mT8_P12ihipStream_tbDpT10_ENKUlT_T0_E_clISt17integral_constantIbLb1EES17_EEDaS12_S13_EUlS12_E_NS1_11comp_targetILNS1_3genE10ELNS1_11target_archE1200ELNS1_3gpuE4ELNS1_3repE0EEENS1_30default_config_static_selectorELNS0_4arch9wavefront6targetE1EEEvT1_,comdat
	.protected	_ZN7rocprim17ROCPRIM_400000_NS6detail17trampoline_kernelINS0_14default_configENS1_25partition_config_selectorILNS1_17partition_subalgoE8EiNS0_10empty_typeEbEEZZNS1_14partition_implILS5_8ELb0ES3_jPKiPS6_PKS6_NS0_5tupleIJPiS6_EEENSE_IJSB_SB_EEENS0_18inequality_wrapperIN6hipcub16HIPCUB_304000_NS8EqualityEEEPlJS6_EEE10hipError_tPvRmT3_T4_T5_T6_T7_T9_mT8_P12ihipStream_tbDpT10_ENKUlT_T0_E_clISt17integral_constantIbLb1EES17_EEDaS12_S13_EUlS12_E_NS1_11comp_targetILNS1_3genE10ELNS1_11target_archE1200ELNS1_3gpuE4ELNS1_3repE0EEENS1_30default_config_static_selectorELNS0_4arch9wavefront6targetE1EEEvT1_ ; -- Begin function _ZN7rocprim17ROCPRIM_400000_NS6detail17trampoline_kernelINS0_14default_configENS1_25partition_config_selectorILNS1_17partition_subalgoE8EiNS0_10empty_typeEbEEZZNS1_14partition_implILS5_8ELb0ES3_jPKiPS6_PKS6_NS0_5tupleIJPiS6_EEENSE_IJSB_SB_EEENS0_18inequality_wrapperIN6hipcub16HIPCUB_304000_NS8EqualityEEEPlJS6_EEE10hipError_tPvRmT3_T4_T5_T6_T7_T9_mT8_P12ihipStream_tbDpT10_ENKUlT_T0_E_clISt17integral_constantIbLb1EES17_EEDaS12_S13_EUlS12_E_NS1_11comp_targetILNS1_3genE10ELNS1_11target_archE1200ELNS1_3gpuE4ELNS1_3repE0EEENS1_30default_config_static_selectorELNS0_4arch9wavefront6targetE1EEEvT1_
	.globl	_ZN7rocprim17ROCPRIM_400000_NS6detail17trampoline_kernelINS0_14default_configENS1_25partition_config_selectorILNS1_17partition_subalgoE8EiNS0_10empty_typeEbEEZZNS1_14partition_implILS5_8ELb0ES3_jPKiPS6_PKS6_NS0_5tupleIJPiS6_EEENSE_IJSB_SB_EEENS0_18inequality_wrapperIN6hipcub16HIPCUB_304000_NS8EqualityEEEPlJS6_EEE10hipError_tPvRmT3_T4_T5_T6_T7_T9_mT8_P12ihipStream_tbDpT10_ENKUlT_T0_E_clISt17integral_constantIbLb1EES17_EEDaS12_S13_EUlS12_E_NS1_11comp_targetILNS1_3genE10ELNS1_11target_archE1200ELNS1_3gpuE4ELNS1_3repE0EEENS1_30default_config_static_selectorELNS0_4arch9wavefront6targetE1EEEvT1_
	.p2align	8
	.type	_ZN7rocprim17ROCPRIM_400000_NS6detail17trampoline_kernelINS0_14default_configENS1_25partition_config_selectorILNS1_17partition_subalgoE8EiNS0_10empty_typeEbEEZZNS1_14partition_implILS5_8ELb0ES3_jPKiPS6_PKS6_NS0_5tupleIJPiS6_EEENSE_IJSB_SB_EEENS0_18inequality_wrapperIN6hipcub16HIPCUB_304000_NS8EqualityEEEPlJS6_EEE10hipError_tPvRmT3_T4_T5_T6_T7_T9_mT8_P12ihipStream_tbDpT10_ENKUlT_T0_E_clISt17integral_constantIbLb1EES17_EEDaS12_S13_EUlS12_E_NS1_11comp_targetILNS1_3genE10ELNS1_11target_archE1200ELNS1_3gpuE4ELNS1_3repE0EEENS1_30default_config_static_selectorELNS0_4arch9wavefront6targetE1EEEvT1_,@function
_ZN7rocprim17ROCPRIM_400000_NS6detail17trampoline_kernelINS0_14default_configENS1_25partition_config_selectorILNS1_17partition_subalgoE8EiNS0_10empty_typeEbEEZZNS1_14partition_implILS5_8ELb0ES3_jPKiPS6_PKS6_NS0_5tupleIJPiS6_EEENSE_IJSB_SB_EEENS0_18inequality_wrapperIN6hipcub16HIPCUB_304000_NS8EqualityEEEPlJS6_EEE10hipError_tPvRmT3_T4_T5_T6_T7_T9_mT8_P12ihipStream_tbDpT10_ENKUlT_T0_E_clISt17integral_constantIbLb1EES17_EEDaS12_S13_EUlS12_E_NS1_11comp_targetILNS1_3genE10ELNS1_11target_archE1200ELNS1_3gpuE4ELNS1_3repE0EEENS1_30default_config_static_selectorELNS0_4arch9wavefront6targetE1EEEvT1_: ; @_ZN7rocprim17ROCPRIM_400000_NS6detail17trampoline_kernelINS0_14default_configENS1_25partition_config_selectorILNS1_17partition_subalgoE8EiNS0_10empty_typeEbEEZZNS1_14partition_implILS5_8ELb0ES3_jPKiPS6_PKS6_NS0_5tupleIJPiS6_EEENSE_IJSB_SB_EEENS0_18inequality_wrapperIN6hipcub16HIPCUB_304000_NS8EqualityEEEPlJS6_EEE10hipError_tPvRmT3_T4_T5_T6_T7_T9_mT8_P12ihipStream_tbDpT10_ENKUlT_T0_E_clISt17integral_constantIbLb1EES17_EEDaS12_S13_EUlS12_E_NS1_11comp_targetILNS1_3genE10ELNS1_11target_archE1200ELNS1_3gpuE4ELNS1_3repE0EEENS1_30default_config_static_selectorELNS0_4arch9wavefront6targetE1EEEvT1_
; %bb.0:
	.section	.rodata,"a",@progbits
	.p2align	6, 0x0
	.amdhsa_kernel _ZN7rocprim17ROCPRIM_400000_NS6detail17trampoline_kernelINS0_14default_configENS1_25partition_config_selectorILNS1_17partition_subalgoE8EiNS0_10empty_typeEbEEZZNS1_14partition_implILS5_8ELb0ES3_jPKiPS6_PKS6_NS0_5tupleIJPiS6_EEENSE_IJSB_SB_EEENS0_18inequality_wrapperIN6hipcub16HIPCUB_304000_NS8EqualityEEEPlJS6_EEE10hipError_tPvRmT3_T4_T5_T6_T7_T9_mT8_P12ihipStream_tbDpT10_ENKUlT_T0_E_clISt17integral_constantIbLb1EES17_EEDaS12_S13_EUlS12_E_NS1_11comp_targetILNS1_3genE10ELNS1_11target_archE1200ELNS1_3gpuE4ELNS1_3repE0EEENS1_30default_config_static_selectorELNS0_4arch9wavefront6targetE1EEEvT1_
		.amdhsa_group_segment_fixed_size 0
		.amdhsa_private_segment_fixed_size 0
		.amdhsa_kernarg_size 128
		.amdhsa_user_sgpr_count 2
		.amdhsa_user_sgpr_dispatch_ptr 0
		.amdhsa_user_sgpr_queue_ptr 0
		.amdhsa_user_sgpr_kernarg_segment_ptr 1
		.amdhsa_user_sgpr_dispatch_id 0
		.amdhsa_user_sgpr_kernarg_preload_length 0
		.amdhsa_user_sgpr_kernarg_preload_offset 0
		.amdhsa_user_sgpr_private_segment_size 0
		.amdhsa_uses_dynamic_stack 0
		.amdhsa_enable_private_segment 0
		.amdhsa_system_sgpr_workgroup_id_x 1
		.amdhsa_system_sgpr_workgroup_id_y 0
		.amdhsa_system_sgpr_workgroup_id_z 0
		.amdhsa_system_sgpr_workgroup_info 0
		.amdhsa_system_vgpr_workitem_id 0
		.amdhsa_next_free_vgpr 1
		.amdhsa_next_free_sgpr 0
		.amdhsa_accum_offset 4
		.amdhsa_reserve_vcc 0
		.amdhsa_float_round_mode_32 0
		.amdhsa_float_round_mode_16_64 0
		.amdhsa_float_denorm_mode_32 3
		.amdhsa_float_denorm_mode_16_64 3
		.amdhsa_dx10_clamp 1
		.amdhsa_ieee_mode 1
		.amdhsa_fp16_overflow 0
		.amdhsa_tg_split 0
		.amdhsa_exception_fp_ieee_invalid_op 0
		.amdhsa_exception_fp_denorm_src 0
		.amdhsa_exception_fp_ieee_div_zero 0
		.amdhsa_exception_fp_ieee_overflow 0
		.amdhsa_exception_fp_ieee_underflow 0
		.amdhsa_exception_fp_ieee_inexact 0
		.amdhsa_exception_int_div_zero 0
	.end_amdhsa_kernel
	.section	.text._ZN7rocprim17ROCPRIM_400000_NS6detail17trampoline_kernelINS0_14default_configENS1_25partition_config_selectorILNS1_17partition_subalgoE8EiNS0_10empty_typeEbEEZZNS1_14partition_implILS5_8ELb0ES3_jPKiPS6_PKS6_NS0_5tupleIJPiS6_EEENSE_IJSB_SB_EEENS0_18inequality_wrapperIN6hipcub16HIPCUB_304000_NS8EqualityEEEPlJS6_EEE10hipError_tPvRmT3_T4_T5_T6_T7_T9_mT8_P12ihipStream_tbDpT10_ENKUlT_T0_E_clISt17integral_constantIbLb1EES17_EEDaS12_S13_EUlS12_E_NS1_11comp_targetILNS1_3genE10ELNS1_11target_archE1200ELNS1_3gpuE4ELNS1_3repE0EEENS1_30default_config_static_selectorELNS0_4arch9wavefront6targetE1EEEvT1_,"axG",@progbits,_ZN7rocprim17ROCPRIM_400000_NS6detail17trampoline_kernelINS0_14default_configENS1_25partition_config_selectorILNS1_17partition_subalgoE8EiNS0_10empty_typeEbEEZZNS1_14partition_implILS5_8ELb0ES3_jPKiPS6_PKS6_NS0_5tupleIJPiS6_EEENSE_IJSB_SB_EEENS0_18inequality_wrapperIN6hipcub16HIPCUB_304000_NS8EqualityEEEPlJS6_EEE10hipError_tPvRmT3_T4_T5_T6_T7_T9_mT8_P12ihipStream_tbDpT10_ENKUlT_T0_E_clISt17integral_constantIbLb1EES17_EEDaS12_S13_EUlS12_E_NS1_11comp_targetILNS1_3genE10ELNS1_11target_archE1200ELNS1_3gpuE4ELNS1_3repE0EEENS1_30default_config_static_selectorELNS0_4arch9wavefront6targetE1EEEvT1_,comdat
.Lfunc_end200:
	.size	_ZN7rocprim17ROCPRIM_400000_NS6detail17trampoline_kernelINS0_14default_configENS1_25partition_config_selectorILNS1_17partition_subalgoE8EiNS0_10empty_typeEbEEZZNS1_14partition_implILS5_8ELb0ES3_jPKiPS6_PKS6_NS0_5tupleIJPiS6_EEENSE_IJSB_SB_EEENS0_18inequality_wrapperIN6hipcub16HIPCUB_304000_NS8EqualityEEEPlJS6_EEE10hipError_tPvRmT3_T4_T5_T6_T7_T9_mT8_P12ihipStream_tbDpT10_ENKUlT_T0_E_clISt17integral_constantIbLb1EES17_EEDaS12_S13_EUlS12_E_NS1_11comp_targetILNS1_3genE10ELNS1_11target_archE1200ELNS1_3gpuE4ELNS1_3repE0EEENS1_30default_config_static_selectorELNS0_4arch9wavefront6targetE1EEEvT1_, .Lfunc_end200-_ZN7rocprim17ROCPRIM_400000_NS6detail17trampoline_kernelINS0_14default_configENS1_25partition_config_selectorILNS1_17partition_subalgoE8EiNS0_10empty_typeEbEEZZNS1_14partition_implILS5_8ELb0ES3_jPKiPS6_PKS6_NS0_5tupleIJPiS6_EEENSE_IJSB_SB_EEENS0_18inequality_wrapperIN6hipcub16HIPCUB_304000_NS8EqualityEEEPlJS6_EEE10hipError_tPvRmT3_T4_T5_T6_T7_T9_mT8_P12ihipStream_tbDpT10_ENKUlT_T0_E_clISt17integral_constantIbLb1EES17_EEDaS12_S13_EUlS12_E_NS1_11comp_targetILNS1_3genE10ELNS1_11target_archE1200ELNS1_3gpuE4ELNS1_3repE0EEENS1_30default_config_static_selectorELNS0_4arch9wavefront6targetE1EEEvT1_
                                        ; -- End function
	.set _ZN7rocprim17ROCPRIM_400000_NS6detail17trampoline_kernelINS0_14default_configENS1_25partition_config_selectorILNS1_17partition_subalgoE8EiNS0_10empty_typeEbEEZZNS1_14partition_implILS5_8ELb0ES3_jPKiPS6_PKS6_NS0_5tupleIJPiS6_EEENSE_IJSB_SB_EEENS0_18inequality_wrapperIN6hipcub16HIPCUB_304000_NS8EqualityEEEPlJS6_EEE10hipError_tPvRmT3_T4_T5_T6_T7_T9_mT8_P12ihipStream_tbDpT10_ENKUlT_T0_E_clISt17integral_constantIbLb1EES17_EEDaS12_S13_EUlS12_E_NS1_11comp_targetILNS1_3genE10ELNS1_11target_archE1200ELNS1_3gpuE4ELNS1_3repE0EEENS1_30default_config_static_selectorELNS0_4arch9wavefront6targetE1EEEvT1_.num_vgpr, 0
	.set _ZN7rocprim17ROCPRIM_400000_NS6detail17trampoline_kernelINS0_14default_configENS1_25partition_config_selectorILNS1_17partition_subalgoE8EiNS0_10empty_typeEbEEZZNS1_14partition_implILS5_8ELb0ES3_jPKiPS6_PKS6_NS0_5tupleIJPiS6_EEENSE_IJSB_SB_EEENS0_18inequality_wrapperIN6hipcub16HIPCUB_304000_NS8EqualityEEEPlJS6_EEE10hipError_tPvRmT3_T4_T5_T6_T7_T9_mT8_P12ihipStream_tbDpT10_ENKUlT_T0_E_clISt17integral_constantIbLb1EES17_EEDaS12_S13_EUlS12_E_NS1_11comp_targetILNS1_3genE10ELNS1_11target_archE1200ELNS1_3gpuE4ELNS1_3repE0EEENS1_30default_config_static_selectorELNS0_4arch9wavefront6targetE1EEEvT1_.num_agpr, 0
	.set _ZN7rocprim17ROCPRIM_400000_NS6detail17trampoline_kernelINS0_14default_configENS1_25partition_config_selectorILNS1_17partition_subalgoE8EiNS0_10empty_typeEbEEZZNS1_14partition_implILS5_8ELb0ES3_jPKiPS6_PKS6_NS0_5tupleIJPiS6_EEENSE_IJSB_SB_EEENS0_18inequality_wrapperIN6hipcub16HIPCUB_304000_NS8EqualityEEEPlJS6_EEE10hipError_tPvRmT3_T4_T5_T6_T7_T9_mT8_P12ihipStream_tbDpT10_ENKUlT_T0_E_clISt17integral_constantIbLb1EES17_EEDaS12_S13_EUlS12_E_NS1_11comp_targetILNS1_3genE10ELNS1_11target_archE1200ELNS1_3gpuE4ELNS1_3repE0EEENS1_30default_config_static_selectorELNS0_4arch9wavefront6targetE1EEEvT1_.numbered_sgpr, 0
	.set _ZN7rocprim17ROCPRIM_400000_NS6detail17trampoline_kernelINS0_14default_configENS1_25partition_config_selectorILNS1_17partition_subalgoE8EiNS0_10empty_typeEbEEZZNS1_14partition_implILS5_8ELb0ES3_jPKiPS6_PKS6_NS0_5tupleIJPiS6_EEENSE_IJSB_SB_EEENS0_18inequality_wrapperIN6hipcub16HIPCUB_304000_NS8EqualityEEEPlJS6_EEE10hipError_tPvRmT3_T4_T5_T6_T7_T9_mT8_P12ihipStream_tbDpT10_ENKUlT_T0_E_clISt17integral_constantIbLb1EES17_EEDaS12_S13_EUlS12_E_NS1_11comp_targetILNS1_3genE10ELNS1_11target_archE1200ELNS1_3gpuE4ELNS1_3repE0EEENS1_30default_config_static_selectorELNS0_4arch9wavefront6targetE1EEEvT1_.num_named_barrier, 0
	.set _ZN7rocprim17ROCPRIM_400000_NS6detail17trampoline_kernelINS0_14default_configENS1_25partition_config_selectorILNS1_17partition_subalgoE8EiNS0_10empty_typeEbEEZZNS1_14partition_implILS5_8ELb0ES3_jPKiPS6_PKS6_NS0_5tupleIJPiS6_EEENSE_IJSB_SB_EEENS0_18inequality_wrapperIN6hipcub16HIPCUB_304000_NS8EqualityEEEPlJS6_EEE10hipError_tPvRmT3_T4_T5_T6_T7_T9_mT8_P12ihipStream_tbDpT10_ENKUlT_T0_E_clISt17integral_constantIbLb1EES17_EEDaS12_S13_EUlS12_E_NS1_11comp_targetILNS1_3genE10ELNS1_11target_archE1200ELNS1_3gpuE4ELNS1_3repE0EEENS1_30default_config_static_selectorELNS0_4arch9wavefront6targetE1EEEvT1_.private_seg_size, 0
	.set _ZN7rocprim17ROCPRIM_400000_NS6detail17trampoline_kernelINS0_14default_configENS1_25partition_config_selectorILNS1_17partition_subalgoE8EiNS0_10empty_typeEbEEZZNS1_14partition_implILS5_8ELb0ES3_jPKiPS6_PKS6_NS0_5tupleIJPiS6_EEENSE_IJSB_SB_EEENS0_18inequality_wrapperIN6hipcub16HIPCUB_304000_NS8EqualityEEEPlJS6_EEE10hipError_tPvRmT3_T4_T5_T6_T7_T9_mT8_P12ihipStream_tbDpT10_ENKUlT_T0_E_clISt17integral_constantIbLb1EES17_EEDaS12_S13_EUlS12_E_NS1_11comp_targetILNS1_3genE10ELNS1_11target_archE1200ELNS1_3gpuE4ELNS1_3repE0EEENS1_30default_config_static_selectorELNS0_4arch9wavefront6targetE1EEEvT1_.uses_vcc, 0
	.set _ZN7rocprim17ROCPRIM_400000_NS6detail17trampoline_kernelINS0_14default_configENS1_25partition_config_selectorILNS1_17partition_subalgoE8EiNS0_10empty_typeEbEEZZNS1_14partition_implILS5_8ELb0ES3_jPKiPS6_PKS6_NS0_5tupleIJPiS6_EEENSE_IJSB_SB_EEENS0_18inequality_wrapperIN6hipcub16HIPCUB_304000_NS8EqualityEEEPlJS6_EEE10hipError_tPvRmT3_T4_T5_T6_T7_T9_mT8_P12ihipStream_tbDpT10_ENKUlT_T0_E_clISt17integral_constantIbLb1EES17_EEDaS12_S13_EUlS12_E_NS1_11comp_targetILNS1_3genE10ELNS1_11target_archE1200ELNS1_3gpuE4ELNS1_3repE0EEENS1_30default_config_static_selectorELNS0_4arch9wavefront6targetE1EEEvT1_.uses_flat_scratch, 0
	.set _ZN7rocprim17ROCPRIM_400000_NS6detail17trampoline_kernelINS0_14default_configENS1_25partition_config_selectorILNS1_17partition_subalgoE8EiNS0_10empty_typeEbEEZZNS1_14partition_implILS5_8ELb0ES3_jPKiPS6_PKS6_NS0_5tupleIJPiS6_EEENSE_IJSB_SB_EEENS0_18inequality_wrapperIN6hipcub16HIPCUB_304000_NS8EqualityEEEPlJS6_EEE10hipError_tPvRmT3_T4_T5_T6_T7_T9_mT8_P12ihipStream_tbDpT10_ENKUlT_T0_E_clISt17integral_constantIbLb1EES17_EEDaS12_S13_EUlS12_E_NS1_11comp_targetILNS1_3genE10ELNS1_11target_archE1200ELNS1_3gpuE4ELNS1_3repE0EEENS1_30default_config_static_selectorELNS0_4arch9wavefront6targetE1EEEvT1_.has_dyn_sized_stack, 0
	.set _ZN7rocprim17ROCPRIM_400000_NS6detail17trampoline_kernelINS0_14default_configENS1_25partition_config_selectorILNS1_17partition_subalgoE8EiNS0_10empty_typeEbEEZZNS1_14partition_implILS5_8ELb0ES3_jPKiPS6_PKS6_NS0_5tupleIJPiS6_EEENSE_IJSB_SB_EEENS0_18inequality_wrapperIN6hipcub16HIPCUB_304000_NS8EqualityEEEPlJS6_EEE10hipError_tPvRmT3_T4_T5_T6_T7_T9_mT8_P12ihipStream_tbDpT10_ENKUlT_T0_E_clISt17integral_constantIbLb1EES17_EEDaS12_S13_EUlS12_E_NS1_11comp_targetILNS1_3genE10ELNS1_11target_archE1200ELNS1_3gpuE4ELNS1_3repE0EEENS1_30default_config_static_selectorELNS0_4arch9wavefront6targetE1EEEvT1_.has_recursion, 0
	.set _ZN7rocprim17ROCPRIM_400000_NS6detail17trampoline_kernelINS0_14default_configENS1_25partition_config_selectorILNS1_17partition_subalgoE8EiNS0_10empty_typeEbEEZZNS1_14partition_implILS5_8ELb0ES3_jPKiPS6_PKS6_NS0_5tupleIJPiS6_EEENSE_IJSB_SB_EEENS0_18inequality_wrapperIN6hipcub16HIPCUB_304000_NS8EqualityEEEPlJS6_EEE10hipError_tPvRmT3_T4_T5_T6_T7_T9_mT8_P12ihipStream_tbDpT10_ENKUlT_T0_E_clISt17integral_constantIbLb1EES17_EEDaS12_S13_EUlS12_E_NS1_11comp_targetILNS1_3genE10ELNS1_11target_archE1200ELNS1_3gpuE4ELNS1_3repE0EEENS1_30default_config_static_selectorELNS0_4arch9wavefront6targetE1EEEvT1_.has_indirect_call, 0
	.section	.AMDGPU.csdata,"",@progbits
; Kernel info:
; codeLenInByte = 0
; TotalNumSgprs: 6
; NumVgprs: 0
; NumAgprs: 0
; TotalNumVgprs: 0
; ScratchSize: 0
; MemoryBound: 0
; FloatMode: 240
; IeeeMode: 1
; LDSByteSize: 0 bytes/workgroup (compile time only)
; SGPRBlocks: 0
; VGPRBlocks: 0
; NumSGPRsForWavesPerEU: 6
; NumVGPRsForWavesPerEU: 1
; AccumOffset: 4
; Occupancy: 8
; WaveLimiterHint : 0
; COMPUTE_PGM_RSRC2:SCRATCH_EN: 0
; COMPUTE_PGM_RSRC2:USER_SGPR: 2
; COMPUTE_PGM_RSRC2:TRAP_HANDLER: 0
; COMPUTE_PGM_RSRC2:TGID_X_EN: 1
; COMPUTE_PGM_RSRC2:TGID_Y_EN: 0
; COMPUTE_PGM_RSRC2:TGID_Z_EN: 0
; COMPUTE_PGM_RSRC2:TIDIG_COMP_CNT: 0
; COMPUTE_PGM_RSRC3_GFX90A:ACCUM_OFFSET: 0
; COMPUTE_PGM_RSRC3_GFX90A:TG_SPLIT: 0
	.section	.text._ZN7rocprim17ROCPRIM_400000_NS6detail17trampoline_kernelINS0_14default_configENS1_25partition_config_selectorILNS1_17partition_subalgoE8EiNS0_10empty_typeEbEEZZNS1_14partition_implILS5_8ELb0ES3_jPKiPS6_PKS6_NS0_5tupleIJPiS6_EEENSE_IJSB_SB_EEENS0_18inequality_wrapperIN6hipcub16HIPCUB_304000_NS8EqualityEEEPlJS6_EEE10hipError_tPvRmT3_T4_T5_T6_T7_T9_mT8_P12ihipStream_tbDpT10_ENKUlT_T0_E_clISt17integral_constantIbLb1EES17_EEDaS12_S13_EUlS12_E_NS1_11comp_targetILNS1_3genE9ELNS1_11target_archE1100ELNS1_3gpuE3ELNS1_3repE0EEENS1_30default_config_static_selectorELNS0_4arch9wavefront6targetE1EEEvT1_,"axG",@progbits,_ZN7rocprim17ROCPRIM_400000_NS6detail17trampoline_kernelINS0_14default_configENS1_25partition_config_selectorILNS1_17partition_subalgoE8EiNS0_10empty_typeEbEEZZNS1_14partition_implILS5_8ELb0ES3_jPKiPS6_PKS6_NS0_5tupleIJPiS6_EEENSE_IJSB_SB_EEENS0_18inequality_wrapperIN6hipcub16HIPCUB_304000_NS8EqualityEEEPlJS6_EEE10hipError_tPvRmT3_T4_T5_T6_T7_T9_mT8_P12ihipStream_tbDpT10_ENKUlT_T0_E_clISt17integral_constantIbLb1EES17_EEDaS12_S13_EUlS12_E_NS1_11comp_targetILNS1_3genE9ELNS1_11target_archE1100ELNS1_3gpuE3ELNS1_3repE0EEENS1_30default_config_static_selectorELNS0_4arch9wavefront6targetE1EEEvT1_,comdat
	.protected	_ZN7rocprim17ROCPRIM_400000_NS6detail17trampoline_kernelINS0_14default_configENS1_25partition_config_selectorILNS1_17partition_subalgoE8EiNS0_10empty_typeEbEEZZNS1_14partition_implILS5_8ELb0ES3_jPKiPS6_PKS6_NS0_5tupleIJPiS6_EEENSE_IJSB_SB_EEENS0_18inequality_wrapperIN6hipcub16HIPCUB_304000_NS8EqualityEEEPlJS6_EEE10hipError_tPvRmT3_T4_T5_T6_T7_T9_mT8_P12ihipStream_tbDpT10_ENKUlT_T0_E_clISt17integral_constantIbLb1EES17_EEDaS12_S13_EUlS12_E_NS1_11comp_targetILNS1_3genE9ELNS1_11target_archE1100ELNS1_3gpuE3ELNS1_3repE0EEENS1_30default_config_static_selectorELNS0_4arch9wavefront6targetE1EEEvT1_ ; -- Begin function _ZN7rocprim17ROCPRIM_400000_NS6detail17trampoline_kernelINS0_14default_configENS1_25partition_config_selectorILNS1_17partition_subalgoE8EiNS0_10empty_typeEbEEZZNS1_14partition_implILS5_8ELb0ES3_jPKiPS6_PKS6_NS0_5tupleIJPiS6_EEENSE_IJSB_SB_EEENS0_18inequality_wrapperIN6hipcub16HIPCUB_304000_NS8EqualityEEEPlJS6_EEE10hipError_tPvRmT3_T4_T5_T6_T7_T9_mT8_P12ihipStream_tbDpT10_ENKUlT_T0_E_clISt17integral_constantIbLb1EES17_EEDaS12_S13_EUlS12_E_NS1_11comp_targetILNS1_3genE9ELNS1_11target_archE1100ELNS1_3gpuE3ELNS1_3repE0EEENS1_30default_config_static_selectorELNS0_4arch9wavefront6targetE1EEEvT1_
	.globl	_ZN7rocprim17ROCPRIM_400000_NS6detail17trampoline_kernelINS0_14default_configENS1_25partition_config_selectorILNS1_17partition_subalgoE8EiNS0_10empty_typeEbEEZZNS1_14partition_implILS5_8ELb0ES3_jPKiPS6_PKS6_NS0_5tupleIJPiS6_EEENSE_IJSB_SB_EEENS0_18inequality_wrapperIN6hipcub16HIPCUB_304000_NS8EqualityEEEPlJS6_EEE10hipError_tPvRmT3_T4_T5_T6_T7_T9_mT8_P12ihipStream_tbDpT10_ENKUlT_T0_E_clISt17integral_constantIbLb1EES17_EEDaS12_S13_EUlS12_E_NS1_11comp_targetILNS1_3genE9ELNS1_11target_archE1100ELNS1_3gpuE3ELNS1_3repE0EEENS1_30default_config_static_selectorELNS0_4arch9wavefront6targetE1EEEvT1_
	.p2align	8
	.type	_ZN7rocprim17ROCPRIM_400000_NS6detail17trampoline_kernelINS0_14default_configENS1_25partition_config_selectorILNS1_17partition_subalgoE8EiNS0_10empty_typeEbEEZZNS1_14partition_implILS5_8ELb0ES3_jPKiPS6_PKS6_NS0_5tupleIJPiS6_EEENSE_IJSB_SB_EEENS0_18inequality_wrapperIN6hipcub16HIPCUB_304000_NS8EqualityEEEPlJS6_EEE10hipError_tPvRmT3_T4_T5_T6_T7_T9_mT8_P12ihipStream_tbDpT10_ENKUlT_T0_E_clISt17integral_constantIbLb1EES17_EEDaS12_S13_EUlS12_E_NS1_11comp_targetILNS1_3genE9ELNS1_11target_archE1100ELNS1_3gpuE3ELNS1_3repE0EEENS1_30default_config_static_selectorELNS0_4arch9wavefront6targetE1EEEvT1_,@function
_ZN7rocprim17ROCPRIM_400000_NS6detail17trampoline_kernelINS0_14default_configENS1_25partition_config_selectorILNS1_17partition_subalgoE8EiNS0_10empty_typeEbEEZZNS1_14partition_implILS5_8ELb0ES3_jPKiPS6_PKS6_NS0_5tupleIJPiS6_EEENSE_IJSB_SB_EEENS0_18inequality_wrapperIN6hipcub16HIPCUB_304000_NS8EqualityEEEPlJS6_EEE10hipError_tPvRmT3_T4_T5_T6_T7_T9_mT8_P12ihipStream_tbDpT10_ENKUlT_T0_E_clISt17integral_constantIbLb1EES17_EEDaS12_S13_EUlS12_E_NS1_11comp_targetILNS1_3genE9ELNS1_11target_archE1100ELNS1_3gpuE3ELNS1_3repE0EEENS1_30default_config_static_selectorELNS0_4arch9wavefront6targetE1EEEvT1_: ; @_ZN7rocprim17ROCPRIM_400000_NS6detail17trampoline_kernelINS0_14default_configENS1_25partition_config_selectorILNS1_17partition_subalgoE8EiNS0_10empty_typeEbEEZZNS1_14partition_implILS5_8ELb0ES3_jPKiPS6_PKS6_NS0_5tupleIJPiS6_EEENSE_IJSB_SB_EEENS0_18inequality_wrapperIN6hipcub16HIPCUB_304000_NS8EqualityEEEPlJS6_EEE10hipError_tPvRmT3_T4_T5_T6_T7_T9_mT8_P12ihipStream_tbDpT10_ENKUlT_T0_E_clISt17integral_constantIbLb1EES17_EEDaS12_S13_EUlS12_E_NS1_11comp_targetILNS1_3genE9ELNS1_11target_archE1100ELNS1_3gpuE3ELNS1_3repE0EEENS1_30default_config_static_selectorELNS0_4arch9wavefront6targetE1EEEvT1_
; %bb.0:
	.section	.rodata,"a",@progbits
	.p2align	6, 0x0
	.amdhsa_kernel _ZN7rocprim17ROCPRIM_400000_NS6detail17trampoline_kernelINS0_14default_configENS1_25partition_config_selectorILNS1_17partition_subalgoE8EiNS0_10empty_typeEbEEZZNS1_14partition_implILS5_8ELb0ES3_jPKiPS6_PKS6_NS0_5tupleIJPiS6_EEENSE_IJSB_SB_EEENS0_18inequality_wrapperIN6hipcub16HIPCUB_304000_NS8EqualityEEEPlJS6_EEE10hipError_tPvRmT3_T4_T5_T6_T7_T9_mT8_P12ihipStream_tbDpT10_ENKUlT_T0_E_clISt17integral_constantIbLb1EES17_EEDaS12_S13_EUlS12_E_NS1_11comp_targetILNS1_3genE9ELNS1_11target_archE1100ELNS1_3gpuE3ELNS1_3repE0EEENS1_30default_config_static_selectorELNS0_4arch9wavefront6targetE1EEEvT1_
		.amdhsa_group_segment_fixed_size 0
		.amdhsa_private_segment_fixed_size 0
		.amdhsa_kernarg_size 128
		.amdhsa_user_sgpr_count 2
		.amdhsa_user_sgpr_dispatch_ptr 0
		.amdhsa_user_sgpr_queue_ptr 0
		.amdhsa_user_sgpr_kernarg_segment_ptr 1
		.amdhsa_user_sgpr_dispatch_id 0
		.amdhsa_user_sgpr_kernarg_preload_length 0
		.amdhsa_user_sgpr_kernarg_preload_offset 0
		.amdhsa_user_sgpr_private_segment_size 0
		.amdhsa_uses_dynamic_stack 0
		.amdhsa_enable_private_segment 0
		.amdhsa_system_sgpr_workgroup_id_x 1
		.amdhsa_system_sgpr_workgroup_id_y 0
		.amdhsa_system_sgpr_workgroup_id_z 0
		.amdhsa_system_sgpr_workgroup_info 0
		.amdhsa_system_vgpr_workitem_id 0
		.amdhsa_next_free_vgpr 1
		.amdhsa_next_free_sgpr 0
		.amdhsa_accum_offset 4
		.amdhsa_reserve_vcc 0
		.amdhsa_float_round_mode_32 0
		.amdhsa_float_round_mode_16_64 0
		.amdhsa_float_denorm_mode_32 3
		.amdhsa_float_denorm_mode_16_64 3
		.amdhsa_dx10_clamp 1
		.amdhsa_ieee_mode 1
		.amdhsa_fp16_overflow 0
		.amdhsa_tg_split 0
		.amdhsa_exception_fp_ieee_invalid_op 0
		.amdhsa_exception_fp_denorm_src 0
		.amdhsa_exception_fp_ieee_div_zero 0
		.amdhsa_exception_fp_ieee_overflow 0
		.amdhsa_exception_fp_ieee_underflow 0
		.amdhsa_exception_fp_ieee_inexact 0
		.amdhsa_exception_int_div_zero 0
	.end_amdhsa_kernel
	.section	.text._ZN7rocprim17ROCPRIM_400000_NS6detail17trampoline_kernelINS0_14default_configENS1_25partition_config_selectorILNS1_17partition_subalgoE8EiNS0_10empty_typeEbEEZZNS1_14partition_implILS5_8ELb0ES3_jPKiPS6_PKS6_NS0_5tupleIJPiS6_EEENSE_IJSB_SB_EEENS0_18inequality_wrapperIN6hipcub16HIPCUB_304000_NS8EqualityEEEPlJS6_EEE10hipError_tPvRmT3_T4_T5_T6_T7_T9_mT8_P12ihipStream_tbDpT10_ENKUlT_T0_E_clISt17integral_constantIbLb1EES17_EEDaS12_S13_EUlS12_E_NS1_11comp_targetILNS1_3genE9ELNS1_11target_archE1100ELNS1_3gpuE3ELNS1_3repE0EEENS1_30default_config_static_selectorELNS0_4arch9wavefront6targetE1EEEvT1_,"axG",@progbits,_ZN7rocprim17ROCPRIM_400000_NS6detail17trampoline_kernelINS0_14default_configENS1_25partition_config_selectorILNS1_17partition_subalgoE8EiNS0_10empty_typeEbEEZZNS1_14partition_implILS5_8ELb0ES3_jPKiPS6_PKS6_NS0_5tupleIJPiS6_EEENSE_IJSB_SB_EEENS0_18inequality_wrapperIN6hipcub16HIPCUB_304000_NS8EqualityEEEPlJS6_EEE10hipError_tPvRmT3_T4_T5_T6_T7_T9_mT8_P12ihipStream_tbDpT10_ENKUlT_T0_E_clISt17integral_constantIbLb1EES17_EEDaS12_S13_EUlS12_E_NS1_11comp_targetILNS1_3genE9ELNS1_11target_archE1100ELNS1_3gpuE3ELNS1_3repE0EEENS1_30default_config_static_selectorELNS0_4arch9wavefront6targetE1EEEvT1_,comdat
.Lfunc_end201:
	.size	_ZN7rocprim17ROCPRIM_400000_NS6detail17trampoline_kernelINS0_14default_configENS1_25partition_config_selectorILNS1_17partition_subalgoE8EiNS0_10empty_typeEbEEZZNS1_14partition_implILS5_8ELb0ES3_jPKiPS6_PKS6_NS0_5tupleIJPiS6_EEENSE_IJSB_SB_EEENS0_18inequality_wrapperIN6hipcub16HIPCUB_304000_NS8EqualityEEEPlJS6_EEE10hipError_tPvRmT3_T4_T5_T6_T7_T9_mT8_P12ihipStream_tbDpT10_ENKUlT_T0_E_clISt17integral_constantIbLb1EES17_EEDaS12_S13_EUlS12_E_NS1_11comp_targetILNS1_3genE9ELNS1_11target_archE1100ELNS1_3gpuE3ELNS1_3repE0EEENS1_30default_config_static_selectorELNS0_4arch9wavefront6targetE1EEEvT1_, .Lfunc_end201-_ZN7rocprim17ROCPRIM_400000_NS6detail17trampoline_kernelINS0_14default_configENS1_25partition_config_selectorILNS1_17partition_subalgoE8EiNS0_10empty_typeEbEEZZNS1_14partition_implILS5_8ELb0ES3_jPKiPS6_PKS6_NS0_5tupleIJPiS6_EEENSE_IJSB_SB_EEENS0_18inequality_wrapperIN6hipcub16HIPCUB_304000_NS8EqualityEEEPlJS6_EEE10hipError_tPvRmT3_T4_T5_T6_T7_T9_mT8_P12ihipStream_tbDpT10_ENKUlT_T0_E_clISt17integral_constantIbLb1EES17_EEDaS12_S13_EUlS12_E_NS1_11comp_targetILNS1_3genE9ELNS1_11target_archE1100ELNS1_3gpuE3ELNS1_3repE0EEENS1_30default_config_static_selectorELNS0_4arch9wavefront6targetE1EEEvT1_
                                        ; -- End function
	.set _ZN7rocprim17ROCPRIM_400000_NS6detail17trampoline_kernelINS0_14default_configENS1_25partition_config_selectorILNS1_17partition_subalgoE8EiNS0_10empty_typeEbEEZZNS1_14partition_implILS5_8ELb0ES3_jPKiPS6_PKS6_NS0_5tupleIJPiS6_EEENSE_IJSB_SB_EEENS0_18inequality_wrapperIN6hipcub16HIPCUB_304000_NS8EqualityEEEPlJS6_EEE10hipError_tPvRmT3_T4_T5_T6_T7_T9_mT8_P12ihipStream_tbDpT10_ENKUlT_T0_E_clISt17integral_constantIbLb1EES17_EEDaS12_S13_EUlS12_E_NS1_11comp_targetILNS1_3genE9ELNS1_11target_archE1100ELNS1_3gpuE3ELNS1_3repE0EEENS1_30default_config_static_selectorELNS0_4arch9wavefront6targetE1EEEvT1_.num_vgpr, 0
	.set _ZN7rocprim17ROCPRIM_400000_NS6detail17trampoline_kernelINS0_14default_configENS1_25partition_config_selectorILNS1_17partition_subalgoE8EiNS0_10empty_typeEbEEZZNS1_14partition_implILS5_8ELb0ES3_jPKiPS6_PKS6_NS0_5tupleIJPiS6_EEENSE_IJSB_SB_EEENS0_18inequality_wrapperIN6hipcub16HIPCUB_304000_NS8EqualityEEEPlJS6_EEE10hipError_tPvRmT3_T4_T5_T6_T7_T9_mT8_P12ihipStream_tbDpT10_ENKUlT_T0_E_clISt17integral_constantIbLb1EES17_EEDaS12_S13_EUlS12_E_NS1_11comp_targetILNS1_3genE9ELNS1_11target_archE1100ELNS1_3gpuE3ELNS1_3repE0EEENS1_30default_config_static_selectorELNS0_4arch9wavefront6targetE1EEEvT1_.num_agpr, 0
	.set _ZN7rocprim17ROCPRIM_400000_NS6detail17trampoline_kernelINS0_14default_configENS1_25partition_config_selectorILNS1_17partition_subalgoE8EiNS0_10empty_typeEbEEZZNS1_14partition_implILS5_8ELb0ES3_jPKiPS6_PKS6_NS0_5tupleIJPiS6_EEENSE_IJSB_SB_EEENS0_18inequality_wrapperIN6hipcub16HIPCUB_304000_NS8EqualityEEEPlJS6_EEE10hipError_tPvRmT3_T4_T5_T6_T7_T9_mT8_P12ihipStream_tbDpT10_ENKUlT_T0_E_clISt17integral_constantIbLb1EES17_EEDaS12_S13_EUlS12_E_NS1_11comp_targetILNS1_3genE9ELNS1_11target_archE1100ELNS1_3gpuE3ELNS1_3repE0EEENS1_30default_config_static_selectorELNS0_4arch9wavefront6targetE1EEEvT1_.numbered_sgpr, 0
	.set _ZN7rocprim17ROCPRIM_400000_NS6detail17trampoline_kernelINS0_14default_configENS1_25partition_config_selectorILNS1_17partition_subalgoE8EiNS0_10empty_typeEbEEZZNS1_14partition_implILS5_8ELb0ES3_jPKiPS6_PKS6_NS0_5tupleIJPiS6_EEENSE_IJSB_SB_EEENS0_18inequality_wrapperIN6hipcub16HIPCUB_304000_NS8EqualityEEEPlJS6_EEE10hipError_tPvRmT3_T4_T5_T6_T7_T9_mT8_P12ihipStream_tbDpT10_ENKUlT_T0_E_clISt17integral_constantIbLb1EES17_EEDaS12_S13_EUlS12_E_NS1_11comp_targetILNS1_3genE9ELNS1_11target_archE1100ELNS1_3gpuE3ELNS1_3repE0EEENS1_30default_config_static_selectorELNS0_4arch9wavefront6targetE1EEEvT1_.num_named_barrier, 0
	.set _ZN7rocprim17ROCPRIM_400000_NS6detail17trampoline_kernelINS0_14default_configENS1_25partition_config_selectorILNS1_17partition_subalgoE8EiNS0_10empty_typeEbEEZZNS1_14partition_implILS5_8ELb0ES3_jPKiPS6_PKS6_NS0_5tupleIJPiS6_EEENSE_IJSB_SB_EEENS0_18inequality_wrapperIN6hipcub16HIPCUB_304000_NS8EqualityEEEPlJS6_EEE10hipError_tPvRmT3_T4_T5_T6_T7_T9_mT8_P12ihipStream_tbDpT10_ENKUlT_T0_E_clISt17integral_constantIbLb1EES17_EEDaS12_S13_EUlS12_E_NS1_11comp_targetILNS1_3genE9ELNS1_11target_archE1100ELNS1_3gpuE3ELNS1_3repE0EEENS1_30default_config_static_selectorELNS0_4arch9wavefront6targetE1EEEvT1_.private_seg_size, 0
	.set _ZN7rocprim17ROCPRIM_400000_NS6detail17trampoline_kernelINS0_14default_configENS1_25partition_config_selectorILNS1_17partition_subalgoE8EiNS0_10empty_typeEbEEZZNS1_14partition_implILS5_8ELb0ES3_jPKiPS6_PKS6_NS0_5tupleIJPiS6_EEENSE_IJSB_SB_EEENS0_18inequality_wrapperIN6hipcub16HIPCUB_304000_NS8EqualityEEEPlJS6_EEE10hipError_tPvRmT3_T4_T5_T6_T7_T9_mT8_P12ihipStream_tbDpT10_ENKUlT_T0_E_clISt17integral_constantIbLb1EES17_EEDaS12_S13_EUlS12_E_NS1_11comp_targetILNS1_3genE9ELNS1_11target_archE1100ELNS1_3gpuE3ELNS1_3repE0EEENS1_30default_config_static_selectorELNS0_4arch9wavefront6targetE1EEEvT1_.uses_vcc, 0
	.set _ZN7rocprim17ROCPRIM_400000_NS6detail17trampoline_kernelINS0_14default_configENS1_25partition_config_selectorILNS1_17partition_subalgoE8EiNS0_10empty_typeEbEEZZNS1_14partition_implILS5_8ELb0ES3_jPKiPS6_PKS6_NS0_5tupleIJPiS6_EEENSE_IJSB_SB_EEENS0_18inequality_wrapperIN6hipcub16HIPCUB_304000_NS8EqualityEEEPlJS6_EEE10hipError_tPvRmT3_T4_T5_T6_T7_T9_mT8_P12ihipStream_tbDpT10_ENKUlT_T0_E_clISt17integral_constantIbLb1EES17_EEDaS12_S13_EUlS12_E_NS1_11comp_targetILNS1_3genE9ELNS1_11target_archE1100ELNS1_3gpuE3ELNS1_3repE0EEENS1_30default_config_static_selectorELNS0_4arch9wavefront6targetE1EEEvT1_.uses_flat_scratch, 0
	.set _ZN7rocprim17ROCPRIM_400000_NS6detail17trampoline_kernelINS0_14default_configENS1_25partition_config_selectorILNS1_17partition_subalgoE8EiNS0_10empty_typeEbEEZZNS1_14partition_implILS5_8ELb0ES3_jPKiPS6_PKS6_NS0_5tupleIJPiS6_EEENSE_IJSB_SB_EEENS0_18inequality_wrapperIN6hipcub16HIPCUB_304000_NS8EqualityEEEPlJS6_EEE10hipError_tPvRmT3_T4_T5_T6_T7_T9_mT8_P12ihipStream_tbDpT10_ENKUlT_T0_E_clISt17integral_constantIbLb1EES17_EEDaS12_S13_EUlS12_E_NS1_11comp_targetILNS1_3genE9ELNS1_11target_archE1100ELNS1_3gpuE3ELNS1_3repE0EEENS1_30default_config_static_selectorELNS0_4arch9wavefront6targetE1EEEvT1_.has_dyn_sized_stack, 0
	.set _ZN7rocprim17ROCPRIM_400000_NS6detail17trampoline_kernelINS0_14default_configENS1_25partition_config_selectorILNS1_17partition_subalgoE8EiNS0_10empty_typeEbEEZZNS1_14partition_implILS5_8ELb0ES3_jPKiPS6_PKS6_NS0_5tupleIJPiS6_EEENSE_IJSB_SB_EEENS0_18inequality_wrapperIN6hipcub16HIPCUB_304000_NS8EqualityEEEPlJS6_EEE10hipError_tPvRmT3_T4_T5_T6_T7_T9_mT8_P12ihipStream_tbDpT10_ENKUlT_T0_E_clISt17integral_constantIbLb1EES17_EEDaS12_S13_EUlS12_E_NS1_11comp_targetILNS1_3genE9ELNS1_11target_archE1100ELNS1_3gpuE3ELNS1_3repE0EEENS1_30default_config_static_selectorELNS0_4arch9wavefront6targetE1EEEvT1_.has_recursion, 0
	.set _ZN7rocprim17ROCPRIM_400000_NS6detail17trampoline_kernelINS0_14default_configENS1_25partition_config_selectorILNS1_17partition_subalgoE8EiNS0_10empty_typeEbEEZZNS1_14partition_implILS5_8ELb0ES3_jPKiPS6_PKS6_NS0_5tupleIJPiS6_EEENSE_IJSB_SB_EEENS0_18inequality_wrapperIN6hipcub16HIPCUB_304000_NS8EqualityEEEPlJS6_EEE10hipError_tPvRmT3_T4_T5_T6_T7_T9_mT8_P12ihipStream_tbDpT10_ENKUlT_T0_E_clISt17integral_constantIbLb1EES17_EEDaS12_S13_EUlS12_E_NS1_11comp_targetILNS1_3genE9ELNS1_11target_archE1100ELNS1_3gpuE3ELNS1_3repE0EEENS1_30default_config_static_selectorELNS0_4arch9wavefront6targetE1EEEvT1_.has_indirect_call, 0
	.section	.AMDGPU.csdata,"",@progbits
; Kernel info:
; codeLenInByte = 0
; TotalNumSgprs: 6
; NumVgprs: 0
; NumAgprs: 0
; TotalNumVgprs: 0
; ScratchSize: 0
; MemoryBound: 0
; FloatMode: 240
; IeeeMode: 1
; LDSByteSize: 0 bytes/workgroup (compile time only)
; SGPRBlocks: 0
; VGPRBlocks: 0
; NumSGPRsForWavesPerEU: 6
; NumVGPRsForWavesPerEU: 1
; AccumOffset: 4
; Occupancy: 8
; WaveLimiterHint : 0
; COMPUTE_PGM_RSRC2:SCRATCH_EN: 0
; COMPUTE_PGM_RSRC2:USER_SGPR: 2
; COMPUTE_PGM_RSRC2:TRAP_HANDLER: 0
; COMPUTE_PGM_RSRC2:TGID_X_EN: 1
; COMPUTE_PGM_RSRC2:TGID_Y_EN: 0
; COMPUTE_PGM_RSRC2:TGID_Z_EN: 0
; COMPUTE_PGM_RSRC2:TIDIG_COMP_CNT: 0
; COMPUTE_PGM_RSRC3_GFX90A:ACCUM_OFFSET: 0
; COMPUTE_PGM_RSRC3_GFX90A:TG_SPLIT: 0
	.section	.text._ZN7rocprim17ROCPRIM_400000_NS6detail17trampoline_kernelINS0_14default_configENS1_25partition_config_selectorILNS1_17partition_subalgoE8EiNS0_10empty_typeEbEEZZNS1_14partition_implILS5_8ELb0ES3_jPKiPS6_PKS6_NS0_5tupleIJPiS6_EEENSE_IJSB_SB_EEENS0_18inequality_wrapperIN6hipcub16HIPCUB_304000_NS8EqualityEEEPlJS6_EEE10hipError_tPvRmT3_T4_T5_T6_T7_T9_mT8_P12ihipStream_tbDpT10_ENKUlT_T0_E_clISt17integral_constantIbLb1EES17_EEDaS12_S13_EUlS12_E_NS1_11comp_targetILNS1_3genE8ELNS1_11target_archE1030ELNS1_3gpuE2ELNS1_3repE0EEENS1_30default_config_static_selectorELNS0_4arch9wavefront6targetE1EEEvT1_,"axG",@progbits,_ZN7rocprim17ROCPRIM_400000_NS6detail17trampoline_kernelINS0_14default_configENS1_25partition_config_selectorILNS1_17partition_subalgoE8EiNS0_10empty_typeEbEEZZNS1_14partition_implILS5_8ELb0ES3_jPKiPS6_PKS6_NS0_5tupleIJPiS6_EEENSE_IJSB_SB_EEENS0_18inequality_wrapperIN6hipcub16HIPCUB_304000_NS8EqualityEEEPlJS6_EEE10hipError_tPvRmT3_T4_T5_T6_T7_T9_mT8_P12ihipStream_tbDpT10_ENKUlT_T0_E_clISt17integral_constantIbLb1EES17_EEDaS12_S13_EUlS12_E_NS1_11comp_targetILNS1_3genE8ELNS1_11target_archE1030ELNS1_3gpuE2ELNS1_3repE0EEENS1_30default_config_static_selectorELNS0_4arch9wavefront6targetE1EEEvT1_,comdat
	.protected	_ZN7rocprim17ROCPRIM_400000_NS6detail17trampoline_kernelINS0_14default_configENS1_25partition_config_selectorILNS1_17partition_subalgoE8EiNS0_10empty_typeEbEEZZNS1_14partition_implILS5_8ELb0ES3_jPKiPS6_PKS6_NS0_5tupleIJPiS6_EEENSE_IJSB_SB_EEENS0_18inequality_wrapperIN6hipcub16HIPCUB_304000_NS8EqualityEEEPlJS6_EEE10hipError_tPvRmT3_T4_T5_T6_T7_T9_mT8_P12ihipStream_tbDpT10_ENKUlT_T0_E_clISt17integral_constantIbLb1EES17_EEDaS12_S13_EUlS12_E_NS1_11comp_targetILNS1_3genE8ELNS1_11target_archE1030ELNS1_3gpuE2ELNS1_3repE0EEENS1_30default_config_static_selectorELNS0_4arch9wavefront6targetE1EEEvT1_ ; -- Begin function _ZN7rocprim17ROCPRIM_400000_NS6detail17trampoline_kernelINS0_14default_configENS1_25partition_config_selectorILNS1_17partition_subalgoE8EiNS0_10empty_typeEbEEZZNS1_14partition_implILS5_8ELb0ES3_jPKiPS6_PKS6_NS0_5tupleIJPiS6_EEENSE_IJSB_SB_EEENS0_18inequality_wrapperIN6hipcub16HIPCUB_304000_NS8EqualityEEEPlJS6_EEE10hipError_tPvRmT3_T4_T5_T6_T7_T9_mT8_P12ihipStream_tbDpT10_ENKUlT_T0_E_clISt17integral_constantIbLb1EES17_EEDaS12_S13_EUlS12_E_NS1_11comp_targetILNS1_3genE8ELNS1_11target_archE1030ELNS1_3gpuE2ELNS1_3repE0EEENS1_30default_config_static_selectorELNS0_4arch9wavefront6targetE1EEEvT1_
	.globl	_ZN7rocprim17ROCPRIM_400000_NS6detail17trampoline_kernelINS0_14default_configENS1_25partition_config_selectorILNS1_17partition_subalgoE8EiNS0_10empty_typeEbEEZZNS1_14partition_implILS5_8ELb0ES3_jPKiPS6_PKS6_NS0_5tupleIJPiS6_EEENSE_IJSB_SB_EEENS0_18inequality_wrapperIN6hipcub16HIPCUB_304000_NS8EqualityEEEPlJS6_EEE10hipError_tPvRmT3_T4_T5_T6_T7_T9_mT8_P12ihipStream_tbDpT10_ENKUlT_T0_E_clISt17integral_constantIbLb1EES17_EEDaS12_S13_EUlS12_E_NS1_11comp_targetILNS1_3genE8ELNS1_11target_archE1030ELNS1_3gpuE2ELNS1_3repE0EEENS1_30default_config_static_selectorELNS0_4arch9wavefront6targetE1EEEvT1_
	.p2align	8
	.type	_ZN7rocprim17ROCPRIM_400000_NS6detail17trampoline_kernelINS0_14default_configENS1_25partition_config_selectorILNS1_17partition_subalgoE8EiNS0_10empty_typeEbEEZZNS1_14partition_implILS5_8ELb0ES3_jPKiPS6_PKS6_NS0_5tupleIJPiS6_EEENSE_IJSB_SB_EEENS0_18inequality_wrapperIN6hipcub16HIPCUB_304000_NS8EqualityEEEPlJS6_EEE10hipError_tPvRmT3_T4_T5_T6_T7_T9_mT8_P12ihipStream_tbDpT10_ENKUlT_T0_E_clISt17integral_constantIbLb1EES17_EEDaS12_S13_EUlS12_E_NS1_11comp_targetILNS1_3genE8ELNS1_11target_archE1030ELNS1_3gpuE2ELNS1_3repE0EEENS1_30default_config_static_selectorELNS0_4arch9wavefront6targetE1EEEvT1_,@function
_ZN7rocprim17ROCPRIM_400000_NS6detail17trampoline_kernelINS0_14default_configENS1_25partition_config_selectorILNS1_17partition_subalgoE8EiNS0_10empty_typeEbEEZZNS1_14partition_implILS5_8ELb0ES3_jPKiPS6_PKS6_NS0_5tupleIJPiS6_EEENSE_IJSB_SB_EEENS0_18inequality_wrapperIN6hipcub16HIPCUB_304000_NS8EqualityEEEPlJS6_EEE10hipError_tPvRmT3_T4_T5_T6_T7_T9_mT8_P12ihipStream_tbDpT10_ENKUlT_T0_E_clISt17integral_constantIbLb1EES17_EEDaS12_S13_EUlS12_E_NS1_11comp_targetILNS1_3genE8ELNS1_11target_archE1030ELNS1_3gpuE2ELNS1_3repE0EEENS1_30default_config_static_selectorELNS0_4arch9wavefront6targetE1EEEvT1_: ; @_ZN7rocprim17ROCPRIM_400000_NS6detail17trampoline_kernelINS0_14default_configENS1_25partition_config_selectorILNS1_17partition_subalgoE8EiNS0_10empty_typeEbEEZZNS1_14partition_implILS5_8ELb0ES3_jPKiPS6_PKS6_NS0_5tupleIJPiS6_EEENSE_IJSB_SB_EEENS0_18inequality_wrapperIN6hipcub16HIPCUB_304000_NS8EqualityEEEPlJS6_EEE10hipError_tPvRmT3_T4_T5_T6_T7_T9_mT8_P12ihipStream_tbDpT10_ENKUlT_T0_E_clISt17integral_constantIbLb1EES17_EEDaS12_S13_EUlS12_E_NS1_11comp_targetILNS1_3genE8ELNS1_11target_archE1030ELNS1_3gpuE2ELNS1_3repE0EEENS1_30default_config_static_selectorELNS0_4arch9wavefront6targetE1EEEvT1_
; %bb.0:
	.section	.rodata,"a",@progbits
	.p2align	6, 0x0
	.amdhsa_kernel _ZN7rocprim17ROCPRIM_400000_NS6detail17trampoline_kernelINS0_14default_configENS1_25partition_config_selectorILNS1_17partition_subalgoE8EiNS0_10empty_typeEbEEZZNS1_14partition_implILS5_8ELb0ES3_jPKiPS6_PKS6_NS0_5tupleIJPiS6_EEENSE_IJSB_SB_EEENS0_18inequality_wrapperIN6hipcub16HIPCUB_304000_NS8EqualityEEEPlJS6_EEE10hipError_tPvRmT3_T4_T5_T6_T7_T9_mT8_P12ihipStream_tbDpT10_ENKUlT_T0_E_clISt17integral_constantIbLb1EES17_EEDaS12_S13_EUlS12_E_NS1_11comp_targetILNS1_3genE8ELNS1_11target_archE1030ELNS1_3gpuE2ELNS1_3repE0EEENS1_30default_config_static_selectorELNS0_4arch9wavefront6targetE1EEEvT1_
		.amdhsa_group_segment_fixed_size 0
		.amdhsa_private_segment_fixed_size 0
		.amdhsa_kernarg_size 128
		.amdhsa_user_sgpr_count 2
		.amdhsa_user_sgpr_dispatch_ptr 0
		.amdhsa_user_sgpr_queue_ptr 0
		.amdhsa_user_sgpr_kernarg_segment_ptr 1
		.amdhsa_user_sgpr_dispatch_id 0
		.amdhsa_user_sgpr_kernarg_preload_length 0
		.amdhsa_user_sgpr_kernarg_preload_offset 0
		.amdhsa_user_sgpr_private_segment_size 0
		.amdhsa_uses_dynamic_stack 0
		.amdhsa_enable_private_segment 0
		.amdhsa_system_sgpr_workgroup_id_x 1
		.amdhsa_system_sgpr_workgroup_id_y 0
		.amdhsa_system_sgpr_workgroup_id_z 0
		.amdhsa_system_sgpr_workgroup_info 0
		.amdhsa_system_vgpr_workitem_id 0
		.amdhsa_next_free_vgpr 1
		.amdhsa_next_free_sgpr 0
		.amdhsa_accum_offset 4
		.amdhsa_reserve_vcc 0
		.amdhsa_float_round_mode_32 0
		.amdhsa_float_round_mode_16_64 0
		.amdhsa_float_denorm_mode_32 3
		.amdhsa_float_denorm_mode_16_64 3
		.amdhsa_dx10_clamp 1
		.amdhsa_ieee_mode 1
		.amdhsa_fp16_overflow 0
		.amdhsa_tg_split 0
		.amdhsa_exception_fp_ieee_invalid_op 0
		.amdhsa_exception_fp_denorm_src 0
		.amdhsa_exception_fp_ieee_div_zero 0
		.amdhsa_exception_fp_ieee_overflow 0
		.amdhsa_exception_fp_ieee_underflow 0
		.amdhsa_exception_fp_ieee_inexact 0
		.amdhsa_exception_int_div_zero 0
	.end_amdhsa_kernel
	.section	.text._ZN7rocprim17ROCPRIM_400000_NS6detail17trampoline_kernelINS0_14default_configENS1_25partition_config_selectorILNS1_17partition_subalgoE8EiNS0_10empty_typeEbEEZZNS1_14partition_implILS5_8ELb0ES3_jPKiPS6_PKS6_NS0_5tupleIJPiS6_EEENSE_IJSB_SB_EEENS0_18inequality_wrapperIN6hipcub16HIPCUB_304000_NS8EqualityEEEPlJS6_EEE10hipError_tPvRmT3_T4_T5_T6_T7_T9_mT8_P12ihipStream_tbDpT10_ENKUlT_T0_E_clISt17integral_constantIbLb1EES17_EEDaS12_S13_EUlS12_E_NS1_11comp_targetILNS1_3genE8ELNS1_11target_archE1030ELNS1_3gpuE2ELNS1_3repE0EEENS1_30default_config_static_selectorELNS0_4arch9wavefront6targetE1EEEvT1_,"axG",@progbits,_ZN7rocprim17ROCPRIM_400000_NS6detail17trampoline_kernelINS0_14default_configENS1_25partition_config_selectorILNS1_17partition_subalgoE8EiNS0_10empty_typeEbEEZZNS1_14partition_implILS5_8ELb0ES3_jPKiPS6_PKS6_NS0_5tupleIJPiS6_EEENSE_IJSB_SB_EEENS0_18inequality_wrapperIN6hipcub16HIPCUB_304000_NS8EqualityEEEPlJS6_EEE10hipError_tPvRmT3_T4_T5_T6_T7_T9_mT8_P12ihipStream_tbDpT10_ENKUlT_T0_E_clISt17integral_constantIbLb1EES17_EEDaS12_S13_EUlS12_E_NS1_11comp_targetILNS1_3genE8ELNS1_11target_archE1030ELNS1_3gpuE2ELNS1_3repE0EEENS1_30default_config_static_selectorELNS0_4arch9wavefront6targetE1EEEvT1_,comdat
.Lfunc_end202:
	.size	_ZN7rocprim17ROCPRIM_400000_NS6detail17trampoline_kernelINS0_14default_configENS1_25partition_config_selectorILNS1_17partition_subalgoE8EiNS0_10empty_typeEbEEZZNS1_14partition_implILS5_8ELb0ES3_jPKiPS6_PKS6_NS0_5tupleIJPiS6_EEENSE_IJSB_SB_EEENS0_18inequality_wrapperIN6hipcub16HIPCUB_304000_NS8EqualityEEEPlJS6_EEE10hipError_tPvRmT3_T4_T5_T6_T7_T9_mT8_P12ihipStream_tbDpT10_ENKUlT_T0_E_clISt17integral_constantIbLb1EES17_EEDaS12_S13_EUlS12_E_NS1_11comp_targetILNS1_3genE8ELNS1_11target_archE1030ELNS1_3gpuE2ELNS1_3repE0EEENS1_30default_config_static_selectorELNS0_4arch9wavefront6targetE1EEEvT1_, .Lfunc_end202-_ZN7rocprim17ROCPRIM_400000_NS6detail17trampoline_kernelINS0_14default_configENS1_25partition_config_selectorILNS1_17partition_subalgoE8EiNS0_10empty_typeEbEEZZNS1_14partition_implILS5_8ELb0ES3_jPKiPS6_PKS6_NS0_5tupleIJPiS6_EEENSE_IJSB_SB_EEENS0_18inequality_wrapperIN6hipcub16HIPCUB_304000_NS8EqualityEEEPlJS6_EEE10hipError_tPvRmT3_T4_T5_T6_T7_T9_mT8_P12ihipStream_tbDpT10_ENKUlT_T0_E_clISt17integral_constantIbLb1EES17_EEDaS12_S13_EUlS12_E_NS1_11comp_targetILNS1_3genE8ELNS1_11target_archE1030ELNS1_3gpuE2ELNS1_3repE0EEENS1_30default_config_static_selectorELNS0_4arch9wavefront6targetE1EEEvT1_
                                        ; -- End function
	.set _ZN7rocprim17ROCPRIM_400000_NS6detail17trampoline_kernelINS0_14default_configENS1_25partition_config_selectorILNS1_17partition_subalgoE8EiNS0_10empty_typeEbEEZZNS1_14partition_implILS5_8ELb0ES3_jPKiPS6_PKS6_NS0_5tupleIJPiS6_EEENSE_IJSB_SB_EEENS0_18inequality_wrapperIN6hipcub16HIPCUB_304000_NS8EqualityEEEPlJS6_EEE10hipError_tPvRmT3_T4_T5_T6_T7_T9_mT8_P12ihipStream_tbDpT10_ENKUlT_T0_E_clISt17integral_constantIbLb1EES17_EEDaS12_S13_EUlS12_E_NS1_11comp_targetILNS1_3genE8ELNS1_11target_archE1030ELNS1_3gpuE2ELNS1_3repE0EEENS1_30default_config_static_selectorELNS0_4arch9wavefront6targetE1EEEvT1_.num_vgpr, 0
	.set _ZN7rocprim17ROCPRIM_400000_NS6detail17trampoline_kernelINS0_14default_configENS1_25partition_config_selectorILNS1_17partition_subalgoE8EiNS0_10empty_typeEbEEZZNS1_14partition_implILS5_8ELb0ES3_jPKiPS6_PKS6_NS0_5tupleIJPiS6_EEENSE_IJSB_SB_EEENS0_18inequality_wrapperIN6hipcub16HIPCUB_304000_NS8EqualityEEEPlJS6_EEE10hipError_tPvRmT3_T4_T5_T6_T7_T9_mT8_P12ihipStream_tbDpT10_ENKUlT_T0_E_clISt17integral_constantIbLb1EES17_EEDaS12_S13_EUlS12_E_NS1_11comp_targetILNS1_3genE8ELNS1_11target_archE1030ELNS1_3gpuE2ELNS1_3repE0EEENS1_30default_config_static_selectorELNS0_4arch9wavefront6targetE1EEEvT1_.num_agpr, 0
	.set _ZN7rocprim17ROCPRIM_400000_NS6detail17trampoline_kernelINS0_14default_configENS1_25partition_config_selectorILNS1_17partition_subalgoE8EiNS0_10empty_typeEbEEZZNS1_14partition_implILS5_8ELb0ES3_jPKiPS6_PKS6_NS0_5tupleIJPiS6_EEENSE_IJSB_SB_EEENS0_18inequality_wrapperIN6hipcub16HIPCUB_304000_NS8EqualityEEEPlJS6_EEE10hipError_tPvRmT3_T4_T5_T6_T7_T9_mT8_P12ihipStream_tbDpT10_ENKUlT_T0_E_clISt17integral_constantIbLb1EES17_EEDaS12_S13_EUlS12_E_NS1_11comp_targetILNS1_3genE8ELNS1_11target_archE1030ELNS1_3gpuE2ELNS1_3repE0EEENS1_30default_config_static_selectorELNS0_4arch9wavefront6targetE1EEEvT1_.numbered_sgpr, 0
	.set _ZN7rocprim17ROCPRIM_400000_NS6detail17trampoline_kernelINS0_14default_configENS1_25partition_config_selectorILNS1_17partition_subalgoE8EiNS0_10empty_typeEbEEZZNS1_14partition_implILS5_8ELb0ES3_jPKiPS6_PKS6_NS0_5tupleIJPiS6_EEENSE_IJSB_SB_EEENS0_18inequality_wrapperIN6hipcub16HIPCUB_304000_NS8EqualityEEEPlJS6_EEE10hipError_tPvRmT3_T4_T5_T6_T7_T9_mT8_P12ihipStream_tbDpT10_ENKUlT_T0_E_clISt17integral_constantIbLb1EES17_EEDaS12_S13_EUlS12_E_NS1_11comp_targetILNS1_3genE8ELNS1_11target_archE1030ELNS1_3gpuE2ELNS1_3repE0EEENS1_30default_config_static_selectorELNS0_4arch9wavefront6targetE1EEEvT1_.num_named_barrier, 0
	.set _ZN7rocprim17ROCPRIM_400000_NS6detail17trampoline_kernelINS0_14default_configENS1_25partition_config_selectorILNS1_17partition_subalgoE8EiNS0_10empty_typeEbEEZZNS1_14partition_implILS5_8ELb0ES3_jPKiPS6_PKS6_NS0_5tupleIJPiS6_EEENSE_IJSB_SB_EEENS0_18inequality_wrapperIN6hipcub16HIPCUB_304000_NS8EqualityEEEPlJS6_EEE10hipError_tPvRmT3_T4_T5_T6_T7_T9_mT8_P12ihipStream_tbDpT10_ENKUlT_T0_E_clISt17integral_constantIbLb1EES17_EEDaS12_S13_EUlS12_E_NS1_11comp_targetILNS1_3genE8ELNS1_11target_archE1030ELNS1_3gpuE2ELNS1_3repE0EEENS1_30default_config_static_selectorELNS0_4arch9wavefront6targetE1EEEvT1_.private_seg_size, 0
	.set _ZN7rocprim17ROCPRIM_400000_NS6detail17trampoline_kernelINS0_14default_configENS1_25partition_config_selectorILNS1_17partition_subalgoE8EiNS0_10empty_typeEbEEZZNS1_14partition_implILS5_8ELb0ES3_jPKiPS6_PKS6_NS0_5tupleIJPiS6_EEENSE_IJSB_SB_EEENS0_18inequality_wrapperIN6hipcub16HIPCUB_304000_NS8EqualityEEEPlJS6_EEE10hipError_tPvRmT3_T4_T5_T6_T7_T9_mT8_P12ihipStream_tbDpT10_ENKUlT_T0_E_clISt17integral_constantIbLb1EES17_EEDaS12_S13_EUlS12_E_NS1_11comp_targetILNS1_3genE8ELNS1_11target_archE1030ELNS1_3gpuE2ELNS1_3repE0EEENS1_30default_config_static_selectorELNS0_4arch9wavefront6targetE1EEEvT1_.uses_vcc, 0
	.set _ZN7rocprim17ROCPRIM_400000_NS6detail17trampoline_kernelINS0_14default_configENS1_25partition_config_selectorILNS1_17partition_subalgoE8EiNS0_10empty_typeEbEEZZNS1_14partition_implILS5_8ELb0ES3_jPKiPS6_PKS6_NS0_5tupleIJPiS6_EEENSE_IJSB_SB_EEENS0_18inequality_wrapperIN6hipcub16HIPCUB_304000_NS8EqualityEEEPlJS6_EEE10hipError_tPvRmT3_T4_T5_T6_T7_T9_mT8_P12ihipStream_tbDpT10_ENKUlT_T0_E_clISt17integral_constantIbLb1EES17_EEDaS12_S13_EUlS12_E_NS1_11comp_targetILNS1_3genE8ELNS1_11target_archE1030ELNS1_3gpuE2ELNS1_3repE0EEENS1_30default_config_static_selectorELNS0_4arch9wavefront6targetE1EEEvT1_.uses_flat_scratch, 0
	.set _ZN7rocprim17ROCPRIM_400000_NS6detail17trampoline_kernelINS0_14default_configENS1_25partition_config_selectorILNS1_17partition_subalgoE8EiNS0_10empty_typeEbEEZZNS1_14partition_implILS5_8ELb0ES3_jPKiPS6_PKS6_NS0_5tupleIJPiS6_EEENSE_IJSB_SB_EEENS0_18inequality_wrapperIN6hipcub16HIPCUB_304000_NS8EqualityEEEPlJS6_EEE10hipError_tPvRmT3_T4_T5_T6_T7_T9_mT8_P12ihipStream_tbDpT10_ENKUlT_T0_E_clISt17integral_constantIbLb1EES17_EEDaS12_S13_EUlS12_E_NS1_11comp_targetILNS1_3genE8ELNS1_11target_archE1030ELNS1_3gpuE2ELNS1_3repE0EEENS1_30default_config_static_selectorELNS0_4arch9wavefront6targetE1EEEvT1_.has_dyn_sized_stack, 0
	.set _ZN7rocprim17ROCPRIM_400000_NS6detail17trampoline_kernelINS0_14default_configENS1_25partition_config_selectorILNS1_17partition_subalgoE8EiNS0_10empty_typeEbEEZZNS1_14partition_implILS5_8ELb0ES3_jPKiPS6_PKS6_NS0_5tupleIJPiS6_EEENSE_IJSB_SB_EEENS0_18inequality_wrapperIN6hipcub16HIPCUB_304000_NS8EqualityEEEPlJS6_EEE10hipError_tPvRmT3_T4_T5_T6_T7_T9_mT8_P12ihipStream_tbDpT10_ENKUlT_T0_E_clISt17integral_constantIbLb1EES17_EEDaS12_S13_EUlS12_E_NS1_11comp_targetILNS1_3genE8ELNS1_11target_archE1030ELNS1_3gpuE2ELNS1_3repE0EEENS1_30default_config_static_selectorELNS0_4arch9wavefront6targetE1EEEvT1_.has_recursion, 0
	.set _ZN7rocprim17ROCPRIM_400000_NS6detail17trampoline_kernelINS0_14default_configENS1_25partition_config_selectorILNS1_17partition_subalgoE8EiNS0_10empty_typeEbEEZZNS1_14partition_implILS5_8ELb0ES3_jPKiPS6_PKS6_NS0_5tupleIJPiS6_EEENSE_IJSB_SB_EEENS0_18inequality_wrapperIN6hipcub16HIPCUB_304000_NS8EqualityEEEPlJS6_EEE10hipError_tPvRmT3_T4_T5_T6_T7_T9_mT8_P12ihipStream_tbDpT10_ENKUlT_T0_E_clISt17integral_constantIbLb1EES17_EEDaS12_S13_EUlS12_E_NS1_11comp_targetILNS1_3genE8ELNS1_11target_archE1030ELNS1_3gpuE2ELNS1_3repE0EEENS1_30default_config_static_selectorELNS0_4arch9wavefront6targetE1EEEvT1_.has_indirect_call, 0
	.section	.AMDGPU.csdata,"",@progbits
; Kernel info:
; codeLenInByte = 0
; TotalNumSgprs: 6
; NumVgprs: 0
; NumAgprs: 0
; TotalNumVgprs: 0
; ScratchSize: 0
; MemoryBound: 0
; FloatMode: 240
; IeeeMode: 1
; LDSByteSize: 0 bytes/workgroup (compile time only)
; SGPRBlocks: 0
; VGPRBlocks: 0
; NumSGPRsForWavesPerEU: 6
; NumVGPRsForWavesPerEU: 1
; AccumOffset: 4
; Occupancy: 8
; WaveLimiterHint : 0
; COMPUTE_PGM_RSRC2:SCRATCH_EN: 0
; COMPUTE_PGM_RSRC2:USER_SGPR: 2
; COMPUTE_PGM_RSRC2:TRAP_HANDLER: 0
; COMPUTE_PGM_RSRC2:TGID_X_EN: 1
; COMPUTE_PGM_RSRC2:TGID_Y_EN: 0
; COMPUTE_PGM_RSRC2:TGID_Z_EN: 0
; COMPUTE_PGM_RSRC2:TIDIG_COMP_CNT: 0
; COMPUTE_PGM_RSRC3_GFX90A:ACCUM_OFFSET: 0
; COMPUTE_PGM_RSRC3_GFX90A:TG_SPLIT: 0
	.section	.text._ZN7rocprim17ROCPRIM_400000_NS6detail31init_lookback_scan_state_kernelINS1_19lookback_scan_stateIjLb1ELb1EEENS1_16block_id_wrapperIjLb0EEEEEvT_jT0_jPNS7_10value_typeE,"axG",@progbits,_ZN7rocprim17ROCPRIM_400000_NS6detail31init_lookback_scan_state_kernelINS1_19lookback_scan_stateIjLb1ELb1EEENS1_16block_id_wrapperIjLb0EEEEEvT_jT0_jPNS7_10value_typeE,comdat
	.protected	_ZN7rocprim17ROCPRIM_400000_NS6detail31init_lookback_scan_state_kernelINS1_19lookback_scan_stateIjLb1ELb1EEENS1_16block_id_wrapperIjLb0EEEEEvT_jT0_jPNS7_10value_typeE ; -- Begin function _ZN7rocprim17ROCPRIM_400000_NS6detail31init_lookback_scan_state_kernelINS1_19lookback_scan_stateIjLb1ELb1EEENS1_16block_id_wrapperIjLb0EEEEEvT_jT0_jPNS7_10value_typeE
	.globl	_ZN7rocprim17ROCPRIM_400000_NS6detail31init_lookback_scan_state_kernelINS1_19lookback_scan_stateIjLb1ELb1EEENS1_16block_id_wrapperIjLb0EEEEEvT_jT0_jPNS7_10value_typeE
	.p2align	8
	.type	_ZN7rocprim17ROCPRIM_400000_NS6detail31init_lookback_scan_state_kernelINS1_19lookback_scan_stateIjLb1ELb1EEENS1_16block_id_wrapperIjLb0EEEEEvT_jT0_jPNS7_10value_typeE,@function
_ZN7rocprim17ROCPRIM_400000_NS6detail31init_lookback_scan_state_kernelINS1_19lookback_scan_stateIjLb1ELb1EEENS1_16block_id_wrapperIjLb0EEEEEvT_jT0_jPNS7_10value_typeE: ; @_ZN7rocprim17ROCPRIM_400000_NS6detail31init_lookback_scan_state_kernelINS1_19lookback_scan_stateIjLb1ELb1EEENS1_16block_id_wrapperIjLb0EEEEEvT_jT0_jPNS7_10value_typeE
; %bb.0:
	s_load_dword s3, s[0:1], 0x2c
	s_load_dwordx2 s[6:7], s[0:1], 0x18
	s_load_dwordx2 s[4:5], s[0:1], 0x0
	s_load_dword s8, s[0:1], 0x8
	s_waitcnt lgkmcnt(0)
	s_and_b32 s3, s3, 0xffff
	s_mul_i32 s2, s2, s3
	s_cmp_eq_u64 s[6:7], 0
	v_add_u32_e32 v0, s2, v0
	s_cbranch_scc1 .LBB203_9
; %bb.1:
	s_load_dword s2, s[0:1], 0x10
	s_mov_b32 s3, 0
	s_waitcnt lgkmcnt(0)
	s_cmp_lt_u32 s2, s8
	s_cselect_b32 s0, s2, 0
	v_cmp_eq_u32_e32 vcc, s0, v0
	s_and_saveexec_b64 s[0:1], vcc
	s_cbranch_execz .LBB203_8
; %bb.2:
	s_add_i32 s2, s2, 64
	s_lshl_b64 s[2:3], s[2:3], 3
	s_add_u32 s2, s4, s2
	s_addc_u32 s3, s5, s3
	v_mov_b32_e32 v2, 0
	global_load_dwordx2 v[4:5], v2, s[2:3] sc1
	s_waitcnt vmcnt(0)
	v_and_b32_e32 v3, 0xff, v5
	v_cmp_ne_u64_e32 vcc, 0, v[2:3]
	s_cbranch_vccnz .LBB203_7
; %bb.3:
	s_mov_b32 s9, 1
.LBB203_4:                              ; =>This Loop Header: Depth=1
                                        ;     Child Loop BB203_5 Depth 2
	s_mov_b32 s10, s9
.LBB203_5:                              ;   Parent Loop BB203_4 Depth=1
                                        ; =>  This Inner Loop Header: Depth=2
	s_add_i32 s10, s10, -1
	s_cmp_eq_u32 s10, 0
	s_sleep 1
	s_cbranch_scc0 .LBB203_5
; %bb.6:                                ;   in Loop: Header=BB203_4 Depth=1
	global_load_dwordx2 v[4:5], v2, s[2:3] sc1
	s_cmp_lt_u32 s9, 32
	s_cselect_b64 s[10:11], -1, 0
	s_cmp_lg_u64 s[10:11], 0
	s_addc_u32 s9, s9, 0
	s_waitcnt vmcnt(0)
	v_and_b32_e32 v3, 0xff, v5
	v_cmp_ne_u64_e32 vcc, 0, v[2:3]
	s_cbranch_vccz .LBB203_4
.LBB203_7:
	v_mov_b32_e32 v1, 0
	global_store_dword v1, v4, s[6:7]
.LBB203_8:
	s_or_b64 exec, exec, s[0:1]
.LBB203_9:
	v_cmp_gt_u32_e32 vcc, s8, v0
	s_and_saveexec_b64 s[0:1], vcc
	s_cbranch_execnz .LBB203_12
; %bb.10:
	s_or_b64 exec, exec, s[0:1]
	v_cmp_gt_u32_e32 vcc, 64, v0
	s_and_saveexec_b64 s[0:1], vcc
	s_cbranch_execnz .LBB203_13
.LBB203_11:
	s_endpgm
.LBB203_12:
	v_add_u32_e32 v2, 64, v0
	v_mov_b32_e32 v3, 0
	v_lshl_add_u64 v[4:5], v[2:3], 3, s[4:5]
	v_mov_b32_e32 v2, v3
	global_store_dwordx2 v[4:5], v[2:3], off
	s_or_b64 exec, exec, s[0:1]
	v_cmp_gt_u32_e32 vcc, 64, v0
	s_and_saveexec_b64 s[0:1], vcc
	s_cbranch_execz .LBB203_11
.LBB203_13:
	v_mov_b32_e32 v1, 0
	v_lshl_add_u64 v[2:3], v[0:1], 3, s[4:5]
	v_mov_b32_e32 v5, 0xff
	v_mov_b32_e32 v4, v1
	global_store_dwordx2 v[2:3], v[4:5], off
	s_endpgm
	.section	.rodata,"a",@progbits
	.p2align	6, 0x0
	.amdhsa_kernel _ZN7rocprim17ROCPRIM_400000_NS6detail31init_lookback_scan_state_kernelINS1_19lookback_scan_stateIjLb1ELb1EEENS1_16block_id_wrapperIjLb0EEEEEvT_jT0_jPNS7_10value_typeE
		.amdhsa_group_segment_fixed_size 0
		.amdhsa_private_segment_fixed_size 0
		.amdhsa_kernarg_size 288
		.amdhsa_user_sgpr_count 2
		.amdhsa_user_sgpr_dispatch_ptr 0
		.amdhsa_user_sgpr_queue_ptr 0
		.amdhsa_user_sgpr_kernarg_segment_ptr 1
		.amdhsa_user_sgpr_dispatch_id 0
		.amdhsa_user_sgpr_kernarg_preload_length 0
		.amdhsa_user_sgpr_kernarg_preload_offset 0
		.amdhsa_user_sgpr_private_segment_size 0
		.amdhsa_uses_dynamic_stack 0
		.amdhsa_enable_private_segment 0
		.amdhsa_system_sgpr_workgroup_id_x 1
		.amdhsa_system_sgpr_workgroup_id_y 0
		.amdhsa_system_sgpr_workgroup_id_z 0
		.amdhsa_system_sgpr_workgroup_info 0
		.amdhsa_system_vgpr_workitem_id 0
		.amdhsa_next_free_vgpr 6
		.amdhsa_next_free_sgpr 12
		.amdhsa_accum_offset 8
		.amdhsa_reserve_vcc 1
		.amdhsa_float_round_mode_32 0
		.amdhsa_float_round_mode_16_64 0
		.amdhsa_float_denorm_mode_32 3
		.amdhsa_float_denorm_mode_16_64 3
		.amdhsa_dx10_clamp 1
		.amdhsa_ieee_mode 1
		.amdhsa_fp16_overflow 0
		.amdhsa_tg_split 0
		.amdhsa_exception_fp_ieee_invalid_op 0
		.amdhsa_exception_fp_denorm_src 0
		.amdhsa_exception_fp_ieee_div_zero 0
		.amdhsa_exception_fp_ieee_overflow 0
		.amdhsa_exception_fp_ieee_underflow 0
		.amdhsa_exception_fp_ieee_inexact 0
		.amdhsa_exception_int_div_zero 0
	.end_amdhsa_kernel
	.section	.text._ZN7rocprim17ROCPRIM_400000_NS6detail31init_lookback_scan_state_kernelINS1_19lookback_scan_stateIjLb1ELb1EEENS1_16block_id_wrapperIjLb0EEEEEvT_jT0_jPNS7_10value_typeE,"axG",@progbits,_ZN7rocprim17ROCPRIM_400000_NS6detail31init_lookback_scan_state_kernelINS1_19lookback_scan_stateIjLb1ELb1EEENS1_16block_id_wrapperIjLb0EEEEEvT_jT0_jPNS7_10value_typeE,comdat
.Lfunc_end203:
	.size	_ZN7rocprim17ROCPRIM_400000_NS6detail31init_lookback_scan_state_kernelINS1_19lookback_scan_stateIjLb1ELb1EEENS1_16block_id_wrapperIjLb0EEEEEvT_jT0_jPNS7_10value_typeE, .Lfunc_end203-_ZN7rocprim17ROCPRIM_400000_NS6detail31init_lookback_scan_state_kernelINS1_19lookback_scan_stateIjLb1ELb1EEENS1_16block_id_wrapperIjLb0EEEEEvT_jT0_jPNS7_10value_typeE
                                        ; -- End function
	.set _ZN7rocprim17ROCPRIM_400000_NS6detail31init_lookback_scan_state_kernelINS1_19lookback_scan_stateIjLb1ELb1EEENS1_16block_id_wrapperIjLb0EEEEEvT_jT0_jPNS7_10value_typeE.num_vgpr, 6
	.set _ZN7rocprim17ROCPRIM_400000_NS6detail31init_lookback_scan_state_kernelINS1_19lookback_scan_stateIjLb1ELb1EEENS1_16block_id_wrapperIjLb0EEEEEvT_jT0_jPNS7_10value_typeE.num_agpr, 0
	.set _ZN7rocprim17ROCPRIM_400000_NS6detail31init_lookback_scan_state_kernelINS1_19lookback_scan_stateIjLb1ELb1EEENS1_16block_id_wrapperIjLb0EEEEEvT_jT0_jPNS7_10value_typeE.numbered_sgpr, 12
	.set _ZN7rocprim17ROCPRIM_400000_NS6detail31init_lookback_scan_state_kernelINS1_19lookback_scan_stateIjLb1ELb1EEENS1_16block_id_wrapperIjLb0EEEEEvT_jT0_jPNS7_10value_typeE.num_named_barrier, 0
	.set _ZN7rocprim17ROCPRIM_400000_NS6detail31init_lookback_scan_state_kernelINS1_19lookback_scan_stateIjLb1ELb1EEENS1_16block_id_wrapperIjLb0EEEEEvT_jT0_jPNS7_10value_typeE.private_seg_size, 0
	.set _ZN7rocprim17ROCPRIM_400000_NS6detail31init_lookback_scan_state_kernelINS1_19lookback_scan_stateIjLb1ELb1EEENS1_16block_id_wrapperIjLb0EEEEEvT_jT0_jPNS7_10value_typeE.uses_vcc, 1
	.set _ZN7rocprim17ROCPRIM_400000_NS6detail31init_lookback_scan_state_kernelINS1_19lookback_scan_stateIjLb1ELb1EEENS1_16block_id_wrapperIjLb0EEEEEvT_jT0_jPNS7_10value_typeE.uses_flat_scratch, 0
	.set _ZN7rocprim17ROCPRIM_400000_NS6detail31init_lookback_scan_state_kernelINS1_19lookback_scan_stateIjLb1ELb1EEENS1_16block_id_wrapperIjLb0EEEEEvT_jT0_jPNS7_10value_typeE.has_dyn_sized_stack, 0
	.set _ZN7rocprim17ROCPRIM_400000_NS6detail31init_lookback_scan_state_kernelINS1_19lookback_scan_stateIjLb1ELb1EEENS1_16block_id_wrapperIjLb0EEEEEvT_jT0_jPNS7_10value_typeE.has_recursion, 0
	.set _ZN7rocprim17ROCPRIM_400000_NS6detail31init_lookback_scan_state_kernelINS1_19lookback_scan_stateIjLb1ELb1EEENS1_16block_id_wrapperIjLb0EEEEEvT_jT0_jPNS7_10value_typeE.has_indirect_call, 0
	.section	.AMDGPU.csdata,"",@progbits
; Kernel info:
; codeLenInByte = 340
; TotalNumSgprs: 18
; NumVgprs: 6
; NumAgprs: 0
; TotalNumVgprs: 6
; ScratchSize: 0
; MemoryBound: 0
; FloatMode: 240
; IeeeMode: 1
; LDSByteSize: 0 bytes/workgroup (compile time only)
; SGPRBlocks: 2
; VGPRBlocks: 0
; NumSGPRsForWavesPerEU: 18
; NumVGPRsForWavesPerEU: 6
; AccumOffset: 8
; Occupancy: 8
; WaveLimiterHint : 0
; COMPUTE_PGM_RSRC2:SCRATCH_EN: 0
; COMPUTE_PGM_RSRC2:USER_SGPR: 2
; COMPUTE_PGM_RSRC2:TRAP_HANDLER: 0
; COMPUTE_PGM_RSRC2:TGID_X_EN: 1
; COMPUTE_PGM_RSRC2:TGID_Y_EN: 0
; COMPUTE_PGM_RSRC2:TGID_Z_EN: 0
; COMPUTE_PGM_RSRC2:TIDIG_COMP_CNT: 0
; COMPUTE_PGM_RSRC3_GFX90A:ACCUM_OFFSET: 1
; COMPUTE_PGM_RSRC3_GFX90A:TG_SPLIT: 0
	.section	.text._ZN7rocprim17ROCPRIM_400000_NS6detail17trampoline_kernelINS0_14default_configENS1_25partition_config_selectorILNS1_17partition_subalgoE8EiNS0_10empty_typeEbEEZZNS1_14partition_implILS5_8ELb0ES3_jPKiPS6_PKS6_NS0_5tupleIJPiS6_EEENSE_IJSB_SB_EEENS0_18inequality_wrapperIN6hipcub16HIPCUB_304000_NS8EqualityEEEPlJS6_EEE10hipError_tPvRmT3_T4_T5_T6_T7_T9_mT8_P12ihipStream_tbDpT10_ENKUlT_T0_E_clISt17integral_constantIbLb1EES16_IbLb0EEEEDaS12_S13_EUlS12_E_NS1_11comp_targetILNS1_3genE0ELNS1_11target_archE4294967295ELNS1_3gpuE0ELNS1_3repE0EEENS1_30default_config_static_selectorELNS0_4arch9wavefront6targetE1EEEvT1_,"axG",@progbits,_ZN7rocprim17ROCPRIM_400000_NS6detail17trampoline_kernelINS0_14default_configENS1_25partition_config_selectorILNS1_17partition_subalgoE8EiNS0_10empty_typeEbEEZZNS1_14partition_implILS5_8ELb0ES3_jPKiPS6_PKS6_NS0_5tupleIJPiS6_EEENSE_IJSB_SB_EEENS0_18inequality_wrapperIN6hipcub16HIPCUB_304000_NS8EqualityEEEPlJS6_EEE10hipError_tPvRmT3_T4_T5_T6_T7_T9_mT8_P12ihipStream_tbDpT10_ENKUlT_T0_E_clISt17integral_constantIbLb1EES16_IbLb0EEEEDaS12_S13_EUlS12_E_NS1_11comp_targetILNS1_3genE0ELNS1_11target_archE4294967295ELNS1_3gpuE0ELNS1_3repE0EEENS1_30default_config_static_selectorELNS0_4arch9wavefront6targetE1EEEvT1_,comdat
	.protected	_ZN7rocprim17ROCPRIM_400000_NS6detail17trampoline_kernelINS0_14default_configENS1_25partition_config_selectorILNS1_17partition_subalgoE8EiNS0_10empty_typeEbEEZZNS1_14partition_implILS5_8ELb0ES3_jPKiPS6_PKS6_NS0_5tupleIJPiS6_EEENSE_IJSB_SB_EEENS0_18inequality_wrapperIN6hipcub16HIPCUB_304000_NS8EqualityEEEPlJS6_EEE10hipError_tPvRmT3_T4_T5_T6_T7_T9_mT8_P12ihipStream_tbDpT10_ENKUlT_T0_E_clISt17integral_constantIbLb1EES16_IbLb0EEEEDaS12_S13_EUlS12_E_NS1_11comp_targetILNS1_3genE0ELNS1_11target_archE4294967295ELNS1_3gpuE0ELNS1_3repE0EEENS1_30default_config_static_selectorELNS0_4arch9wavefront6targetE1EEEvT1_ ; -- Begin function _ZN7rocprim17ROCPRIM_400000_NS6detail17trampoline_kernelINS0_14default_configENS1_25partition_config_selectorILNS1_17partition_subalgoE8EiNS0_10empty_typeEbEEZZNS1_14partition_implILS5_8ELb0ES3_jPKiPS6_PKS6_NS0_5tupleIJPiS6_EEENSE_IJSB_SB_EEENS0_18inequality_wrapperIN6hipcub16HIPCUB_304000_NS8EqualityEEEPlJS6_EEE10hipError_tPvRmT3_T4_T5_T6_T7_T9_mT8_P12ihipStream_tbDpT10_ENKUlT_T0_E_clISt17integral_constantIbLb1EES16_IbLb0EEEEDaS12_S13_EUlS12_E_NS1_11comp_targetILNS1_3genE0ELNS1_11target_archE4294967295ELNS1_3gpuE0ELNS1_3repE0EEENS1_30default_config_static_selectorELNS0_4arch9wavefront6targetE1EEEvT1_
	.globl	_ZN7rocprim17ROCPRIM_400000_NS6detail17trampoline_kernelINS0_14default_configENS1_25partition_config_selectorILNS1_17partition_subalgoE8EiNS0_10empty_typeEbEEZZNS1_14partition_implILS5_8ELb0ES3_jPKiPS6_PKS6_NS0_5tupleIJPiS6_EEENSE_IJSB_SB_EEENS0_18inequality_wrapperIN6hipcub16HIPCUB_304000_NS8EqualityEEEPlJS6_EEE10hipError_tPvRmT3_T4_T5_T6_T7_T9_mT8_P12ihipStream_tbDpT10_ENKUlT_T0_E_clISt17integral_constantIbLb1EES16_IbLb0EEEEDaS12_S13_EUlS12_E_NS1_11comp_targetILNS1_3genE0ELNS1_11target_archE4294967295ELNS1_3gpuE0ELNS1_3repE0EEENS1_30default_config_static_selectorELNS0_4arch9wavefront6targetE1EEEvT1_
	.p2align	8
	.type	_ZN7rocprim17ROCPRIM_400000_NS6detail17trampoline_kernelINS0_14default_configENS1_25partition_config_selectorILNS1_17partition_subalgoE8EiNS0_10empty_typeEbEEZZNS1_14partition_implILS5_8ELb0ES3_jPKiPS6_PKS6_NS0_5tupleIJPiS6_EEENSE_IJSB_SB_EEENS0_18inequality_wrapperIN6hipcub16HIPCUB_304000_NS8EqualityEEEPlJS6_EEE10hipError_tPvRmT3_T4_T5_T6_T7_T9_mT8_P12ihipStream_tbDpT10_ENKUlT_T0_E_clISt17integral_constantIbLb1EES16_IbLb0EEEEDaS12_S13_EUlS12_E_NS1_11comp_targetILNS1_3genE0ELNS1_11target_archE4294967295ELNS1_3gpuE0ELNS1_3repE0EEENS1_30default_config_static_selectorELNS0_4arch9wavefront6targetE1EEEvT1_,@function
_ZN7rocprim17ROCPRIM_400000_NS6detail17trampoline_kernelINS0_14default_configENS1_25partition_config_selectorILNS1_17partition_subalgoE8EiNS0_10empty_typeEbEEZZNS1_14partition_implILS5_8ELb0ES3_jPKiPS6_PKS6_NS0_5tupleIJPiS6_EEENSE_IJSB_SB_EEENS0_18inequality_wrapperIN6hipcub16HIPCUB_304000_NS8EqualityEEEPlJS6_EEE10hipError_tPvRmT3_T4_T5_T6_T7_T9_mT8_P12ihipStream_tbDpT10_ENKUlT_T0_E_clISt17integral_constantIbLb1EES16_IbLb0EEEEDaS12_S13_EUlS12_E_NS1_11comp_targetILNS1_3genE0ELNS1_11target_archE4294967295ELNS1_3gpuE0ELNS1_3repE0EEENS1_30default_config_static_selectorELNS0_4arch9wavefront6targetE1EEEvT1_: ; @_ZN7rocprim17ROCPRIM_400000_NS6detail17trampoline_kernelINS0_14default_configENS1_25partition_config_selectorILNS1_17partition_subalgoE8EiNS0_10empty_typeEbEEZZNS1_14partition_implILS5_8ELb0ES3_jPKiPS6_PKS6_NS0_5tupleIJPiS6_EEENSE_IJSB_SB_EEENS0_18inequality_wrapperIN6hipcub16HIPCUB_304000_NS8EqualityEEEPlJS6_EEE10hipError_tPvRmT3_T4_T5_T6_T7_T9_mT8_P12ihipStream_tbDpT10_ENKUlT_T0_E_clISt17integral_constantIbLb1EES16_IbLb0EEEEDaS12_S13_EUlS12_E_NS1_11comp_targetILNS1_3genE0ELNS1_11target_archE4294967295ELNS1_3gpuE0ELNS1_3repE0EEENS1_30default_config_static_selectorELNS0_4arch9wavefront6targetE1EEEvT1_
; %bb.0:
	s_endpgm
	.section	.rodata,"a",@progbits
	.p2align	6, 0x0
	.amdhsa_kernel _ZN7rocprim17ROCPRIM_400000_NS6detail17trampoline_kernelINS0_14default_configENS1_25partition_config_selectorILNS1_17partition_subalgoE8EiNS0_10empty_typeEbEEZZNS1_14partition_implILS5_8ELb0ES3_jPKiPS6_PKS6_NS0_5tupleIJPiS6_EEENSE_IJSB_SB_EEENS0_18inequality_wrapperIN6hipcub16HIPCUB_304000_NS8EqualityEEEPlJS6_EEE10hipError_tPvRmT3_T4_T5_T6_T7_T9_mT8_P12ihipStream_tbDpT10_ENKUlT_T0_E_clISt17integral_constantIbLb1EES16_IbLb0EEEEDaS12_S13_EUlS12_E_NS1_11comp_targetILNS1_3genE0ELNS1_11target_archE4294967295ELNS1_3gpuE0ELNS1_3repE0EEENS1_30default_config_static_selectorELNS0_4arch9wavefront6targetE1EEEvT1_
		.amdhsa_group_segment_fixed_size 0
		.amdhsa_private_segment_fixed_size 0
		.amdhsa_kernarg_size 112
		.amdhsa_user_sgpr_count 2
		.amdhsa_user_sgpr_dispatch_ptr 0
		.amdhsa_user_sgpr_queue_ptr 0
		.amdhsa_user_sgpr_kernarg_segment_ptr 1
		.amdhsa_user_sgpr_dispatch_id 0
		.amdhsa_user_sgpr_kernarg_preload_length 0
		.amdhsa_user_sgpr_kernarg_preload_offset 0
		.amdhsa_user_sgpr_private_segment_size 0
		.amdhsa_uses_dynamic_stack 0
		.amdhsa_enable_private_segment 0
		.amdhsa_system_sgpr_workgroup_id_x 1
		.amdhsa_system_sgpr_workgroup_id_y 0
		.amdhsa_system_sgpr_workgroup_id_z 0
		.amdhsa_system_sgpr_workgroup_info 0
		.amdhsa_system_vgpr_workitem_id 0
		.amdhsa_next_free_vgpr 1
		.amdhsa_next_free_sgpr 0
		.amdhsa_accum_offset 4
		.amdhsa_reserve_vcc 0
		.amdhsa_float_round_mode_32 0
		.amdhsa_float_round_mode_16_64 0
		.amdhsa_float_denorm_mode_32 3
		.amdhsa_float_denorm_mode_16_64 3
		.amdhsa_dx10_clamp 1
		.amdhsa_ieee_mode 1
		.amdhsa_fp16_overflow 0
		.amdhsa_tg_split 0
		.amdhsa_exception_fp_ieee_invalid_op 0
		.amdhsa_exception_fp_denorm_src 0
		.amdhsa_exception_fp_ieee_div_zero 0
		.amdhsa_exception_fp_ieee_overflow 0
		.amdhsa_exception_fp_ieee_underflow 0
		.amdhsa_exception_fp_ieee_inexact 0
		.amdhsa_exception_int_div_zero 0
	.end_amdhsa_kernel
	.section	.text._ZN7rocprim17ROCPRIM_400000_NS6detail17trampoline_kernelINS0_14default_configENS1_25partition_config_selectorILNS1_17partition_subalgoE8EiNS0_10empty_typeEbEEZZNS1_14partition_implILS5_8ELb0ES3_jPKiPS6_PKS6_NS0_5tupleIJPiS6_EEENSE_IJSB_SB_EEENS0_18inequality_wrapperIN6hipcub16HIPCUB_304000_NS8EqualityEEEPlJS6_EEE10hipError_tPvRmT3_T4_T5_T6_T7_T9_mT8_P12ihipStream_tbDpT10_ENKUlT_T0_E_clISt17integral_constantIbLb1EES16_IbLb0EEEEDaS12_S13_EUlS12_E_NS1_11comp_targetILNS1_3genE0ELNS1_11target_archE4294967295ELNS1_3gpuE0ELNS1_3repE0EEENS1_30default_config_static_selectorELNS0_4arch9wavefront6targetE1EEEvT1_,"axG",@progbits,_ZN7rocprim17ROCPRIM_400000_NS6detail17trampoline_kernelINS0_14default_configENS1_25partition_config_selectorILNS1_17partition_subalgoE8EiNS0_10empty_typeEbEEZZNS1_14partition_implILS5_8ELb0ES3_jPKiPS6_PKS6_NS0_5tupleIJPiS6_EEENSE_IJSB_SB_EEENS0_18inequality_wrapperIN6hipcub16HIPCUB_304000_NS8EqualityEEEPlJS6_EEE10hipError_tPvRmT3_T4_T5_T6_T7_T9_mT8_P12ihipStream_tbDpT10_ENKUlT_T0_E_clISt17integral_constantIbLb1EES16_IbLb0EEEEDaS12_S13_EUlS12_E_NS1_11comp_targetILNS1_3genE0ELNS1_11target_archE4294967295ELNS1_3gpuE0ELNS1_3repE0EEENS1_30default_config_static_selectorELNS0_4arch9wavefront6targetE1EEEvT1_,comdat
.Lfunc_end204:
	.size	_ZN7rocprim17ROCPRIM_400000_NS6detail17trampoline_kernelINS0_14default_configENS1_25partition_config_selectorILNS1_17partition_subalgoE8EiNS0_10empty_typeEbEEZZNS1_14partition_implILS5_8ELb0ES3_jPKiPS6_PKS6_NS0_5tupleIJPiS6_EEENSE_IJSB_SB_EEENS0_18inequality_wrapperIN6hipcub16HIPCUB_304000_NS8EqualityEEEPlJS6_EEE10hipError_tPvRmT3_T4_T5_T6_T7_T9_mT8_P12ihipStream_tbDpT10_ENKUlT_T0_E_clISt17integral_constantIbLb1EES16_IbLb0EEEEDaS12_S13_EUlS12_E_NS1_11comp_targetILNS1_3genE0ELNS1_11target_archE4294967295ELNS1_3gpuE0ELNS1_3repE0EEENS1_30default_config_static_selectorELNS0_4arch9wavefront6targetE1EEEvT1_, .Lfunc_end204-_ZN7rocprim17ROCPRIM_400000_NS6detail17trampoline_kernelINS0_14default_configENS1_25partition_config_selectorILNS1_17partition_subalgoE8EiNS0_10empty_typeEbEEZZNS1_14partition_implILS5_8ELb0ES3_jPKiPS6_PKS6_NS0_5tupleIJPiS6_EEENSE_IJSB_SB_EEENS0_18inequality_wrapperIN6hipcub16HIPCUB_304000_NS8EqualityEEEPlJS6_EEE10hipError_tPvRmT3_T4_T5_T6_T7_T9_mT8_P12ihipStream_tbDpT10_ENKUlT_T0_E_clISt17integral_constantIbLb1EES16_IbLb0EEEEDaS12_S13_EUlS12_E_NS1_11comp_targetILNS1_3genE0ELNS1_11target_archE4294967295ELNS1_3gpuE0ELNS1_3repE0EEENS1_30default_config_static_selectorELNS0_4arch9wavefront6targetE1EEEvT1_
                                        ; -- End function
	.set _ZN7rocprim17ROCPRIM_400000_NS6detail17trampoline_kernelINS0_14default_configENS1_25partition_config_selectorILNS1_17partition_subalgoE8EiNS0_10empty_typeEbEEZZNS1_14partition_implILS5_8ELb0ES3_jPKiPS6_PKS6_NS0_5tupleIJPiS6_EEENSE_IJSB_SB_EEENS0_18inequality_wrapperIN6hipcub16HIPCUB_304000_NS8EqualityEEEPlJS6_EEE10hipError_tPvRmT3_T4_T5_T6_T7_T9_mT8_P12ihipStream_tbDpT10_ENKUlT_T0_E_clISt17integral_constantIbLb1EES16_IbLb0EEEEDaS12_S13_EUlS12_E_NS1_11comp_targetILNS1_3genE0ELNS1_11target_archE4294967295ELNS1_3gpuE0ELNS1_3repE0EEENS1_30default_config_static_selectorELNS0_4arch9wavefront6targetE1EEEvT1_.num_vgpr, 0
	.set _ZN7rocprim17ROCPRIM_400000_NS6detail17trampoline_kernelINS0_14default_configENS1_25partition_config_selectorILNS1_17partition_subalgoE8EiNS0_10empty_typeEbEEZZNS1_14partition_implILS5_8ELb0ES3_jPKiPS6_PKS6_NS0_5tupleIJPiS6_EEENSE_IJSB_SB_EEENS0_18inequality_wrapperIN6hipcub16HIPCUB_304000_NS8EqualityEEEPlJS6_EEE10hipError_tPvRmT3_T4_T5_T6_T7_T9_mT8_P12ihipStream_tbDpT10_ENKUlT_T0_E_clISt17integral_constantIbLb1EES16_IbLb0EEEEDaS12_S13_EUlS12_E_NS1_11comp_targetILNS1_3genE0ELNS1_11target_archE4294967295ELNS1_3gpuE0ELNS1_3repE0EEENS1_30default_config_static_selectorELNS0_4arch9wavefront6targetE1EEEvT1_.num_agpr, 0
	.set _ZN7rocprim17ROCPRIM_400000_NS6detail17trampoline_kernelINS0_14default_configENS1_25partition_config_selectorILNS1_17partition_subalgoE8EiNS0_10empty_typeEbEEZZNS1_14partition_implILS5_8ELb0ES3_jPKiPS6_PKS6_NS0_5tupleIJPiS6_EEENSE_IJSB_SB_EEENS0_18inequality_wrapperIN6hipcub16HIPCUB_304000_NS8EqualityEEEPlJS6_EEE10hipError_tPvRmT3_T4_T5_T6_T7_T9_mT8_P12ihipStream_tbDpT10_ENKUlT_T0_E_clISt17integral_constantIbLb1EES16_IbLb0EEEEDaS12_S13_EUlS12_E_NS1_11comp_targetILNS1_3genE0ELNS1_11target_archE4294967295ELNS1_3gpuE0ELNS1_3repE0EEENS1_30default_config_static_selectorELNS0_4arch9wavefront6targetE1EEEvT1_.numbered_sgpr, 0
	.set _ZN7rocprim17ROCPRIM_400000_NS6detail17trampoline_kernelINS0_14default_configENS1_25partition_config_selectorILNS1_17partition_subalgoE8EiNS0_10empty_typeEbEEZZNS1_14partition_implILS5_8ELb0ES3_jPKiPS6_PKS6_NS0_5tupleIJPiS6_EEENSE_IJSB_SB_EEENS0_18inequality_wrapperIN6hipcub16HIPCUB_304000_NS8EqualityEEEPlJS6_EEE10hipError_tPvRmT3_T4_T5_T6_T7_T9_mT8_P12ihipStream_tbDpT10_ENKUlT_T0_E_clISt17integral_constantIbLb1EES16_IbLb0EEEEDaS12_S13_EUlS12_E_NS1_11comp_targetILNS1_3genE0ELNS1_11target_archE4294967295ELNS1_3gpuE0ELNS1_3repE0EEENS1_30default_config_static_selectorELNS0_4arch9wavefront6targetE1EEEvT1_.num_named_barrier, 0
	.set _ZN7rocprim17ROCPRIM_400000_NS6detail17trampoline_kernelINS0_14default_configENS1_25partition_config_selectorILNS1_17partition_subalgoE8EiNS0_10empty_typeEbEEZZNS1_14partition_implILS5_8ELb0ES3_jPKiPS6_PKS6_NS0_5tupleIJPiS6_EEENSE_IJSB_SB_EEENS0_18inequality_wrapperIN6hipcub16HIPCUB_304000_NS8EqualityEEEPlJS6_EEE10hipError_tPvRmT3_T4_T5_T6_T7_T9_mT8_P12ihipStream_tbDpT10_ENKUlT_T0_E_clISt17integral_constantIbLb1EES16_IbLb0EEEEDaS12_S13_EUlS12_E_NS1_11comp_targetILNS1_3genE0ELNS1_11target_archE4294967295ELNS1_3gpuE0ELNS1_3repE0EEENS1_30default_config_static_selectorELNS0_4arch9wavefront6targetE1EEEvT1_.private_seg_size, 0
	.set _ZN7rocprim17ROCPRIM_400000_NS6detail17trampoline_kernelINS0_14default_configENS1_25partition_config_selectorILNS1_17partition_subalgoE8EiNS0_10empty_typeEbEEZZNS1_14partition_implILS5_8ELb0ES3_jPKiPS6_PKS6_NS0_5tupleIJPiS6_EEENSE_IJSB_SB_EEENS0_18inequality_wrapperIN6hipcub16HIPCUB_304000_NS8EqualityEEEPlJS6_EEE10hipError_tPvRmT3_T4_T5_T6_T7_T9_mT8_P12ihipStream_tbDpT10_ENKUlT_T0_E_clISt17integral_constantIbLb1EES16_IbLb0EEEEDaS12_S13_EUlS12_E_NS1_11comp_targetILNS1_3genE0ELNS1_11target_archE4294967295ELNS1_3gpuE0ELNS1_3repE0EEENS1_30default_config_static_selectorELNS0_4arch9wavefront6targetE1EEEvT1_.uses_vcc, 0
	.set _ZN7rocprim17ROCPRIM_400000_NS6detail17trampoline_kernelINS0_14default_configENS1_25partition_config_selectorILNS1_17partition_subalgoE8EiNS0_10empty_typeEbEEZZNS1_14partition_implILS5_8ELb0ES3_jPKiPS6_PKS6_NS0_5tupleIJPiS6_EEENSE_IJSB_SB_EEENS0_18inequality_wrapperIN6hipcub16HIPCUB_304000_NS8EqualityEEEPlJS6_EEE10hipError_tPvRmT3_T4_T5_T6_T7_T9_mT8_P12ihipStream_tbDpT10_ENKUlT_T0_E_clISt17integral_constantIbLb1EES16_IbLb0EEEEDaS12_S13_EUlS12_E_NS1_11comp_targetILNS1_3genE0ELNS1_11target_archE4294967295ELNS1_3gpuE0ELNS1_3repE0EEENS1_30default_config_static_selectorELNS0_4arch9wavefront6targetE1EEEvT1_.uses_flat_scratch, 0
	.set _ZN7rocprim17ROCPRIM_400000_NS6detail17trampoline_kernelINS0_14default_configENS1_25partition_config_selectorILNS1_17partition_subalgoE8EiNS0_10empty_typeEbEEZZNS1_14partition_implILS5_8ELb0ES3_jPKiPS6_PKS6_NS0_5tupleIJPiS6_EEENSE_IJSB_SB_EEENS0_18inequality_wrapperIN6hipcub16HIPCUB_304000_NS8EqualityEEEPlJS6_EEE10hipError_tPvRmT3_T4_T5_T6_T7_T9_mT8_P12ihipStream_tbDpT10_ENKUlT_T0_E_clISt17integral_constantIbLb1EES16_IbLb0EEEEDaS12_S13_EUlS12_E_NS1_11comp_targetILNS1_3genE0ELNS1_11target_archE4294967295ELNS1_3gpuE0ELNS1_3repE0EEENS1_30default_config_static_selectorELNS0_4arch9wavefront6targetE1EEEvT1_.has_dyn_sized_stack, 0
	.set _ZN7rocprim17ROCPRIM_400000_NS6detail17trampoline_kernelINS0_14default_configENS1_25partition_config_selectorILNS1_17partition_subalgoE8EiNS0_10empty_typeEbEEZZNS1_14partition_implILS5_8ELb0ES3_jPKiPS6_PKS6_NS0_5tupleIJPiS6_EEENSE_IJSB_SB_EEENS0_18inequality_wrapperIN6hipcub16HIPCUB_304000_NS8EqualityEEEPlJS6_EEE10hipError_tPvRmT3_T4_T5_T6_T7_T9_mT8_P12ihipStream_tbDpT10_ENKUlT_T0_E_clISt17integral_constantIbLb1EES16_IbLb0EEEEDaS12_S13_EUlS12_E_NS1_11comp_targetILNS1_3genE0ELNS1_11target_archE4294967295ELNS1_3gpuE0ELNS1_3repE0EEENS1_30default_config_static_selectorELNS0_4arch9wavefront6targetE1EEEvT1_.has_recursion, 0
	.set _ZN7rocprim17ROCPRIM_400000_NS6detail17trampoline_kernelINS0_14default_configENS1_25partition_config_selectorILNS1_17partition_subalgoE8EiNS0_10empty_typeEbEEZZNS1_14partition_implILS5_8ELb0ES3_jPKiPS6_PKS6_NS0_5tupleIJPiS6_EEENSE_IJSB_SB_EEENS0_18inequality_wrapperIN6hipcub16HIPCUB_304000_NS8EqualityEEEPlJS6_EEE10hipError_tPvRmT3_T4_T5_T6_T7_T9_mT8_P12ihipStream_tbDpT10_ENKUlT_T0_E_clISt17integral_constantIbLb1EES16_IbLb0EEEEDaS12_S13_EUlS12_E_NS1_11comp_targetILNS1_3genE0ELNS1_11target_archE4294967295ELNS1_3gpuE0ELNS1_3repE0EEENS1_30default_config_static_selectorELNS0_4arch9wavefront6targetE1EEEvT1_.has_indirect_call, 0
	.section	.AMDGPU.csdata,"",@progbits
; Kernel info:
; codeLenInByte = 4
; TotalNumSgprs: 6
; NumVgprs: 0
; NumAgprs: 0
; TotalNumVgprs: 0
; ScratchSize: 0
; MemoryBound: 0
; FloatMode: 240
; IeeeMode: 1
; LDSByteSize: 0 bytes/workgroup (compile time only)
; SGPRBlocks: 0
; VGPRBlocks: 0
; NumSGPRsForWavesPerEU: 6
; NumVGPRsForWavesPerEU: 1
; AccumOffset: 4
; Occupancy: 8
; WaveLimiterHint : 0
; COMPUTE_PGM_RSRC2:SCRATCH_EN: 0
; COMPUTE_PGM_RSRC2:USER_SGPR: 2
; COMPUTE_PGM_RSRC2:TRAP_HANDLER: 0
; COMPUTE_PGM_RSRC2:TGID_X_EN: 1
; COMPUTE_PGM_RSRC2:TGID_Y_EN: 0
; COMPUTE_PGM_RSRC2:TGID_Z_EN: 0
; COMPUTE_PGM_RSRC2:TIDIG_COMP_CNT: 0
; COMPUTE_PGM_RSRC3_GFX90A:ACCUM_OFFSET: 0
; COMPUTE_PGM_RSRC3_GFX90A:TG_SPLIT: 0
	.section	.text._ZN7rocprim17ROCPRIM_400000_NS6detail17trampoline_kernelINS0_14default_configENS1_25partition_config_selectorILNS1_17partition_subalgoE8EiNS0_10empty_typeEbEEZZNS1_14partition_implILS5_8ELb0ES3_jPKiPS6_PKS6_NS0_5tupleIJPiS6_EEENSE_IJSB_SB_EEENS0_18inequality_wrapperIN6hipcub16HIPCUB_304000_NS8EqualityEEEPlJS6_EEE10hipError_tPvRmT3_T4_T5_T6_T7_T9_mT8_P12ihipStream_tbDpT10_ENKUlT_T0_E_clISt17integral_constantIbLb1EES16_IbLb0EEEEDaS12_S13_EUlS12_E_NS1_11comp_targetILNS1_3genE5ELNS1_11target_archE942ELNS1_3gpuE9ELNS1_3repE0EEENS1_30default_config_static_selectorELNS0_4arch9wavefront6targetE1EEEvT1_,"axG",@progbits,_ZN7rocprim17ROCPRIM_400000_NS6detail17trampoline_kernelINS0_14default_configENS1_25partition_config_selectorILNS1_17partition_subalgoE8EiNS0_10empty_typeEbEEZZNS1_14partition_implILS5_8ELb0ES3_jPKiPS6_PKS6_NS0_5tupleIJPiS6_EEENSE_IJSB_SB_EEENS0_18inequality_wrapperIN6hipcub16HIPCUB_304000_NS8EqualityEEEPlJS6_EEE10hipError_tPvRmT3_T4_T5_T6_T7_T9_mT8_P12ihipStream_tbDpT10_ENKUlT_T0_E_clISt17integral_constantIbLb1EES16_IbLb0EEEEDaS12_S13_EUlS12_E_NS1_11comp_targetILNS1_3genE5ELNS1_11target_archE942ELNS1_3gpuE9ELNS1_3repE0EEENS1_30default_config_static_selectorELNS0_4arch9wavefront6targetE1EEEvT1_,comdat
	.protected	_ZN7rocprim17ROCPRIM_400000_NS6detail17trampoline_kernelINS0_14default_configENS1_25partition_config_selectorILNS1_17partition_subalgoE8EiNS0_10empty_typeEbEEZZNS1_14partition_implILS5_8ELb0ES3_jPKiPS6_PKS6_NS0_5tupleIJPiS6_EEENSE_IJSB_SB_EEENS0_18inequality_wrapperIN6hipcub16HIPCUB_304000_NS8EqualityEEEPlJS6_EEE10hipError_tPvRmT3_T4_T5_T6_T7_T9_mT8_P12ihipStream_tbDpT10_ENKUlT_T0_E_clISt17integral_constantIbLb1EES16_IbLb0EEEEDaS12_S13_EUlS12_E_NS1_11comp_targetILNS1_3genE5ELNS1_11target_archE942ELNS1_3gpuE9ELNS1_3repE0EEENS1_30default_config_static_selectorELNS0_4arch9wavefront6targetE1EEEvT1_ ; -- Begin function _ZN7rocprim17ROCPRIM_400000_NS6detail17trampoline_kernelINS0_14default_configENS1_25partition_config_selectorILNS1_17partition_subalgoE8EiNS0_10empty_typeEbEEZZNS1_14partition_implILS5_8ELb0ES3_jPKiPS6_PKS6_NS0_5tupleIJPiS6_EEENSE_IJSB_SB_EEENS0_18inequality_wrapperIN6hipcub16HIPCUB_304000_NS8EqualityEEEPlJS6_EEE10hipError_tPvRmT3_T4_T5_T6_T7_T9_mT8_P12ihipStream_tbDpT10_ENKUlT_T0_E_clISt17integral_constantIbLb1EES16_IbLb0EEEEDaS12_S13_EUlS12_E_NS1_11comp_targetILNS1_3genE5ELNS1_11target_archE942ELNS1_3gpuE9ELNS1_3repE0EEENS1_30default_config_static_selectorELNS0_4arch9wavefront6targetE1EEEvT1_
	.globl	_ZN7rocprim17ROCPRIM_400000_NS6detail17trampoline_kernelINS0_14default_configENS1_25partition_config_selectorILNS1_17partition_subalgoE8EiNS0_10empty_typeEbEEZZNS1_14partition_implILS5_8ELb0ES3_jPKiPS6_PKS6_NS0_5tupleIJPiS6_EEENSE_IJSB_SB_EEENS0_18inequality_wrapperIN6hipcub16HIPCUB_304000_NS8EqualityEEEPlJS6_EEE10hipError_tPvRmT3_T4_T5_T6_T7_T9_mT8_P12ihipStream_tbDpT10_ENKUlT_T0_E_clISt17integral_constantIbLb1EES16_IbLb0EEEEDaS12_S13_EUlS12_E_NS1_11comp_targetILNS1_3genE5ELNS1_11target_archE942ELNS1_3gpuE9ELNS1_3repE0EEENS1_30default_config_static_selectorELNS0_4arch9wavefront6targetE1EEEvT1_
	.p2align	8
	.type	_ZN7rocprim17ROCPRIM_400000_NS6detail17trampoline_kernelINS0_14default_configENS1_25partition_config_selectorILNS1_17partition_subalgoE8EiNS0_10empty_typeEbEEZZNS1_14partition_implILS5_8ELb0ES3_jPKiPS6_PKS6_NS0_5tupleIJPiS6_EEENSE_IJSB_SB_EEENS0_18inequality_wrapperIN6hipcub16HIPCUB_304000_NS8EqualityEEEPlJS6_EEE10hipError_tPvRmT3_T4_T5_T6_T7_T9_mT8_P12ihipStream_tbDpT10_ENKUlT_T0_E_clISt17integral_constantIbLb1EES16_IbLb0EEEEDaS12_S13_EUlS12_E_NS1_11comp_targetILNS1_3genE5ELNS1_11target_archE942ELNS1_3gpuE9ELNS1_3repE0EEENS1_30default_config_static_selectorELNS0_4arch9wavefront6targetE1EEEvT1_,@function
_ZN7rocprim17ROCPRIM_400000_NS6detail17trampoline_kernelINS0_14default_configENS1_25partition_config_selectorILNS1_17partition_subalgoE8EiNS0_10empty_typeEbEEZZNS1_14partition_implILS5_8ELb0ES3_jPKiPS6_PKS6_NS0_5tupleIJPiS6_EEENSE_IJSB_SB_EEENS0_18inequality_wrapperIN6hipcub16HIPCUB_304000_NS8EqualityEEEPlJS6_EEE10hipError_tPvRmT3_T4_T5_T6_T7_T9_mT8_P12ihipStream_tbDpT10_ENKUlT_T0_E_clISt17integral_constantIbLb1EES16_IbLb0EEEEDaS12_S13_EUlS12_E_NS1_11comp_targetILNS1_3genE5ELNS1_11target_archE942ELNS1_3gpuE9ELNS1_3repE0EEENS1_30default_config_static_selectorELNS0_4arch9wavefront6targetE1EEEvT1_: ; @_ZN7rocprim17ROCPRIM_400000_NS6detail17trampoline_kernelINS0_14default_configENS1_25partition_config_selectorILNS1_17partition_subalgoE8EiNS0_10empty_typeEbEEZZNS1_14partition_implILS5_8ELb0ES3_jPKiPS6_PKS6_NS0_5tupleIJPiS6_EEENSE_IJSB_SB_EEENS0_18inequality_wrapperIN6hipcub16HIPCUB_304000_NS8EqualityEEEPlJS6_EEE10hipError_tPvRmT3_T4_T5_T6_T7_T9_mT8_P12ihipStream_tbDpT10_ENKUlT_T0_E_clISt17integral_constantIbLb1EES16_IbLb0EEEEDaS12_S13_EUlS12_E_NS1_11comp_targetILNS1_3genE5ELNS1_11target_archE942ELNS1_3gpuE9ELNS1_3repE0EEENS1_30default_config_static_selectorELNS0_4arch9wavefront6targetE1EEEvT1_
; %bb.0:
	.section	.rodata,"a",@progbits
	.p2align	6, 0x0
	.amdhsa_kernel _ZN7rocprim17ROCPRIM_400000_NS6detail17trampoline_kernelINS0_14default_configENS1_25partition_config_selectorILNS1_17partition_subalgoE8EiNS0_10empty_typeEbEEZZNS1_14partition_implILS5_8ELb0ES3_jPKiPS6_PKS6_NS0_5tupleIJPiS6_EEENSE_IJSB_SB_EEENS0_18inequality_wrapperIN6hipcub16HIPCUB_304000_NS8EqualityEEEPlJS6_EEE10hipError_tPvRmT3_T4_T5_T6_T7_T9_mT8_P12ihipStream_tbDpT10_ENKUlT_T0_E_clISt17integral_constantIbLb1EES16_IbLb0EEEEDaS12_S13_EUlS12_E_NS1_11comp_targetILNS1_3genE5ELNS1_11target_archE942ELNS1_3gpuE9ELNS1_3repE0EEENS1_30default_config_static_selectorELNS0_4arch9wavefront6targetE1EEEvT1_
		.amdhsa_group_segment_fixed_size 0
		.amdhsa_private_segment_fixed_size 0
		.amdhsa_kernarg_size 112
		.amdhsa_user_sgpr_count 2
		.amdhsa_user_sgpr_dispatch_ptr 0
		.amdhsa_user_sgpr_queue_ptr 0
		.amdhsa_user_sgpr_kernarg_segment_ptr 1
		.amdhsa_user_sgpr_dispatch_id 0
		.amdhsa_user_sgpr_kernarg_preload_length 0
		.amdhsa_user_sgpr_kernarg_preload_offset 0
		.amdhsa_user_sgpr_private_segment_size 0
		.amdhsa_uses_dynamic_stack 0
		.amdhsa_enable_private_segment 0
		.amdhsa_system_sgpr_workgroup_id_x 1
		.amdhsa_system_sgpr_workgroup_id_y 0
		.amdhsa_system_sgpr_workgroup_id_z 0
		.amdhsa_system_sgpr_workgroup_info 0
		.amdhsa_system_vgpr_workitem_id 0
		.amdhsa_next_free_vgpr 1
		.amdhsa_next_free_sgpr 0
		.amdhsa_accum_offset 4
		.amdhsa_reserve_vcc 0
		.amdhsa_float_round_mode_32 0
		.amdhsa_float_round_mode_16_64 0
		.amdhsa_float_denorm_mode_32 3
		.amdhsa_float_denorm_mode_16_64 3
		.amdhsa_dx10_clamp 1
		.amdhsa_ieee_mode 1
		.amdhsa_fp16_overflow 0
		.amdhsa_tg_split 0
		.amdhsa_exception_fp_ieee_invalid_op 0
		.amdhsa_exception_fp_denorm_src 0
		.amdhsa_exception_fp_ieee_div_zero 0
		.amdhsa_exception_fp_ieee_overflow 0
		.amdhsa_exception_fp_ieee_underflow 0
		.amdhsa_exception_fp_ieee_inexact 0
		.amdhsa_exception_int_div_zero 0
	.end_amdhsa_kernel
	.section	.text._ZN7rocprim17ROCPRIM_400000_NS6detail17trampoline_kernelINS0_14default_configENS1_25partition_config_selectorILNS1_17partition_subalgoE8EiNS0_10empty_typeEbEEZZNS1_14partition_implILS5_8ELb0ES3_jPKiPS6_PKS6_NS0_5tupleIJPiS6_EEENSE_IJSB_SB_EEENS0_18inequality_wrapperIN6hipcub16HIPCUB_304000_NS8EqualityEEEPlJS6_EEE10hipError_tPvRmT3_T4_T5_T6_T7_T9_mT8_P12ihipStream_tbDpT10_ENKUlT_T0_E_clISt17integral_constantIbLb1EES16_IbLb0EEEEDaS12_S13_EUlS12_E_NS1_11comp_targetILNS1_3genE5ELNS1_11target_archE942ELNS1_3gpuE9ELNS1_3repE0EEENS1_30default_config_static_selectorELNS0_4arch9wavefront6targetE1EEEvT1_,"axG",@progbits,_ZN7rocprim17ROCPRIM_400000_NS6detail17trampoline_kernelINS0_14default_configENS1_25partition_config_selectorILNS1_17partition_subalgoE8EiNS0_10empty_typeEbEEZZNS1_14partition_implILS5_8ELb0ES3_jPKiPS6_PKS6_NS0_5tupleIJPiS6_EEENSE_IJSB_SB_EEENS0_18inequality_wrapperIN6hipcub16HIPCUB_304000_NS8EqualityEEEPlJS6_EEE10hipError_tPvRmT3_T4_T5_T6_T7_T9_mT8_P12ihipStream_tbDpT10_ENKUlT_T0_E_clISt17integral_constantIbLb1EES16_IbLb0EEEEDaS12_S13_EUlS12_E_NS1_11comp_targetILNS1_3genE5ELNS1_11target_archE942ELNS1_3gpuE9ELNS1_3repE0EEENS1_30default_config_static_selectorELNS0_4arch9wavefront6targetE1EEEvT1_,comdat
.Lfunc_end205:
	.size	_ZN7rocprim17ROCPRIM_400000_NS6detail17trampoline_kernelINS0_14default_configENS1_25partition_config_selectorILNS1_17partition_subalgoE8EiNS0_10empty_typeEbEEZZNS1_14partition_implILS5_8ELb0ES3_jPKiPS6_PKS6_NS0_5tupleIJPiS6_EEENSE_IJSB_SB_EEENS0_18inequality_wrapperIN6hipcub16HIPCUB_304000_NS8EqualityEEEPlJS6_EEE10hipError_tPvRmT3_T4_T5_T6_T7_T9_mT8_P12ihipStream_tbDpT10_ENKUlT_T0_E_clISt17integral_constantIbLb1EES16_IbLb0EEEEDaS12_S13_EUlS12_E_NS1_11comp_targetILNS1_3genE5ELNS1_11target_archE942ELNS1_3gpuE9ELNS1_3repE0EEENS1_30default_config_static_selectorELNS0_4arch9wavefront6targetE1EEEvT1_, .Lfunc_end205-_ZN7rocprim17ROCPRIM_400000_NS6detail17trampoline_kernelINS0_14default_configENS1_25partition_config_selectorILNS1_17partition_subalgoE8EiNS0_10empty_typeEbEEZZNS1_14partition_implILS5_8ELb0ES3_jPKiPS6_PKS6_NS0_5tupleIJPiS6_EEENSE_IJSB_SB_EEENS0_18inequality_wrapperIN6hipcub16HIPCUB_304000_NS8EqualityEEEPlJS6_EEE10hipError_tPvRmT3_T4_T5_T6_T7_T9_mT8_P12ihipStream_tbDpT10_ENKUlT_T0_E_clISt17integral_constantIbLb1EES16_IbLb0EEEEDaS12_S13_EUlS12_E_NS1_11comp_targetILNS1_3genE5ELNS1_11target_archE942ELNS1_3gpuE9ELNS1_3repE0EEENS1_30default_config_static_selectorELNS0_4arch9wavefront6targetE1EEEvT1_
                                        ; -- End function
	.set _ZN7rocprim17ROCPRIM_400000_NS6detail17trampoline_kernelINS0_14default_configENS1_25partition_config_selectorILNS1_17partition_subalgoE8EiNS0_10empty_typeEbEEZZNS1_14partition_implILS5_8ELb0ES3_jPKiPS6_PKS6_NS0_5tupleIJPiS6_EEENSE_IJSB_SB_EEENS0_18inequality_wrapperIN6hipcub16HIPCUB_304000_NS8EqualityEEEPlJS6_EEE10hipError_tPvRmT3_T4_T5_T6_T7_T9_mT8_P12ihipStream_tbDpT10_ENKUlT_T0_E_clISt17integral_constantIbLb1EES16_IbLb0EEEEDaS12_S13_EUlS12_E_NS1_11comp_targetILNS1_3genE5ELNS1_11target_archE942ELNS1_3gpuE9ELNS1_3repE0EEENS1_30default_config_static_selectorELNS0_4arch9wavefront6targetE1EEEvT1_.num_vgpr, 0
	.set _ZN7rocprim17ROCPRIM_400000_NS6detail17trampoline_kernelINS0_14default_configENS1_25partition_config_selectorILNS1_17partition_subalgoE8EiNS0_10empty_typeEbEEZZNS1_14partition_implILS5_8ELb0ES3_jPKiPS6_PKS6_NS0_5tupleIJPiS6_EEENSE_IJSB_SB_EEENS0_18inequality_wrapperIN6hipcub16HIPCUB_304000_NS8EqualityEEEPlJS6_EEE10hipError_tPvRmT3_T4_T5_T6_T7_T9_mT8_P12ihipStream_tbDpT10_ENKUlT_T0_E_clISt17integral_constantIbLb1EES16_IbLb0EEEEDaS12_S13_EUlS12_E_NS1_11comp_targetILNS1_3genE5ELNS1_11target_archE942ELNS1_3gpuE9ELNS1_3repE0EEENS1_30default_config_static_selectorELNS0_4arch9wavefront6targetE1EEEvT1_.num_agpr, 0
	.set _ZN7rocprim17ROCPRIM_400000_NS6detail17trampoline_kernelINS0_14default_configENS1_25partition_config_selectorILNS1_17partition_subalgoE8EiNS0_10empty_typeEbEEZZNS1_14partition_implILS5_8ELb0ES3_jPKiPS6_PKS6_NS0_5tupleIJPiS6_EEENSE_IJSB_SB_EEENS0_18inequality_wrapperIN6hipcub16HIPCUB_304000_NS8EqualityEEEPlJS6_EEE10hipError_tPvRmT3_T4_T5_T6_T7_T9_mT8_P12ihipStream_tbDpT10_ENKUlT_T0_E_clISt17integral_constantIbLb1EES16_IbLb0EEEEDaS12_S13_EUlS12_E_NS1_11comp_targetILNS1_3genE5ELNS1_11target_archE942ELNS1_3gpuE9ELNS1_3repE0EEENS1_30default_config_static_selectorELNS0_4arch9wavefront6targetE1EEEvT1_.numbered_sgpr, 0
	.set _ZN7rocprim17ROCPRIM_400000_NS6detail17trampoline_kernelINS0_14default_configENS1_25partition_config_selectorILNS1_17partition_subalgoE8EiNS0_10empty_typeEbEEZZNS1_14partition_implILS5_8ELb0ES3_jPKiPS6_PKS6_NS0_5tupleIJPiS6_EEENSE_IJSB_SB_EEENS0_18inequality_wrapperIN6hipcub16HIPCUB_304000_NS8EqualityEEEPlJS6_EEE10hipError_tPvRmT3_T4_T5_T6_T7_T9_mT8_P12ihipStream_tbDpT10_ENKUlT_T0_E_clISt17integral_constantIbLb1EES16_IbLb0EEEEDaS12_S13_EUlS12_E_NS1_11comp_targetILNS1_3genE5ELNS1_11target_archE942ELNS1_3gpuE9ELNS1_3repE0EEENS1_30default_config_static_selectorELNS0_4arch9wavefront6targetE1EEEvT1_.num_named_barrier, 0
	.set _ZN7rocprim17ROCPRIM_400000_NS6detail17trampoline_kernelINS0_14default_configENS1_25partition_config_selectorILNS1_17partition_subalgoE8EiNS0_10empty_typeEbEEZZNS1_14partition_implILS5_8ELb0ES3_jPKiPS6_PKS6_NS0_5tupleIJPiS6_EEENSE_IJSB_SB_EEENS0_18inequality_wrapperIN6hipcub16HIPCUB_304000_NS8EqualityEEEPlJS6_EEE10hipError_tPvRmT3_T4_T5_T6_T7_T9_mT8_P12ihipStream_tbDpT10_ENKUlT_T0_E_clISt17integral_constantIbLb1EES16_IbLb0EEEEDaS12_S13_EUlS12_E_NS1_11comp_targetILNS1_3genE5ELNS1_11target_archE942ELNS1_3gpuE9ELNS1_3repE0EEENS1_30default_config_static_selectorELNS0_4arch9wavefront6targetE1EEEvT1_.private_seg_size, 0
	.set _ZN7rocprim17ROCPRIM_400000_NS6detail17trampoline_kernelINS0_14default_configENS1_25partition_config_selectorILNS1_17partition_subalgoE8EiNS0_10empty_typeEbEEZZNS1_14partition_implILS5_8ELb0ES3_jPKiPS6_PKS6_NS0_5tupleIJPiS6_EEENSE_IJSB_SB_EEENS0_18inequality_wrapperIN6hipcub16HIPCUB_304000_NS8EqualityEEEPlJS6_EEE10hipError_tPvRmT3_T4_T5_T6_T7_T9_mT8_P12ihipStream_tbDpT10_ENKUlT_T0_E_clISt17integral_constantIbLb1EES16_IbLb0EEEEDaS12_S13_EUlS12_E_NS1_11comp_targetILNS1_3genE5ELNS1_11target_archE942ELNS1_3gpuE9ELNS1_3repE0EEENS1_30default_config_static_selectorELNS0_4arch9wavefront6targetE1EEEvT1_.uses_vcc, 0
	.set _ZN7rocprim17ROCPRIM_400000_NS6detail17trampoline_kernelINS0_14default_configENS1_25partition_config_selectorILNS1_17partition_subalgoE8EiNS0_10empty_typeEbEEZZNS1_14partition_implILS5_8ELb0ES3_jPKiPS6_PKS6_NS0_5tupleIJPiS6_EEENSE_IJSB_SB_EEENS0_18inequality_wrapperIN6hipcub16HIPCUB_304000_NS8EqualityEEEPlJS6_EEE10hipError_tPvRmT3_T4_T5_T6_T7_T9_mT8_P12ihipStream_tbDpT10_ENKUlT_T0_E_clISt17integral_constantIbLb1EES16_IbLb0EEEEDaS12_S13_EUlS12_E_NS1_11comp_targetILNS1_3genE5ELNS1_11target_archE942ELNS1_3gpuE9ELNS1_3repE0EEENS1_30default_config_static_selectorELNS0_4arch9wavefront6targetE1EEEvT1_.uses_flat_scratch, 0
	.set _ZN7rocprim17ROCPRIM_400000_NS6detail17trampoline_kernelINS0_14default_configENS1_25partition_config_selectorILNS1_17partition_subalgoE8EiNS0_10empty_typeEbEEZZNS1_14partition_implILS5_8ELb0ES3_jPKiPS6_PKS6_NS0_5tupleIJPiS6_EEENSE_IJSB_SB_EEENS0_18inequality_wrapperIN6hipcub16HIPCUB_304000_NS8EqualityEEEPlJS6_EEE10hipError_tPvRmT3_T4_T5_T6_T7_T9_mT8_P12ihipStream_tbDpT10_ENKUlT_T0_E_clISt17integral_constantIbLb1EES16_IbLb0EEEEDaS12_S13_EUlS12_E_NS1_11comp_targetILNS1_3genE5ELNS1_11target_archE942ELNS1_3gpuE9ELNS1_3repE0EEENS1_30default_config_static_selectorELNS0_4arch9wavefront6targetE1EEEvT1_.has_dyn_sized_stack, 0
	.set _ZN7rocprim17ROCPRIM_400000_NS6detail17trampoline_kernelINS0_14default_configENS1_25partition_config_selectorILNS1_17partition_subalgoE8EiNS0_10empty_typeEbEEZZNS1_14partition_implILS5_8ELb0ES3_jPKiPS6_PKS6_NS0_5tupleIJPiS6_EEENSE_IJSB_SB_EEENS0_18inequality_wrapperIN6hipcub16HIPCUB_304000_NS8EqualityEEEPlJS6_EEE10hipError_tPvRmT3_T4_T5_T6_T7_T9_mT8_P12ihipStream_tbDpT10_ENKUlT_T0_E_clISt17integral_constantIbLb1EES16_IbLb0EEEEDaS12_S13_EUlS12_E_NS1_11comp_targetILNS1_3genE5ELNS1_11target_archE942ELNS1_3gpuE9ELNS1_3repE0EEENS1_30default_config_static_selectorELNS0_4arch9wavefront6targetE1EEEvT1_.has_recursion, 0
	.set _ZN7rocprim17ROCPRIM_400000_NS6detail17trampoline_kernelINS0_14default_configENS1_25partition_config_selectorILNS1_17partition_subalgoE8EiNS0_10empty_typeEbEEZZNS1_14partition_implILS5_8ELb0ES3_jPKiPS6_PKS6_NS0_5tupleIJPiS6_EEENSE_IJSB_SB_EEENS0_18inequality_wrapperIN6hipcub16HIPCUB_304000_NS8EqualityEEEPlJS6_EEE10hipError_tPvRmT3_T4_T5_T6_T7_T9_mT8_P12ihipStream_tbDpT10_ENKUlT_T0_E_clISt17integral_constantIbLb1EES16_IbLb0EEEEDaS12_S13_EUlS12_E_NS1_11comp_targetILNS1_3genE5ELNS1_11target_archE942ELNS1_3gpuE9ELNS1_3repE0EEENS1_30default_config_static_selectorELNS0_4arch9wavefront6targetE1EEEvT1_.has_indirect_call, 0
	.section	.AMDGPU.csdata,"",@progbits
; Kernel info:
; codeLenInByte = 0
; TotalNumSgprs: 6
; NumVgprs: 0
; NumAgprs: 0
; TotalNumVgprs: 0
; ScratchSize: 0
; MemoryBound: 0
; FloatMode: 240
; IeeeMode: 1
; LDSByteSize: 0 bytes/workgroup (compile time only)
; SGPRBlocks: 0
; VGPRBlocks: 0
; NumSGPRsForWavesPerEU: 6
; NumVGPRsForWavesPerEU: 1
; AccumOffset: 4
; Occupancy: 8
; WaveLimiterHint : 0
; COMPUTE_PGM_RSRC2:SCRATCH_EN: 0
; COMPUTE_PGM_RSRC2:USER_SGPR: 2
; COMPUTE_PGM_RSRC2:TRAP_HANDLER: 0
; COMPUTE_PGM_RSRC2:TGID_X_EN: 1
; COMPUTE_PGM_RSRC2:TGID_Y_EN: 0
; COMPUTE_PGM_RSRC2:TGID_Z_EN: 0
; COMPUTE_PGM_RSRC2:TIDIG_COMP_CNT: 0
; COMPUTE_PGM_RSRC3_GFX90A:ACCUM_OFFSET: 0
; COMPUTE_PGM_RSRC3_GFX90A:TG_SPLIT: 0
	.section	.text._ZN7rocprim17ROCPRIM_400000_NS6detail17trampoline_kernelINS0_14default_configENS1_25partition_config_selectorILNS1_17partition_subalgoE8EiNS0_10empty_typeEbEEZZNS1_14partition_implILS5_8ELb0ES3_jPKiPS6_PKS6_NS0_5tupleIJPiS6_EEENSE_IJSB_SB_EEENS0_18inequality_wrapperIN6hipcub16HIPCUB_304000_NS8EqualityEEEPlJS6_EEE10hipError_tPvRmT3_T4_T5_T6_T7_T9_mT8_P12ihipStream_tbDpT10_ENKUlT_T0_E_clISt17integral_constantIbLb1EES16_IbLb0EEEEDaS12_S13_EUlS12_E_NS1_11comp_targetILNS1_3genE4ELNS1_11target_archE910ELNS1_3gpuE8ELNS1_3repE0EEENS1_30default_config_static_selectorELNS0_4arch9wavefront6targetE1EEEvT1_,"axG",@progbits,_ZN7rocprim17ROCPRIM_400000_NS6detail17trampoline_kernelINS0_14default_configENS1_25partition_config_selectorILNS1_17partition_subalgoE8EiNS0_10empty_typeEbEEZZNS1_14partition_implILS5_8ELb0ES3_jPKiPS6_PKS6_NS0_5tupleIJPiS6_EEENSE_IJSB_SB_EEENS0_18inequality_wrapperIN6hipcub16HIPCUB_304000_NS8EqualityEEEPlJS6_EEE10hipError_tPvRmT3_T4_T5_T6_T7_T9_mT8_P12ihipStream_tbDpT10_ENKUlT_T0_E_clISt17integral_constantIbLb1EES16_IbLb0EEEEDaS12_S13_EUlS12_E_NS1_11comp_targetILNS1_3genE4ELNS1_11target_archE910ELNS1_3gpuE8ELNS1_3repE0EEENS1_30default_config_static_selectorELNS0_4arch9wavefront6targetE1EEEvT1_,comdat
	.protected	_ZN7rocprim17ROCPRIM_400000_NS6detail17trampoline_kernelINS0_14default_configENS1_25partition_config_selectorILNS1_17partition_subalgoE8EiNS0_10empty_typeEbEEZZNS1_14partition_implILS5_8ELb0ES3_jPKiPS6_PKS6_NS0_5tupleIJPiS6_EEENSE_IJSB_SB_EEENS0_18inequality_wrapperIN6hipcub16HIPCUB_304000_NS8EqualityEEEPlJS6_EEE10hipError_tPvRmT3_T4_T5_T6_T7_T9_mT8_P12ihipStream_tbDpT10_ENKUlT_T0_E_clISt17integral_constantIbLb1EES16_IbLb0EEEEDaS12_S13_EUlS12_E_NS1_11comp_targetILNS1_3genE4ELNS1_11target_archE910ELNS1_3gpuE8ELNS1_3repE0EEENS1_30default_config_static_selectorELNS0_4arch9wavefront6targetE1EEEvT1_ ; -- Begin function _ZN7rocprim17ROCPRIM_400000_NS6detail17trampoline_kernelINS0_14default_configENS1_25partition_config_selectorILNS1_17partition_subalgoE8EiNS0_10empty_typeEbEEZZNS1_14partition_implILS5_8ELb0ES3_jPKiPS6_PKS6_NS0_5tupleIJPiS6_EEENSE_IJSB_SB_EEENS0_18inequality_wrapperIN6hipcub16HIPCUB_304000_NS8EqualityEEEPlJS6_EEE10hipError_tPvRmT3_T4_T5_T6_T7_T9_mT8_P12ihipStream_tbDpT10_ENKUlT_T0_E_clISt17integral_constantIbLb1EES16_IbLb0EEEEDaS12_S13_EUlS12_E_NS1_11comp_targetILNS1_3genE4ELNS1_11target_archE910ELNS1_3gpuE8ELNS1_3repE0EEENS1_30default_config_static_selectorELNS0_4arch9wavefront6targetE1EEEvT1_
	.globl	_ZN7rocprim17ROCPRIM_400000_NS6detail17trampoline_kernelINS0_14default_configENS1_25partition_config_selectorILNS1_17partition_subalgoE8EiNS0_10empty_typeEbEEZZNS1_14partition_implILS5_8ELb0ES3_jPKiPS6_PKS6_NS0_5tupleIJPiS6_EEENSE_IJSB_SB_EEENS0_18inequality_wrapperIN6hipcub16HIPCUB_304000_NS8EqualityEEEPlJS6_EEE10hipError_tPvRmT3_T4_T5_T6_T7_T9_mT8_P12ihipStream_tbDpT10_ENKUlT_T0_E_clISt17integral_constantIbLb1EES16_IbLb0EEEEDaS12_S13_EUlS12_E_NS1_11comp_targetILNS1_3genE4ELNS1_11target_archE910ELNS1_3gpuE8ELNS1_3repE0EEENS1_30default_config_static_selectorELNS0_4arch9wavefront6targetE1EEEvT1_
	.p2align	8
	.type	_ZN7rocprim17ROCPRIM_400000_NS6detail17trampoline_kernelINS0_14default_configENS1_25partition_config_selectorILNS1_17partition_subalgoE8EiNS0_10empty_typeEbEEZZNS1_14partition_implILS5_8ELb0ES3_jPKiPS6_PKS6_NS0_5tupleIJPiS6_EEENSE_IJSB_SB_EEENS0_18inequality_wrapperIN6hipcub16HIPCUB_304000_NS8EqualityEEEPlJS6_EEE10hipError_tPvRmT3_T4_T5_T6_T7_T9_mT8_P12ihipStream_tbDpT10_ENKUlT_T0_E_clISt17integral_constantIbLb1EES16_IbLb0EEEEDaS12_S13_EUlS12_E_NS1_11comp_targetILNS1_3genE4ELNS1_11target_archE910ELNS1_3gpuE8ELNS1_3repE0EEENS1_30default_config_static_selectorELNS0_4arch9wavefront6targetE1EEEvT1_,@function
_ZN7rocprim17ROCPRIM_400000_NS6detail17trampoline_kernelINS0_14default_configENS1_25partition_config_selectorILNS1_17partition_subalgoE8EiNS0_10empty_typeEbEEZZNS1_14partition_implILS5_8ELb0ES3_jPKiPS6_PKS6_NS0_5tupleIJPiS6_EEENSE_IJSB_SB_EEENS0_18inequality_wrapperIN6hipcub16HIPCUB_304000_NS8EqualityEEEPlJS6_EEE10hipError_tPvRmT3_T4_T5_T6_T7_T9_mT8_P12ihipStream_tbDpT10_ENKUlT_T0_E_clISt17integral_constantIbLb1EES16_IbLb0EEEEDaS12_S13_EUlS12_E_NS1_11comp_targetILNS1_3genE4ELNS1_11target_archE910ELNS1_3gpuE8ELNS1_3repE0EEENS1_30default_config_static_selectorELNS0_4arch9wavefront6targetE1EEEvT1_: ; @_ZN7rocprim17ROCPRIM_400000_NS6detail17trampoline_kernelINS0_14default_configENS1_25partition_config_selectorILNS1_17partition_subalgoE8EiNS0_10empty_typeEbEEZZNS1_14partition_implILS5_8ELb0ES3_jPKiPS6_PKS6_NS0_5tupleIJPiS6_EEENSE_IJSB_SB_EEENS0_18inequality_wrapperIN6hipcub16HIPCUB_304000_NS8EqualityEEEPlJS6_EEE10hipError_tPvRmT3_T4_T5_T6_T7_T9_mT8_P12ihipStream_tbDpT10_ENKUlT_T0_E_clISt17integral_constantIbLb1EES16_IbLb0EEEEDaS12_S13_EUlS12_E_NS1_11comp_targetILNS1_3genE4ELNS1_11target_archE910ELNS1_3gpuE8ELNS1_3repE0EEENS1_30default_config_static_selectorELNS0_4arch9wavefront6targetE1EEEvT1_
; %bb.0:
	.section	.rodata,"a",@progbits
	.p2align	6, 0x0
	.amdhsa_kernel _ZN7rocprim17ROCPRIM_400000_NS6detail17trampoline_kernelINS0_14default_configENS1_25partition_config_selectorILNS1_17partition_subalgoE8EiNS0_10empty_typeEbEEZZNS1_14partition_implILS5_8ELb0ES3_jPKiPS6_PKS6_NS0_5tupleIJPiS6_EEENSE_IJSB_SB_EEENS0_18inequality_wrapperIN6hipcub16HIPCUB_304000_NS8EqualityEEEPlJS6_EEE10hipError_tPvRmT3_T4_T5_T6_T7_T9_mT8_P12ihipStream_tbDpT10_ENKUlT_T0_E_clISt17integral_constantIbLb1EES16_IbLb0EEEEDaS12_S13_EUlS12_E_NS1_11comp_targetILNS1_3genE4ELNS1_11target_archE910ELNS1_3gpuE8ELNS1_3repE0EEENS1_30default_config_static_selectorELNS0_4arch9wavefront6targetE1EEEvT1_
		.amdhsa_group_segment_fixed_size 0
		.amdhsa_private_segment_fixed_size 0
		.amdhsa_kernarg_size 112
		.amdhsa_user_sgpr_count 2
		.amdhsa_user_sgpr_dispatch_ptr 0
		.amdhsa_user_sgpr_queue_ptr 0
		.amdhsa_user_sgpr_kernarg_segment_ptr 1
		.amdhsa_user_sgpr_dispatch_id 0
		.amdhsa_user_sgpr_kernarg_preload_length 0
		.amdhsa_user_sgpr_kernarg_preload_offset 0
		.amdhsa_user_sgpr_private_segment_size 0
		.amdhsa_uses_dynamic_stack 0
		.amdhsa_enable_private_segment 0
		.amdhsa_system_sgpr_workgroup_id_x 1
		.amdhsa_system_sgpr_workgroup_id_y 0
		.amdhsa_system_sgpr_workgroup_id_z 0
		.amdhsa_system_sgpr_workgroup_info 0
		.amdhsa_system_vgpr_workitem_id 0
		.amdhsa_next_free_vgpr 1
		.amdhsa_next_free_sgpr 0
		.amdhsa_accum_offset 4
		.amdhsa_reserve_vcc 0
		.amdhsa_float_round_mode_32 0
		.amdhsa_float_round_mode_16_64 0
		.amdhsa_float_denorm_mode_32 3
		.amdhsa_float_denorm_mode_16_64 3
		.amdhsa_dx10_clamp 1
		.amdhsa_ieee_mode 1
		.amdhsa_fp16_overflow 0
		.amdhsa_tg_split 0
		.amdhsa_exception_fp_ieee_invalid_op 0
		.amdhsa_exception_fp_denorm_src 0
		.amdhsa_exception_fp_ieee_div_zero 0
		.amdhsa_exception_fp_ieee_overflow 0
		.amdhsa_exception_fp_ieee_underflow 0
		.amdhsa_exception_fp_ieee_inexact 0
		.amdhsa_exception_int_div_zero 0
	.end_amdhsa_kernel
	.section	.text._ZN7rocprim17ROCPRIM_400000_NS6detail17trampoline_kernelINS0_14default_configENS1_25partition_config_selectorILNS1_17partition_subalgoE8EiNS0_10empty_typeEbEEZZNS1_14partition_implILS5_8ELb0ES3_jPKiPS6_PKS6_NS0_5tupleIJPiS6_EEENSE_IJSB_SB_EEENS0_18inequality_wrapperIN6hipcub16HIPCUB_304000_NS8EqualityEEEPlJS6_EEE10hipError_tPvRmT3_T4_T5_T6_T7_T9_mT8_P12ihipStream_tbDpT10_ENKUlT_T0_E_clISt17integral_constantIbLb1EES16_IbLb0EEEEDaS12_S13_EUlS12_E_NS1_11comp_targetILNS1_3genE4ELNS1_11target_archE910ELNS1_3gpuE8ELNS1_3repE0EEENS1_30default_config_static_selectorELNS0_4arch9wavefront6targetE1EEEvT1_,"axG",@progbits,_ZN7rocprim17ROCPRIM_400000_NS6detail17trampoline_kernelINS0_14default_configENS1_25partition_config_selectorILNS1_17partition_subalgoE8EiNS0_10empty_typeEbEEZZNS1_14partition_implILS5_8ELb0ES3_jPKiPS6_PKS6_NS0_5tupleIJPiS6_EEENSE_IJSB_SB_EEENS0_18inequality_wrapperIN6hipcub16HIPCUB_304000_NS8EqualityEEEPlJS6_EEE10hipError_tPvRmT3_T4_T5_T6_T7_T9_mT8_P12ihipStream_tbDpT10_ENKUlT_T0_E_clISt17integral_constantIbLb1EES16_IbLb0EEEEDaS12_S13_EUlS12_E_NS1_11comp_targetILNS1_3genE4ELNS1_11target_archE910ELNS1_3gpuE8ELNS1_3repE0EEENS1_30default_config_static_selectorELNS0_4arch9wavefront6targetE1EEEvT1_,comdat
.Lfunc_end206:
	.size	_ZN7rocprim17ROCPRIM_400000_NS6detail17trampoline_kernelINS0_14default_configENS1_25partition_config_selectorILNS1_17partition_subalgoE8EiNS0_10empty_typeEbEEZZNS1_14partition_implILS5_8ELb0ES3_jPKiPS6_PKS6_NS0_5tupleIJPiS6_EEENSE_IJSB_SB_EEENS0_18inequality_wrapperIN6hipcub16HIPCUB_304000_NS8EqualityEEEPlJS6_EEE10hipError_tPvRmT3_T4_T5_T6_T7_T9_mT8_P12ihipStream_tbDpT10_ENKUlT_T0_E_clISt17integral_constantIbLb1EES16_IbLb0EEEEDaS12_S13_EUlS12_E_NS1_11comp_targetILNS1_3genE4ELNS1_11target_archE910ELNS1_3gpuE8ELNS1_3repE0EEENS1_30default_config_static_selectorELNS0_4arch9wavefront6targetE1EEEvT1_, .Lfunc_end206-_ZN7rocprim17ROCPRIM_400000_NS6detail17trampoline_kernelINS0_14default_configENS1_25partition_config_selectorILNS1_17partition_subalgoE8EiNS0_10empty_typeEbEEZZNS1_14partition_implILS5_8ELb0ES3_jPKiPS6_PKS6_NS0_5tupleIJPiS6_EEENSE_IJSB_SB_EEENS0_18inequality_wrapperIN6hipcub16HIPCUB_304000_NS8EqualityEEEPlJS6_EEE10hipError_tPvRmT3_T4_T5_T6_T7_T9_mT8_P12ihipStream_tbDpT10_ENKUlT_T0_E_clISt17integral_constantIbLb1EES16_IbLb0EEEEDaS12_S13_EUlS12_E_NS1_11comp_targetILNS1_3genE4ELNS1_11target_archE910ELNS1_3gpuE8ELNS1_3repE0EEENS1_30default_config_static_selectorELNS0_4arch9wavefront6targetE1EEEvT1_
                                        ; -- End function
	.set _ZN7rocprim17ROCPRIM_400000_NS6detail17trampoline_kernelINS0_14default_configENS1_25partition_config_selectorILNS1_17partition_subalgoE8EiNS0_10empty_typeEbEEZZNS1_14partition_implILS5_8ELb0ES3_jPKiPS6_PKS6_NS0_5tupleIJPiS6_EEENSE_IJSB_SB_EEENS0_18inequality_wrapperIN6hipcub16HIPCUB_304000_NS8EqualityEEEPlJS6_EEE10hipError_tPvRmT3_T4_T5_T6_T7_T9_mT8_P12ihipStream_tbDpT10_ENKUlT_T0_E_clISt17integral_constantIbLb1EES16_IbLb0EEEEDaS12_S13_EUlS12_E_NS1_11comp_targetILNS1_3genE4ELNS1_11target_archE910ELNS1_3gpuE8ELNS1_3repE0EEENS1_30default_config_static_selectorELNS0_4arch9wavefront6targetE1EEEvT1_.num_vgpr, 0
	.set _ZN7rocprim17ROCPRIM_400000_NS6detail17trampoline_kernelINS0_14default_configENS1_25partition_config_selectorILNS1_17partition_subalgoE8EiNS0_10empty_typeEbEEZZNS1_14partition_implILS5_8ELb0ES3_jPKiPS6_PKS6_NS0_5tupleIJPiS6_EEENSE_IJSB_SB_EEENS0_18inequality_wrapperIN6hipcub16HIPCUB_304000_NS8EqualityEEEPlJS6_EEE10hipError_tPvRmT3_T4_T5_T6_T7_T9_mT8_P12ihipStream_tbDpT10_ENKUlT_T0_E_clISt17integral_constantIbLb1EES16_IbLb0EEEEDaS12_S13_EUlS12_E_NS1_11comp_targetILNS1_3genE4ELNS1_11target_archE910ELNS1_3gpuE8ELNS1_3repE0EEENS1_30default_config_static_selectorELNS0_4arch9wavefront6targetE1EEEvT1_.num_agpr, 0
	.set _ZN7rocprim17ROCPRIM_400000_NS6detail17trampoline_kernelINS0_14default_configENS1_25partition_config_selectorILNS1_17partition_subalgoE8EiNS0_10empty_typeEbEEZZNS1_14partition_implILS5_8ELb0ES3_jPKiPS6_PKS6_NS0_5tupleIJPiS6_EEENSE_IJSB_SB_EEENS0_18inequality_wrapperIN6hipcub16HIPCUB_304000_NS8EqualityEEEPlJS6_EEE10hipError_tPvRmT3_T4_T5_T6_T7_T9_mT8_P12ihipStream_tbDpT10_ENKUlT_T0_E_clISt17integral_constantIbLb1EES16_IbLb0EEEEDaS12_S13_EUlS12_E_NS1_11comp_targetILNS1_3genE4ELNS1_11target_archE910ELNS1_3gpuE8ELNS1_3repE0EEENS1_30default_config_static_selectorELNS0_4arch9wavefront6targetE1EEEvT1_.numbered_sgpr, 0
	.set _ZN7rocprim17ROCPRIM_400000_NS6detail17trampoline_kernelINS0_14default_configENS1_25partition_config_selectorILNS1_17partition_subalgoE8EiNS0_10empty_typeEbEEZZNS1_14partition_implILS5_8ELb0ES3_jPKiPS6_PKS6_NS0_5tupleIJPiS6_EEENSE_IJSB_SB_EEENS0_18inequality_wrapperIN6hipcub16HIPCUB_304000_NS8EqualityEEEPlJS6_EEE10hipError_tPvRmT3_T4_T5_T6_T7_T9_mT8_P12ihipStream_tbDpT10_ENKUlT_T0_E_clISt17integral_constantIbLb1EES16_IbLb0EEEEDaS12_S13_EUlS12_E_NS1_11comp_targetILNS1_3genE4ELNS1_11target_archE910ELNS1_3gpuE8ELNS1_3repE0EEENS1_30default_config_static_selectorELNS0_4arch9wavefront6targetE1EEEvT1_.num_named_barrier, 0
	.set _ZN7rocprim17ROCPRIM_400000_NS6detail17trampoline_kernelINS0_14default_configENS1_25partition_config_selectorILNS1_17partition_subalgoE8EiNS0_10empty_typeEbEEZZNS1_14partition_implILS5_8ELb0ES3_jPKiPS6_PKS6_NS0_5tupleIJPiS6_EEENSE_IJSB_SB_EEENS0_18inequality_wrapperIN6hipcub16HIPCUB_304000_NS8EqualityEEEPlJS6_EEE10hipError_tPvRmT3_T4_T5_T6_T7_T9_mT8_P12ihipStream_tbDpT10_ENKUlT_T0_E_clISt17integral_constantIbLb1EES16_IbLb0EEEEDaS12_S13_EUlS12_E_NS1_11comp_targetILNS1_3genE4ELNS1_11target_archE910ELNS1_3gpuE8ELNS1_3repE0EEENS1_30default_config_static_selectorELNS0_4arch9wavefront6targetE1EEEvT1_.private_seg_size, 0
	.set _ZN7rocprim17ROCPRIM_400000_NS6detail17trampoline_kernelINS0_14default_configENS1_25partition_config_selectorILNS1_17partition_subalgoE8EiNS0_10empty_typeEbEEZZNS1_14partition_implILS5_8ELb0ES3_jPKiPS6_PKS6_NS0_5tupleIJPiS6_EEENSE_IJSB_SB_EEENS0_18inequality_wrapperIN6hipcub16HIPCUB_304000_NS8EqualityEEEPlJS6_EEE10hipError_tPvRmT3_T4_T5_T6_T7_T9_mT8_P12ihipStream_tbDpT10_ENKUlT_T0_E_clISt17integral_constantIbLb1EES16_IbLb0EEEEDaS12_S13_EUlS12_E_NS1_11comp_targetILNS1_3genE4ELNS1_11target_archE910ELNS1_3gpuE8ELNS1_3repE0EEENS1_30default_config_static_selectorELNS0_4arch9wavefront6targetE1EEEvT1_.uses_vcc, 0
	.set _ZN7rocprim17ROCPRIM_400000_NS6detail17trampoline_kernelINS0_14default_configENS1_25partition_config_selectorILNS1_17partition_subalgoE8EiNS0_10empty_typeEbEEZZNS1_14partition_implILS5_8ELb0ES3_jPKiPS6_PKS6_NS0_5tupleIJPiS6_EEENSE_IJSB_SB_EEENS0_18inequality_wrapperIN6hipcub16HIPCUB_304000_NS8EqualityEEEPlJS6_EEE10hipError_tPvRmT3_T4_T5_T6_T7_T9_mT8_P12ihipStream_tbDpT10_ENKUlT_T0_E_clISt17integral_constantIbLb1EES16_IbLb0EEEEDaS12_S13_EUlS12_E_NS1_11comp_targetILNS1_3genE4ELNS1_11target_archE910ELNS1_3gpuE8ELNS1_3repE0EEENS1_30default_config_static_selectorELNS0_4arch9wavefront6targetE1EEEvT1_.uses_flat_scratch, 0
	.set _ZN7rocprim17ROCPRIM_400000_NS6detail17trampoline_kernelINS0_14default_configENS1_25partition_config_selectorILNS1_17partition_subalgoE8EiNS0_10empty_typeEbEEZZNS1_14partition_implILS5_8ELb0ES3_jPKiPS6_PKS6_NS0_5tupleIJPiS6_EEENSE_IJSB_SB_EEENS0_18inequality_wrapperIN6hipcub16HIPCUB_304000_NS8EqualityEEEPlJS6_EEE10hipError_tPvRmT3_T4_T5_T6_T7_T9_mT8_P12ihipStream_tbDpT10_ENKUlT_T0_E_clISt17integral_constantIbLb1EES16_IbLb0EEEEDaS12_S13_EUlS12_E_NS1_11comp_targetILNS1_3genE4ELNS1_11target_archE910ELNS1_3gpuE8ELNS1_3repE0EEENS1_30default_config_static_selectorELNS0_4arch9wavefront6targetE1EEEvT1_.has_dyn_sized_stack, 0
	.set _ZN7rocprim17ROCPRIM_400000_NS6detail17trampoline_kernelINS0_14default_configENS1_25partition_config_selectorILNS1_17partition_subalgoE8EiNS0_10empty_typeEbEEZZNS1_14partition_implILS5_8ELb0ES3_jPKiPS6_PKS6_NS0_5tupleIJPiS6_EEENSE_IJSB_SB_EEENS0_18inequality_wrapperIN6hipcub16HIPCUB_304000_NS8EqualityEEEPlJS6_EEE10hipError_tPvRmT3_T4_T5_T6_T7_T9_mT8_P12ihipStream_tbDpT10_ENKUlT_T0_E_clISt17integral_constantIbLb1EES16_IbLb0EEEEDaS12_S13_EUlS12_E_NS1_11comp_targetILNS1_3genE4ELNS1_11target_archE910ELNS1_3gpuE8ELNS1_3repE0EEENS1_30default_config_static_selectorELNS0_4arch9wavefront6targetE1EEEvT1_.has_recursion, 0
	.set _ZN7rocprim17ROCPRIM_400000_NS6detail17trampoline_kernelINS0_14default_configENS1_25partition_config_selectorILNS1_17partition_subalgoE8EiNS0_10empty_typeEbEEZZNS1_14partition_implILS5_8ELb0ES3_jPKiPS6_PKS6_NS0_5tupleIJPiS6_EEENSE_IJSB_SB_EEENS0_18inequality_wrapperIN6hipcub16HIPCUB_304000_NS8EqualityEEEPlJS6_EEE10hipError_tPvRmT3_T4_T5_T6_T7_T9_mT8_P12ihipStream_tbDpT10_ENKUlT_T0_E_clISt17integral_constantIbLb1EES16_IbLb0EEEEDaS12_S13_EUlS12_E_NS1_11comp_targetILNS1_3genE4ELNS1_11target_archE910ELNS1_3gpuE8ELNS1_3repE0EEENS1_30default_config_static_selectorELNS0_4arch9wavefront6targetE1EEEvT1_.has_indirect_call, 0
	.section	.AMDGPU.csdata,"",@progbits
; Kernel info:
; codeLenInByte = 0
; TotalNumSgprs: 6
; NumVgprs: 0
; NumAgprs: 0
; TotalNumVgprs: 0
; ScratchSize: 0
; MemoryBound: 0
; FloatMode: 240
; IeeeMode: 1
; LDSByteSize: 0 bytes/workgroup (compile time only)
; SGPRBlocks: 0
; VGPRBlocks: 0
; NumSGPRsForWavesPerEU: 6
; NumVGPRsForWavesPerEU: 1
; AccumOffset: 4
; Occupancy: 8
; WaveLimiterHint : 0
; COMPUTE_PGM_RSRC2:SCRATCH_EN: 0
; COMPUTE_PGM_RSRC2:USER_SGPR: 2
; COMPUTE_PGM_RSRC2:TRAP_HANDLER: 0
; COMPUTE_PGM_RSRC2:TGID_X_EN: 1
; COMPUTE_PGM_RSRC2:TGID_Y_EN: 0
; COMPUTE_PGM_RSRC2:TGID_Z_EN: 0
; COMPUTE_PGM_RSRC2:TIDIG_COMP_CNT: 0
; COMPUTE_PGM_RSRC3_GFX90A:ACCUM_OFFSET: 0
; COMPUTE_PGM_RSRC3_GFX90A:TG_SPLIT: 0
	.section	.text._ZN7rocprim17ROCPRIM_400000_NS6detail17trampoline_kernelINS0_14default_configENS1_25partition_config_selectorILNS1_17partition_subalgoE8EiNS0_10empty_typeEbEEZZNS1_14partition_implILS5_8ELb0ES3_jPKiPS6_PKS6_NS0_5tupleIJPiS6_EEENSE_IJSB_SB_EEENS0_18inequality_wrapperIN6hipcub16HIPCUB_304000_NS8EqualityEEEPlJS6_EEE10hipError_tPvRmT3_T4_T5_T6_T7_T9_mT8_P12ihipStream_tbDpT10_ENKUlT_T0_E_clISt17integral_constantIbLb1EES16_IbLb0EEEEDaS12_S13_EUlS12_E_NS1_11comp_targetILNS1_3genE3ELNS1_11target_archE908ELNS1_3gpuE7ELNS1_3repE0EEENS1_30default_config_static_selectorELNS0_4arch9wavefront6targetE1EEEvT1_,"axG",@progbits,_ZN7rocprim17ROCPRIM_400000_NS6detail17trampoline_kernelINS0_14default_configENS1_25partition_config_selectorILNS1_17partition_subalgoE8EiNS0_10empty_typeEbEEZZNS1_14partition_implILS5_8ELb0ES3_jPKiPS6_PKS6_NS0_5tupleIJPiS6_EEENSE_IJSB_SB_EEENS0_18inequality_wrapperIN6hipcub16HIPCUB_304000_NS8EqualityEEEPlJS6_EEE10hipError_tPvRmT3_T4_T5_T6_T7_T9_mT8_P12ihipStream_tbDpT10_ENKUlT_T0_E_clISt17integral_constantIbLb1EES16_IbLb0EEEEDaS12_S13_EUlS12_E_NS1_11comp_targetILNS1_3genE3ELNS1_11target_archE908ELNS1_3gpuE7ELNS1_3repE0EEENS1_30default_config_static_selectorELNS0_4arch9wavefront6targetE1EEEvT1_,comdat
	.protected	_ZN7rocprim17ROCPRIM_400000_NS6detail17trampoline_kernelINS0_14default_configENS1_25partition_config_selectorILNS1_17partition_subalgoE8EiNS0_10empty_typeEbEEZZNS1_14partition_implILS5_8ELb0ES3_jPKiPS6_PKS6_NS0_5tupleIJPiS6_EEENSE_IJSB_SB_EEENS0_18inequality_wrapperIN6hipcub16HIPCUB_304000_NS8EqualityEEEPlJS6_EEE10hipError_tPvRmT3_T4_T5_T6_T7_T9_mT8_P12ihipStream_tbDpT10_ENKUlT_T0_E_clISt17integral_constantIbLb1EES16_IbLb0EEEEDaS12_S13_EUlS12_E_NS1_11comp_targetILNS1_3genE3ELNS1_11target_archE908ELNS1_3gpuE7ELNS1_3repE0EEENS1_30default_config_static_selectorELNS0_4arch9wavefront6targetE1EEEvT1_ ; -- Begin function _ZN7rocprim17ROCPRIM_400000_NS6detail17trampoline_kernelINS0_14default_configENS1_25partition_config_selectorILNS1_17partition_subalgoE8EiNS0_10empty_typeEbEEZZNS1_14partition_implILS5_8ELb0ES3_jPKiPS6_PKS6_NS0_5tupleIJPiS6_EEENSE_IJSB_SB_EEENS0_18inequality_wrapperIN6hipcub16HIPCUB_304000_NS8EqualityEEEPlJS6_EEE10hipError_tPvRmT3_T4_T5_T6_T7_T9_mT8_P12ihipStream_tbDpT10_ENKUlT_T0_E_clISt17integral_constantIbLb1EES16_IbLb0EEEEDaS12_S13_EUlS12_E_NS1_11comp_targetILNS1_3genE3ELNS1_11target_archE908ELNS1_3gpuE7ELNS1_3repE0EEENS1_30default_config_static_selectorELNS0_4arch9wavefront6targetE1EEEvT1_
	.globl	_ZN7rocprim17ROCPRIM_400000_NS6detail17trampoline_kernelINS0_14default_configENS1_25partition_config_selectorILNS1_17partition_subalgoE8EiNS0_10empty_typeEbEEZZNS1_14partition_implILS5_8ELb0ES3_jPKiPS6_PKS6_NS0_5tupleIJPiS6_EEENSE_IJSB_SB_EEENS0_18inequality_wrapperIN6hipcub16HIPCUB_304000_NS8EqualityEEEPlJS6_EEE10hipError_tPvRmT3_T4_T5_T6_T7_T9_mT8_P12ihipStream_tbDpT10_ENKUlT_T0_E_clISt17integral_constantIbLb1EES16_IbLb0EEEEDaS12_S13_EUlS12_E_NS1_11comp_targetILNS1_3genE3ELNS1_11target_archE908ELNS1_3gpuE7ELNS1_3repE0EEENS1_30default_config_static_selectorELNS0_4arch9wavefront6targetE1EEEvT1_
	.p2align	8
	.type	_ZN7rocprim17ROCPRIM_400000_NS6detail17trampoline_kernelINS0_14default_configENS1_25partition_config_selectorILNS1_17partition_subalgoE8EiNS0_10empty_typeEbEEZZNS1_14partition_implILS5_8ELb0ES3_jPKiPS6_PKS6_NS0_5tupleIJPiS6_EEENSE_IJSB_SB_EEENS0_18inequality_wrapperIN6hipcub16HIPCUB_304000_NS8EqualityEEEPlJS6_EEE10hipError_tPvRmT3_T4_T5_T6_T7_T9_mT8_P12ihipStream_tbDpT10_ENKUlT_T0_E_clISt17integral_constantIbLb1EES16_IbLb0EEEEDaS12_S13_EUlS12_E_NS1_11comp_targetILNS1_3genE3ELNS1_11target_archE908ELNS1_3gpuE7ELNS1_3repE0EEENS1_30default_config_static_selectorELNS0_4arch9wavefront6targetE1EEEvT1_,@function
_ZN7rocprim17ROCPRIM_400000_NS6detail17trampoline_kernelINS0_14default_configENS1_25partition_config_selectorILNS1_17partition_subalgoE8EiNS0_10empty_typeEbEEZZNS1_14partition_implILS5_8ELb0ES3_jPKiPS6_PKS6_NS0_5tupleIJPiS6_EEENSE_IJSB_SB_EEENS0_18inequality_wrapperIN6hipcub16HIPCUB_304000_NS8EqualityEEEPlJS6_EEE10hipError_tPvRmT3_T4_T5_T6_T7_T9_mT8_P12ihipStream_tbDpT10_ENKUlT_T0_E_clISt17integral_constantIbLb1EES16_IbLb0EEEEDaS12_S13_EUlS12_E_NS1_11comp_targetILNS1_3genE3ELNS1_11target_archE908ELNS1_3gpuE7ELNS1_3repE0EEENS1_30default_config_static_selectorELNS0_4arch9wavefront6targetE1EEEvT1_: ; @_ZN7rocprim17ROCPRIM_400000_NS6detail17trampoline_kernelINS0_14default_configENS1_25partition_config_selectorILNS1_17partition_subalgoE8EiNS0_10empty_typeEbEEZZNS1_14partition_implILS5_8ELb0ES3_jPKiPS6_PKS6_NS0_5tupleIJPiS6_EEENSE_IJSB_SB_EEENS0_18inequality_wrapperIN6hipcub16HIPCUB_304000_NS8EqualityEEEPlJS6_EEE10hipError_tPvRmT3_T4_T5_T6_T7_T9_mT8_P12ihipStream_tbDpT10_ENKUlT_T0_E_clISt17integral_constantIbLb1EES16_IbLb0EEEEDaS12_S13_EUlS12_E_NS1_11comp_targetILNS1_3genE3ELNS1_11target_archE908ELNS1_3gpuE7ELNS1_3repE0EEENS1_30default_config_static_selectorELNS0_4arch9wavefront6targetE1EEEvT1_
; %bb.0:
	.section	.rodata,"a",@progbits
	.p2align	6, 0x0
	.amdhsa_kernel _ZN7rocprim17ROCPRIM_400000_NS6detail17trampoline_kernelINS0_14default_configENS1_25partition_config_selectorILNS1_17partition_subalgoE8EiNS0_10empty_typeEbEEZZNS1_14partition_implILS5_8ELb0ES3_jPKiPS6_PKS6_NS0_5tupleIJPiS6_EEENSE_IJSB_SB_EEENS0_18inequality_wrapperIN6hipcub16HIPCUB_304000_NS8EqualityEEEPlJS6_EEE10hipError_tPvRmT3_T4_T5_T6_T7_T9_mT8_P12ihipStream_tbDpT10_ENKUlT_T0_E_clISt17integral_constantIbLb1EES16_IbLb0EEEEDaS12_S13_EUlS12_E_NS1_11comp_targetILNS1_3genE3ELNS1_11target_archE908ELNS1_3gpuE7ELNS1_3repE0EEENS1_30default_config_static_selectorELNS0_4arch9wavefront6targetE1EEEvT1_
		.amdhsa_group_segment_fixed_size 0
		.amdhsa_private_segment_fixed_size 0
		.amdhsa_kernarg_size 112
		.amdhsa_user_sgpr_count 2
		.amdhsa_user_sgpr_dispatch_ptr 0
		.amdhsa_user_sgpr_queue_ptr 0
		.amdhsa_user_sgpr_kernarg_segment_ptr 1
		.amdhsa_user_sgpr_dispatch_id 0
		.amdhsa_user_sgpr_kernarg_preload_length 0
		.amdhsa_user_sgpr_kernarg_preload_offset 0
		.amdhsa_user_sgpr_private_segment_size 0
		.amdhsa_uses_dynamic_stack 0
		.amdhsa_enable_private_segment 0
		.amdhsa_system_sgpr_workgroup_id_x 1
		.amdhsa_system_sgpr_workgroup_id_y 0
		.amdhsa_system_sgpr_workgroup_id_z 0
		.amdhsa_system_sgpr_workgroup_info 0
		.amdhsa_system_vgpr_workitem_id 0
		.amdhsa_next_free_vgpr 1
		.amdhsa_next_free_sgpr 0
		.amdhsa_accum_offset 4
		.amdhsa_reserve_vcc 0
		.amdhsa_float_round_mode_32 0
		.amdhsa_float_round_mode_16_64 0
		.amdhsa_float_denorm_mode_32 3
		.amdhsa_float_denorm_mode_16_64 3
		.amdhsa_dx10_clamp 1
		.amdhsa_ieee_mode 1
		.amdhsa_fp16_overflow 0
		.amdhsa_tg_split 0
		.amdhsa_exception_fp_ieee_invalid_op 0
		.amdhsa_exception_fp_denorm_src 0
		.amdhsa_exception_fp_ieee_div_zero 0
		.amdhsa_exception_fp_ieee_overflow 0
		.amdhsa_exception_fp_ieee_underflow 0
		.amdhsa_exception_fp_ieee_inexact 0
		.amdhsa_exception_int_div_zero 0
	.end_amdhsa_kernel
	.section	.text._ZN7rocprim17ROCPRIM_400000_NS6detail17trampoline_kernelINS0_14default_configENS1_25partition_config_selectorILNS1_17partition_subalgoE8EiNS0_10empty_typeEbEEZZNS1_14partition_implILS5_8ELb0ES3_jPKiPS6_PKS6_NS0_5tupleIJPiS6_EEENSE_IJSB_SB_EEENS0_18inequality_wrapperIN6hipcub16HIPCUB_304000_NS8EqualityEEEPlJS6_EEE10hipError_tPvRmT3_T4_T5_T6_T7_T9_mT8_P12ihipStream_tbDpT10_ENKUlT_T0_E_clISt17integral_constantIbLb1EES16_IbLb0EEEEDaS12_S13_EUlS12_E_NS1_11comp_targetILNS1_3genE3ELNS1_11target_archE908ELNS1_3gpuE7ELNS1_3repE0EEENS1_30default_config_static_selectorELNS0_4arch9wavefront6targetE1EEEvT1_,"axG",@progbits,_ZN7rocprim17ROCPRIM_400000_NS6detail17trampoline_kernelINS0_14default_configENS1_25partition_config_selectorILNS1_17partition_subalgoE8EiNS0_10empty_typeEbEEZZNS1_14partition_implILS5_8ELb0ES3_jPKiPS6_PKS6_NS0_5tupleIJPiS6_EEENSE_IJSB_SB_EEENS0_18inequality_wrapperIN6hipcub16HIPCUB_304000_NS8EqualityEEEPlJS6_EEE10hipError_tPvRmT3_T4_T5_T6_T7_T9_mT8_P12ihipStream_tbDpT10_ENKUlT_T0_E_clISt17integral_constantIbLb1EES16_IbLb0EEEEDaS12_S13_EUlS12_E_NS1_11comp_targetILNS1_3genE3ELNS1_11target_archE908ELNS1_3gpuE7ELNS1_3repE0EEENS1_30default_config_static_selectorELNS0_4arch9wavefront6targetE1EEEvT1_,comdat
.Lfunc_end207:
	.size	_ZN7rocprim17ROCPRIM_400000_NS6detail17trampoline_kernelINS0_14default_configENS1_25partition_config_selectorILNS1_17partition_subalgoE8EiNS0_10empty_typeEbEEZZNS1_14partition_implILS5_8ELb0ES3_jPKiPS6_PKS6_NS0_5tupleIJPiS6_EEENSE_IJSB_SB_EEENS0_18inequality_wrapperIN6hipcub16HIPCUB_304000_NS8EqualityEEEPlJS6_EEE10hipError_tPvRmT3_T4_T5_T6_T7_T9_mT8_P12ihipStream_tbDpT10_ENKUlT_T0_E_clISt17integral_constantIbLb1EES16_IbLb0EEEEDaS12_S13_EUlS12_E_NS1_11comp_targetILNS1_3genE3ELNS1_11target_archE908ELNS1_3gpuE7ELNS1_3repE0EEENS1_30default_config_static_selectorELNS0_4arch9wavefront6targetE1EEEvT1_, .Lfunc_end207-_ZN7rocprim17ROCPRIM_400000_NS6detail17trampoline_kernelINS0_14default_configENS1_25partition_config_selectorILNS1_17partition_subalgoE8EiNS0_10empty_typeEbEEZZNS1_14partition_implILS5_8ELb0ES3_jPKiPS6_PKS6_NS0_5tupleIJPiS6_EEENSE_IJSB_SB_EEENS0_18inequality_wrapperIN6hipcub16HIPCUB_304000_NS8EqualityEEEPlJS6_EEE10hipError_tPvRmT3_T4_T5_T6_T7_T9_mT8_P12ihipStream_tbDpT10_ENKUlT_T0_E_clISt17integral_constantIbLb1EES16_IbLb0EEEEDaS12_S13_EUlS12_E_NS1_11comp_targetILNS1_3genE3ELNS1_11target_archE908ELNS1_3gpuE7ELNS1_3repE0EEENS1_30default_config_static_selectorELNS0_4arch9wavefront6targetE1EEEvT1_
                                        ; -- End function
	.set _ZN7rocprim17ROCPRIM_400000_NS6detail17trampoline_kernelINS0_14default_configENS1_25partition_config_selectorILNS1_17partition_subalgoE8EiNS0_10empty_typeEbEEZZNS1_14partition_implILS5_8ELb0ES3_jPKiPS6_PKS6_NS0_5tupleIJPiS6_EEENSE_IJSB_SB_EEENS0_18inequality_wrapperIN6hipcub16HIPCUB_304000_NS8EqualityEEEPlJS6_EEE10hipError_tPvRmT3_T4_T5_T6_T7_T9_mT8_P12ihipStream_tbDpT10_ENKUlT_T0_E_clISt17integral_constantIbLb1EES16_IbLb0EEEEDaS12_S13_EUlS12_E_NS1_11comp_targetILNS1_3genE3ELNS1_11target_archE908ELNS1_3gpuE7ELNS1_3repE0EEENS1_30default_config_static_selectorELNS0_4arch9wavefront6targetE1EEEvT1_.num_vgpr, 0
	.set _ZN7rocprim17ROCPRIM_400000_NS6detail17trampoline_kernelINS0_14default_configENS1_25partition_config_selectorILNS1_17partition_subalgoE8EiNS0_10empty_typeEbEEZZNS1_14partition_implILS5_8ELb0ES3_jPKiPS6_PKS6_NS0_5tupleIJPiS6_EEENSE_IJSB_SB_EEENS0_18inequality_wrapperIN6hipcub16HIPCUB_304000_NS8EqualityEEEPlJS6_EEE10hipError_tPvRmT3_T4_T5_T6_T7_T9_mT8_P12ihipStream_tbDpT10_ENKUlT_T0_E_clISt17integral_constantIbLb1EES16_IbLb0EEEEDaS12_S13_EUlS12_E_NS1_11comp_targetILNS1_3genE3ELNS1_11target_archE908ELNS1_3gpuE7ELNS1_3repE0EEENS1_30default_config_static_selectorELNS0_4arch9wavefront6targetE1EEEvT1_.num_agpr, 0
	.set _ZN7rocprim17ROCPRIM_400000_NS6detail17trampoline_kernelINS0_14default_configENS1_25partition_config_selectorILNS1_17partition_subalgoE8EiNS0_10empty_typeEbEEZZNS1_14partition_implILS5_8ELb0ES3_jPKiPS6_PKS6_NS0_5tupleIJPiS6_EEENSE_IJSB_SB_EEENS0_18inequality_wrapperIN6hipcub16HIPCUB_304000_NS8EqualityEEEPlJS6_EEE10hipError_tPvRmT3_T4_T5_T6_T7_T9_mT8_P12ihipStream_tbDpT10_ENKUlT_T0_E_clISt17integral_constantIbLb1EES16_IbLb0EEEEDaS12_S13_EUlS12_E_NS1_11comp_targetILNS1_3genE3ELNS1_11target_archE908ELNS1_3gpuE7ELNS1_3repE0EEENS1_30default_config_static_selectorELNS0_4arch9wavefront6targetE1EEEvT1_.numbered_sgpr, 0
	.set _ZN7rocprim17ROCPRIM_400000_NS6detail17trampoline_kernelINS0_14default_configENS1_25partition_config_selectorILNS1_17partition_subalgoE8EiNS0_10empty_typeEbEEZZNS1_14partition_implILS5_8ELb0ES3_jPKiPS6_PKS6_NS0_5tupleIJPiS6_EEENSE_IJSB_SB_EEENS0_18inequality_wrapperIN6hipcub16HIPCUB_304000_NS8EqualityEEEPlJS6_EEE10hipError_tPvRmT3_T4_T5_T6_T7_T9_mT8_P12ihipStream_tbDpT10_ENKUlT_T0_E_clISt17integral_constantIbLb1EES16_IbLb0EEEEDaS12_S13_EUlS12_E_NS1_11comp_targetILNS1_3genE3ELNS1_11target_archE908ELNS1_3gpuE7ELNS1_3repE0EEENS1_30default_config_static_selectorELNS0_4arch9wavefront6targetE1EEEvT1_.num_named_barrier, 0
	.set _ZN7rocprim17ROCPRIM_400000_NS6detail17trampoline_kernelINS0_14default_configENS1_25partition_config_selectorILNS1_17partition_subalgoE8EiNS0_10empty_typeEbEEZZNS1_14partition_implILS5_8ELb0ES3_jPKiPS6_PKS6_NS0_5tupleIJPiS6_EEENSE_IJSB_SB_EEENS0_18inequality_wrapperIN6hipcub16HIPCUB_304000_NS8EqualityEEEPlJS6_EEE10hipError_tPvRmT3_T4_T5_T6_T7_T9_mT8_P12ihipStream_tbDpT10_ENKUlT_T0_E_clISt17integral_constantIbLb1EES16_IbLb0EEEEDaS12_S13_EUlS12_E_NS1_11comp_targetILNS1_3genE3ELNS1_11target_archE908ELNS1_3gpuE7ELNS1_3repE0EEENS1_30default_config_static_selectorELNS0_4arch9wavefront6targetE1EEEvT1_.private_seg_size, 0
	.set _ZN7rocprim17ROCPRIM_400000_NS6detail17trampoline_kernelINS0_14default_configENS1_25partition_config_selectorILNS1_17partition_subalgoE8EiNS0_10empty_typeEbEEZZNS1_14partition_implILS5_8ELb0ES3_jPKiPS6_PKS6_NS0_5tupleIJPiS6_EEENSE_IJSB_SB_EEENS0_18inequality_wrapperIN6hipcub16HIPCUB_304000_NS8EqualityEEEPlJS6_EEE10hipError_tPvRmT3_T4_T5_T6_T7_T9_mT8_P12ihipStream_tbDpT10_ENKUlT_T0_E_clISt17integral_constantIbLb1EES16_IbLb0EEEEDaS12_S13_EUlS12_E_NS1_11comp_targetILNS1_3genE3ELNS1_11target_archE908ELNS1_3gpuE7ELNS1_3repE0EEENS1_30default_config_static_selectorELNS0_4arch9wavefront6targetE1EEEvT1_.uses_vcc, 0
	.set _ZN7rocprim17ROCPRIM_400000_NS6detail17trampoline_kernelINS0_14default_configENS1_25partition_config_selectorILNS1_17partition_subalgoE8EiNS0_10empty_typeEbEEZZNS1_14partition_implILS5_8ELb0ES3_jPKiPS6_PKS6_NS0_5tupleIJPiS6_EEENSE_IJSB_SB_EEENS0_18inequality_wrapperIN6hipcub16HIPCUB_304000_NS8EqualityEEEPlJS6_EEE10hipError_tPvRmT3_T4_T5_T6_T7_T9_mT8_P12ihipStream_tbDpT10_ENKUlT_T0_E_clISt17integral_constantIbLb1EES16_IbLb0EEEEDaS12_S13_EUlS12_E_NS1_11comp_targetILNS1_3genE3ELNS1_11target_archE908ELNS1_3gpuE7ELNS1_3repE0EEENS1_30default_config_static_selectorELNS0_4arch9wavefront6targetE1EEEvT1_.uses_flat_scratch, 0
	.set _ZN7rocprim17ROCPRIM_400000_NS6detail17trampoline_kernelINS0_14default_configENS1_25partition_config_selectorILNS1_17partition_subalgoE8EiNS0_10empty_typeEbEEZZNS1_14partition_implILS5_8ELb0ES3_jPKiPS6_PKS6_NS0_5tupleIJPiS6_EEENSE_IJSB_SB_EEENS0_18inequality_wrapperIN6hipcub16HIPCUB_304000_NS8EqualityEEEPlJS6_EEE10hipError_tPvRmT3_T4_T5_T6_T7_T9_mT8_P12ihipStream_tbDpT10_ENKUlT_T0_E_clISt17integral_constantIbLb1EES16_IbLb0EEEEDaS12_S13_EUlS12_E_NS1_11comp_targetILNS1_3genE3ELNS1_11target_archE908ELNS1_3gpuE7ELNS1_3repE0EEENS1_30default_config_static_selectorELNS0_4arch9wavefront6targetE1EEEvT1_.has_dyn_sized_stack, 0
	.set _ZN7rocprim17ROCPRIM_400000_NS6detail17trampoline_kernelINS0_14default_configENS1_25partition_config_selectorILNS1_17partition_subalgoE8EiNS0_10empty_typeEbEEZZNS1_14partition_implILS5_8ELb0ES3_jPKiPS6_PKS6_NS0_5tupleIJPiS6_EEENSE_IJSB_SB_EEENS0_18inequality_wrapperIN6hipcub16HIPCUB_304000_NS8EqualityEEEPlJS6_EEE10hipError_tPvRmT3_T4_T5_T6_T7_T9_mT8_P12ihipStream_tbDpT10_ENKUlT_T0_E_clISt17integral_constantIbLb1EES16_IbLb0EEEEDaS12_S13_EUlS12_E_NS1_11comp_targetILNS1_3genE3ELNS1_11target_archE908ELNS1_3gpuE7ELNS1_3repE0EEENS1_30default_config_static_selectorELNS0_4arch9wavefront6targetE1EEEvT1_.has_recursion, 0
	.set _ZN7rocprim17ROCPRIM_400000_NS6detail17trampoline_kernelINS0_14default_configENS1_25partition_config_selectorILNS1_17partition_subalgoE8EiNS0_10empty_typeEbEEZZNS1_14partition_implILS5_8ELb0ES3_jPKiPS6_PKS6_NS0_5tupleIJPiS6_EEENSE_IJSB_SB_EEENS0_18inequality_wrapperIN6hipcub16HIPCUB_304000_NS8EqualityEEEPlJS6_EEE10hipError_tPvRmT3_T4_T5_T6_T7_T9_mT8_P12ihipStream_tbDpT10_ENKUlT_T0_E_clISt17integral_constantIbLb1EES16_IbLb0EEEEDaS12_S13_EUlS12_E_NS1_11comp_targetILNS1_3genE3ELNS1_11target_archE908ELNS1_3gpuE7ELNS1_3repE0EEENS1_30default_config_static_selectorELNS0_4arch9wavefront6targetE1EEEvT1_.has_indirect_call, 0
	.section	.AMDGPU.csdata,"",@progbits
; Kernel info:
; codeLenInByte = 0
; TotalNumSgprs: 6
; NumVgprs: 0
; NumAgprs: 0
; TotalNumVgprs: 0
; ScratchSize: 0
; MemoryBound: 0
; FloatMode: 240
; IeeeMode: 1
; LDSByteSize: 0 bytes/workgroup (compile time only)
; SGPRBlocks: 0
; VGPRBlocks: 0
; NumSGPRsForWavesPerEU: 6
; NumVGPRsForWavesPerEU: 1
; AccumOffset: 4
; Occupancy: 8
; WaveLimiterHint : 0
; COMPUTE_PGM_RSRC2:SCRATCH_EN: 0
; COMPUTE_PGM_RSRC2:USER_SGPR: 2
; COMPUTE_PGM_RSRC2:TRAP_HANDLER: 0
; COMPUTE_PGM_RSRC2:TGID_X_EN: 1
; COMPUTE_PGM_RSRC2:TGID_Y_EN: 0
; COMPUTE_PGM_RSRC2:TGID_Z_EN: 0
; COMPUTE_PGM_RSRC2:TIDIG_COMP_CNT: 0
; COMPUTE_PGM_RSRC3_GFX90A:ACCUM_OFFSET: 0
; COMPUTE_PGM_RSRC3_GFX90A:TG_SPLIT: 0
	.section	.text._ZN7rocprim17ROCPRIM_400000_NS6detail17trampoline_kernelINS0_14default_configENS1_25partition_config_selectorILNS1_17partition_subalgoE8EiNS0_10empty_typeEbEEZZNS1_14partition_implILS5_8ELb0ES3_jPKiPS6_PKS6_NS0_5tupleIJPiS6_EEENSE_IJSB_SB_EEENS0_18inequality_wrapperIN6hipcub16HIPCUB_304000_NS8EqualityEEEPlJS6_EEE10hipError_tPvRmT3_T4_T5_T6_T7_T9_mT8_P12ihipStream_tbDpT10_ENKUlT_T0_E_clISt17integral_constantIbLb1EES16_IbLb0EEEEDaS12_S13_EUlS12_E_NS1_11comp_targetILNS1_3genE2ELNS1_11target_archE906ELNS1_3gpuE6ELNS1_3repE0EEENS1_30default_config_static_selectorELNS0_4arch9wavefront6targetE1EEEvT1_,"axG",@progbits,_ZN7rocprim17ROCPRIM_400000_NS6detail17trampoline_kernelINS0_14default_configENS1_25partition_config_selectorILNS1_17partition_subalgoE8EiNS0_10empty_typeEbEEZZNS1_14partition_implILS5_8ELb0ES3_jPKiPS6_PKS6_NS0_5tupleIJPiS6_EEENSE_IJSB_SB_EEENS0_18inequality_wrapperIN6hipcub16HIPCUB_304000_NS8EqualityEEEPlJS6_EEE10hipError_tPvRmT3_T4_T5_T6_T7_T9_mT8_P12ihipStream_tbDpT10_ENKUlT_T0_E_clISt17integral_constantIbLb1EES16_IbLb0EEEEDaS12_S13_EUlS12_E_NS1_11comp_targetILNS1_3genE2ELNS1_11target_archE906ELNS1_3gpuE6ELNS1_3repE0EEENS1_30default_config_static_selectorELNS0_4arch9wavefront6targetE1EEEvT1_,comdat
	.protected	_ZN7rocprim17ROCPRIM_400000_NS6detail17trampoline_kernelINS0_14default_configENS1_25partition_config_selectorILNS1_17partition_subalgoE8EiNS0_10empty_typeEbEEZZNS1_14partition_implILS5_8ELb0ES3_jPKiPS6_PKS6_NS0_5tupleIJPiS6_EEENSE_IJSB_SB_EEENS0_18inequality_wrapperIN6hipcub16HIPCUB_304000_NS8EqualityEEEPlJS6_EEE10hipError_tPvRmT3_T4_T5_T6_T7_T9_mT8_P12ihipStream_tbDpT10_ENKUlT_T0_E_clISt17integral_constantIbLb1EES16_IbLb0EEEEDaS12_S13_EUlS12_E_NS1_11comp_targetILNS1_3genE2ELNS1_11target_archE906ELNS1_3gpuE6ELNS1_3repE0EEENS1_30default_config_static_selectorELNS0_4arch9wavefront6targetE1EEEvT1_ ; -- Begin function _ZN7rocprim17ROCPRIM_400000_NS6detail17trampoline_kernelINS0_14default_configENS1_25partition_config_selectorILNS1_17partition_subalgoE8EiNS0_10empty_typeEbEEZZNS1_14partition_implILS5_8ELb0ES3_jPKiPS6_PKS6_NS0_5tupleIJPiS6_EEENSE_IJSB_SB_EEENS0_18inequality_wrapperIN6hipcub16HIPCUB_304000_NS8EqualityEEEPlJS6_EEE10hipError_tPvRmT3_T4_T5_T6_T7_T9_mT8_P12ihipStream_tbDpT10_ENKUlT_T0_E_clISt17integral_constantIbLb1EES16_IbLb0EEEEDaS12_S13_EUlS12_E_NS1_11comp_targetILNS1_3genE2ELNS1_11target_archE906ELNS1_3gpuE6ELNS1_3repE0EEENS1_30default_config_static_selectorELNS0_4arch9wavefront6targetE1EEEvT1_
	.globl	_ZN7rocprim17ROCPRIM_400000_NS6detail17trampoline_kernelINS0_14default_configENS1_25partition_config_selectorILNS1_17partition_subalgoE8EiNS0_10empty_typeEbEEZZNS1_14partition_implILS5_8ELb0ES3_jPKiPS6_PKS6_NS0_5tupleIJPiS6_EEENSE_IJSB_SB_EEENS0_18inequality_wrapperIN6hipcub16HIPCUB_304000_NS8EqualityEEEPlJS6_EEE10hipError_tPvRmT3_T4_T5_T6_T7_T9_mT8_P12ihipStream_tbDpT10_ENKUlT_T0_E_clISt17integral_constantIbLb1EES16_IbLb0EEEEDaS12_S13_EUlS12_E_NS1_11comp_targetILNS1_3genE2ELNS1_11target_archE906ELNS1_3gpuE6ELNS1_3repE0EEENS1_30default_config_static_selectorELNS0_4arch9wavefront6targetE1EEEvT1_
	.p2align	8
	.type	_ZN7rocprim17ROCPRIM_400000_NS6detail17trampoline_kernelINS0_14default_configENS1_25partition_config_selectorILNS1_17partition_subalgoE8EiNS0_10empty_typeEbEEZZNS1_14partition_implILS5_8ELb0ES3_jPKiPS6_PKS6_NS0_5tupleIJPiS6_EEENSE_IJSB_SB_EEENS0_18inequality_wrapperIN6hipcub16HIPCUB_304000_NS8EqualityEEEPlJS6_EEE10hipError_tPvRmT3_T4_T5_T6_T7_T9_mT8_P12ihipStream_tbDpT10_ENKUlT_T0_E_clISt17integral_constantIbLb1EES16_IbLb0EEEEDaS12_S13_EUlS12_E_NS1_11comp_targetILNS1_3genE2ELNS1_11target_archE906ELNS1_3gpuE6ELNS1_3repE0EEENS1_30default_config_static_selectorELNS0_4arch9wavefront6targetE1EEEvT1_,@function
_ZN7rocprim17ROCPRIM_400000_NS6detail17trampoline_kernelINS0_14default_configENS1_25partition_config_selectorILNS1_17partition_subalgoE8EiNS0_10empty_typeEbEEZZNS1_14partition_implILS5_8ELb0ES3_jPKiPS6_PKS6_NS0_5tupleIJPiS6_EEENSE_IJSB_SB_EEENS0_18inequality_wrapperIN6hipcub16HIPCUB_304000_NS8EqualityEEEPlJS6_EEE10hipError_tPvRmT3_T4_T5_T6_T7_T9_mT8_P12ihipStream_tbDpT10_ENKUlT_T0_E_clISt17integral_constantIbLb1EES16_IbLb0EEEEDaS12_S13_EUlS12_E_NS1_11comp_targetILNS1_3genE2ELNS1_11target_archE906ELNS1_3gpuE6ELNS1_3repE0EEENS1_30default_config_static_selectorELNS0_4arch9wavefront6targetE1EEEvT1_: ; @_ZN7rocprim17ROCPRIM_400000_NS6detail17trampoline_kernelINS0_14default_configENS1_25partition_config_selectorILNS1_17partition_subalgoE8EiNS0_10empty_typeEbEEZZNS1_14partition_implILS5_8ELb0ES3_jPKiPS6_PKS6_NS0_5tupleIJPiS6_EEENSE_IJSB_SB_EEENS0_18inequality_wrapperIN6hipcub16HIPCUB_304000_NS8EqualityEEEPlJS6_EEE10hipError_tPvRmT3_T4_T5_T6_T7_T9_mT8_P12ihipStream_tbDpT10_ENKUlT_T0_E_clISt17integral_constantIbLb1EES16_IbLb0EEEEDaS12_S13_EUlS12_E_NS1_11comp_targetILNS1_3genE2ELNS1_11target_archE906ELNS1_3gpuE6ELNS1_3repE0EEENS1_30default_config_static_selectorELNS0_4arch9wavefront6targetE1EEEvT1_
; %bb.0:
	.section	.rodata,"a",@progbits
	.p2align	6, 0x0
	.amdhsa_kernel _ZN7rocprim17ROCPRIM_400000_NS6detail17trampoline_kernelINS0_14default_configENS1_25partition_config_selectorILNS1_17partition_subalgoE8EiNS0_10empty_typeEbEEZZNS1_14partition_implILS5_8ELb0ES3_jPKiPS6_PKS6_NS0_5tupleIJPiS6_EEENSE_IJSB_SB_EEENS0_18inequality_wrapperIN6hipcub16HIPCUB_304000_NS8EqualityEEEPlJS6_EEE10hipError_tPvRmT3_T4_T5_T6_T7_T9_mT8_P12ihipStream_tbDpT10_ENKUlT_T0_E_clISt17integral_constantIbLb1EES16_IbLb0EEEEDaS12_S13_EUlS12_E_NS1_11comp_targetILNS1_3genE2ELNS1_11target_archE906ELNS1_3gpuE6ELNS1_3repE0EEENS1_30default_config_static_selectorELNS0_4arch9wavefront6targetE1EEEvT1_
		.amdhsa_group_segment_fixed_size 0
		.amdhsa_private_segment_fixed_size 0
		.amdhsa_kernarg_size 112
		.amdhsa_user_sgpr_count 2
		.amdhsa_user_sgpr_dispatch_ptr 0
		.amdhsa_user_sgpr_queue_ptr 0
		.amdhsa_user_sgpr_kernarg_segment_ptr 1
		.amdhsa_user_sgpr_dispatch_id 0
		.amdhsa_user_sgpr_kernarg_preload_length 0
		.amdhsa_user_sgpr_kernarg_preload_offset 0
		.amdhsa_user_sgpr_private_segment_size 0
		.amdhsa_uses_dynamic_stack 0
		.amdhsa_enable_private_segment 0
		.amdhsa_system_sgpr_workgroup_id_x 1
		.amdhsa_system_sgpr_workgroup_id_y 0
		.amdhsa_system_sgpr_workgroup_id_z 0
		.amdhsa_system_sgpr_workgroup_info 0
		.amdhsa_system_vgpr_workitem_id 0
		.amdhsa_next_free_vgpr 1
		.amdhsa_next_free_sgpr 0
		.amdhsa_accum_offset 4
		.amdhsa_reserve_vcc 0
		.amdhsa_float_round_mode_32 0
		.amdhsa_float_round_mode_16_64 0
		.amdhsa_float_denorm_mode_32 3
		.amdhsa_float_denorm_mode_16_64 3
		.amdhsa_dx10_clamp 1
		.amdhsa_ieee_mode 1
		.amdhsa_fp16_overflow 0
		.amdhsa_tg_split 0
		.amdhsa_exception_fp_ieee_invalid_op 0
		.amdhsa_exception_fp_denorm_src 0
		.amdhsa_exception_fp_ieee_div_zero 0
		.amdhsa_exception_fp_ieee_overflow 0
		.amdhsa_exception_fp_ieee_underflow 0
		.amdhsa_exception_fp_ieee_inexact 0
		.amdhsa_exception_int_div_zero 0
	.end_amdhsa_kernel
	.section	.text._ZN7rocprim17ROCPRIM_400000_NS6detail17trampoline_kernelINS0_14default_configENS1_25partition_config_selectorILNS1_17partition_subalgoE8EiNS0_10empty_typeEbEEZZNS1_14partition_implILS5_8ELb0ES3_jPKiPS6_PKS6_NS0_5tupleIJPiS6_EEENSE_IJSB_SB_EEENS0_18inequality_wrapperIN6hipcub16HIPCUB_304000_NS8EqualityEEEPlJS6_EEE10hipError_tPvRmT3_T4_T5_T6_T7_T9_mT8_P12ihipStream_tbDpT10_ENKUlT_T0_E_clISt17integral_constantIbLb1EES16_IbLb0EEEEDaS12_S13_EUlS12_E_NS1_11comp_targetILNS1_3genE2ELNS1_11target_archE906ELNS1_3gpuE6ELNS1_3repE0EEENS1_30default_config_static_selectorELNS0_4arch9wavefront6targetE1EEEvT1_,"axG",@progbits,_ZN7rocprim17ROCPRIM_400000_NS6detail17trampoline_kernelINS0_14default_configENS1_25partition_config_selectorILNS1_17partition_subalgoE8EiNS0_10empty_typeEbEEZZNS1_14partition_implILS5_8ELb0ES3_jPKiPS6_PKS6_NS0_5tupleIJPiS6_EEENSE_IJSB_SB_EEENS0_18inequality_wrapperIN6hipcub16HIPCUB_304000_NS8EqualityEEEPlJS6_EEE10hipError_tPvRmT3_T4_T5_T6_T7_T9_mT8_P12ihipStream_tbDpT10_ENKUlT_T0_E_clISt17integral_constantIbLb1EES16_IbLb0EEEEDaS12_S13_EUlS12_E_NS1_11comp_targetILNS1_3genE2ELNS1_11target_archE906ELNS1_3gpuE6ELNS1_3repE0EEENS1_30default_config_static_selectorELNS0_4arch9wavefront6targetE1EEEvT1_,comdat
.Lfunc_end208:
	.size	_ZN7rocprim17ROCPRIM_400000_NS6detail17trampoline_kernelINS0_14default_configENS1_25partition_config_selectorILNS1_17partition_subalgoE8EiNS0_10empty_typeEbEEZZNS1_14partition_implILS5_8ELb0ES3_jPKiPS6_PKS6_NS0_5tupleIJPiS6_EEENSE_IJSB_SB_EEENS0_18inequality_wrapperIN6hipcub16HIPCUB_304000_NS8EqualityEEEPlJS6_EEE10hipError_tPvRmT3_T4_T5_T6_T7_T9_mT8_P12ihipStream_tbDpT10_ENKUlT_T0_E_clISt17integral_constantIbLb1EES16_IbLb0EEEEDaS12_S13_EUlS12_E_NS1_11comp_targetILNS1_3genE2ELNS1_11target_archE906ELNS1_3gpuE6ELNS1_3repE0EEENS1_30default_config_static_selectorELNS0_4arch9wavefront6targetE1EEEvT1_, .Lfunc_end208-_ZN7rocprim17ROCPRIM_400000_NS6detail17trampoline_kernelINS0_14default_configENS1_25partition_config_selectorILNS1_17partition_subalgoE8EiNS0_10empty_typeEbEEZZNS1_14partition_implILS5_8ELb0ES3_jPKiPS6_PKS6_NS0_5tupleIJPiS6_EEENSE_IJSB_SB_EEENS0_18inequality_wrapperIN6hipcub16HIPCUB_304000_NS8EqualityEEEPlJS6_EEE10hipError_tPvRmT3_T4_T5_T6_T7_T9_mT8_P12ihipStream_tbDpT10_ENKUlT_T0_E_clISt17integral_constantIbLb1EES16_IbLb0EEEEDaS12_S13_EUlS12_E_NS1_11comp_targetILNS1_3genE2ELNS1_11target_archE906ELNS1_3gpuE6ELNS1_3repE0EEENS1_30default_config_static_selectorELNS0_4arch9wavefront6targetE1EEEvT1_
                                        ; -- End function
	.set _ZN7rocprim17ROCPRIM_400000_NS6detail17trampoline_kernelINS0_14default_configENS1_25partition_config_selectorILNS1_17partition_subalgoE8EiNS0_10empty_typeEbEEZZNS1_14partition_implILS5_8ELb0ES3_jPKiPS6_PKS6_NS0_5tupleIJPiS6_EEENSE_IJSB_SB_EEENS0_18inequality_wrapperIN6hipcub16HIPCUB_304000_NS8EqualityEEEPlJS6_EEE10hipError_tPvRmT3_T4_T5_T6_T7_T9_mT8_P12ihipStream_tbDpT10_ENKUlT_T0_E_clISt17integral_constantIbLb1EES16_IbLb0EEEEDaS12_S13_EUlS12_E_NS1_11comp_targetILNS1_3genE2ELNS1_11target_archE906ELNS1_3gpuE6ELNS1_3repE0EEENS1_30default_config_static_selectorELNS0_4arch9wavefront6targetE1EEEvT1_.num_vgpr, 0
	.set _ZN7rocprim17ROCPRIM_400000_NS6detail17trampoline_kernelINS0_14default_configENS1_25partition_config_selectorILNS1_17partition_subalgoE8EiNS0_10empty_typeEbEEZZNS1_14partition_implILS5_8ELb0ES3_jPKiPS6_PKS6_NS0_5tupleIJPiS6_EEENSE_IJSB_SB_EEENS0_18inequality_wrapperIN6hipcub16HIPCUB_304000_NS8EqualityEEEPlJS6_EEE10hipError_tPvRmT3_T4_T5_T6_T7_T9_mT8_P12ihipStream_tbDpT10_ENKUlT_T0_E_clISt17integral_constantIbLb1EES16_IbLb0EEEEDaS12_S13_EUlS12_E_NS1_11comp_targetILNS1_3genE2ELNS1_11target_archE906ELNS1_3gpuE6ELNS1_3repE0EEENS1_30default_config_static_selectorELNS0_4arch9wavefront6targetE1EEEvT1_.num_agpr, 0
	.set _ZN7rocprim17ROCPRIM_400000_NS6detail17trampoline_kernelINS0_14default_configENS1_25partition_config_selectorILNS1_17partition_subalgoE8EiNS0_10empty_typeEbEEZZNS1_14partition_implILS5_8ELb0ES3_jPKiPS6_PKS6_NS0_5tupleIJPiS6_EEENSE_IJSB_SB_EEENS0_18inequality_wrapperIN6hipcub16HIPCUB_304000_NS8EqualityEEEPlJS6_EEE10hipError_tPvRmT3_T4_T5_T6_T7_T9_mT8_P12ihipStream_tbDpT10_ENKUlT_T0_E_clISt17integral_constantIbLb1EES16_IbLb0EEEEDaS12_S13_EUlS12_E_NS1_11comp_targetILNS1_3genE2ELNS1_11target_archE906ELNS1_3gpuE6ELNS1_3repE0EEENS1_30default_config_static_selectorELNS0_4arch9wavefront6targetE1EEEvT1_.numbered_sgpr, 0
	.set _ZN7rocprim17ROCPRIM_400000_NS6detail17trampoline_kernelINS0_14default_configENS1_25partition_config_selectorILNS1_17partition_subalgoE8EiNS0_10empty_typeEbEEZZNS1_14partition_implILS5_8ELb0ES3_jPKiPS6_PKS6_NS0_5tupleIJPiS6_EEENSE_IJSB_SB_EEENS0_18inequality_wrapperIN6hipcub16HIPCUB_304000_NS8EqualityEEEPlJS6_EEE10hipError_tPvRmT3_T4_T5_T6_T7_T9_mT8_P12ihipStream_tbDpT10_ENKUlT_T0_E_clISt17integral_constantIbLb1EES16_IbLb0EEEEDaS12_S13_EUlS12_E_NS1_11comp_targetILNS1_3genE2ELNS1_11target_archE906ELNS1_3gpuE6ELNS1_3repE0EEENS1_30default_config_static_selectorELNS0_4arch9wavefront6targetE1EEEvT1_.num_named_barrier, 0
	.set _ZN7rocprim17ROCPRIM_400000_NS6detail17trampoline_kernelINS0_14default_configENS1_25partition_config_selectorILNS1_17partition_subalgoE8EiNS0_10empty_typeEbEEZZNS1_14partition_implILS5_8ELb0ES3_jPKiPS6_PKS6_NS0_5tupleIJPiS6_EEENSE_IJSB_SB_EEENS0_18inequality_wrapperIN6hipcub16HIPCUB_304000_NS8EqualityEEEPlJS6_EEE10hipError_tPvRmT3_T4_T5_T6_T7_T9_mT8_P12ihipStream_tbDpT10_ENKUlT_T0_E_clISt17integral_constantIbLb1EES16_IbLb0EEEEDaS12_S13_EUlS12_E_NS1_11comp_targetILNS1_3genE2ELNS1_11target_archE906ELNS1_3gpuE6ELNS1_3repE0EEENS1_30default_config_static_selectorELNS0_4arch9wavefront6targetE1EEEvT1_.private_seg_size, 0
	.set _ZN7rocprim17ROCPRIM_400000_NS6detail17trampoline_kernelINS0_14default_configENS1_25partition_config_selectorILNS1_17partition_subalgoE8EiNS0_10empty_typeEbEEZZNS1_14partition_implILS5_8ELb0ES3_jPKiPS6_PKS6_NS0_5tupleIJPiS6_EEENSE_IJSB_SB_EEENS0_18inequality_wrapperIN6hipcub16HIPCUB_304000_NS8EqualityEEEPlJS6_EEE10hipError_tPvRmT3_T4_T5_T6_T7_T9_mT8_P12ihipStream_tbDpT10_ENKUlT_T0_E_clISt17integral_constantIbLb1EES16_IbLb0EEEEDaS12_S13_EUlS12_E_NS1_11comp_targetILNS1_3genE2ELNS1_11target_archE906ELNS1_3gpuE6ELNS1_3repE0EEENS1_30default_config_static_selectorELNS0_4arch9wavefront6targetE1EEEvT1_.uses_vcc, 0
	.set _ZN7rocprim17ROCPRIM_400000_NS6detail17trampoline_kernelINS0_14default_configENS1_25partition_config_selectorILNS1_17partition_subalgoE8EiNS0_10empty_typeEbEEZZNS1_14partition_implILS5_8ELb0ES3_jPKiPS6_PKS6_NS0_5tupleIJPiS6_EEENSE_IJSB_SB_EEENS0_18inequality_wrapperIN6hipcub16HIPCUB_304000_NS8EqualityEEEPlJS6_EEE10hipError_tPvRmT3_T4_T5_T6_T7_T9_mT8_P12ihipStream_tbDpT10_ENKUlT_T0_E_clISt17integral_constantIbLb1EES16_IbLb0EEEEDaS12_S13_EUlS12_E_NS1_11comp_targetILNS1_3genE2ELNS1_11target_archE906ELNS1_3gpuE6ELNS1_3repE0EEENS1_30default_config_static_selectorELNS0_4arch9wavefront6targetE1EEEvT1_.uses_flat_scratch, 0
	.set _ZN7rocprim17ROCPRIM_400000_NS6detail17trampoline_kernelINS0_14default_configENS1_25partition_config_selectorILNS1_17partition_subalgoE8EiNS0_10empty_typeEbEEZZNS1_14partition_implILS5_8ELb0ES3_jPKiPS6_PKS6_NS0_5tupleIJPiS6_EEENSE_IJSB_SB_EEENS0_18inequality_wrapperIN6hipcub16HIPCUB_304000_NS8EqualityEEEPlJS6_EEE10hipError_tPvRmT3_T4_T5_T6_T7_T9_mT8_P12ihipStream_tbDpT10_ENKUlT_T0_E_clISt17integral_constantIbLb1EES16_IbLb0EEEEDaS12_S13_EUlS12_E_NS1_11comp_targetILNS1_3genE2ELNS1_11target_archE906ELNS1_3gpuE6ELNS1_3repE0EEENS1_30default_config_static_selectorELNS0_4arch9wavefront6targetE1EEEvT1_.has_dyn_sized_stack, 0
	.set _ZN7rocprim17ROCPRIM_400000_NS6detail17trampoline_kernelINS0_14default_configENS1_25partition_config_selectorILNS1_17partition_subalgoE8EiNS0_10empty_typeEbEEZZNS1_14partition_implILS5_8ELb0ES3_jPKiPS6_PKS6_NS0_5tupleIJPiS6_EEENSE_IJSB_SB_EEENS0_18inequality_wrapperIN6hipcub16HIPCUB_304000_NS8EqualityEEEPlJS6_EEE10hipError_tPvRmT3_T4_T5_T6_T7_T9_mT8_P12ihipStream_tbDpT10_ENKUlT_T0_E_clISt17integral_constantIbLb1EES16_IbLb0EEEEDaS12_S13_EUlS12_E_NS1_11comp_targetILNS1_3genE2ELNS1_11target_archE906ELNS1_3gpuE6ELNS1_3repE0EEENS1_30default_config_static_selectorELNS0_4arch9wavefront6targetE1EEEvT1_.has_recursion, 0
	.set _ZN7rocprim17ROCPRIM_400000_NS6detail17trampoline_kernelINS0_14default_configENS1_25partition_config_selectorILNS1_17partition_subalgoE8EiNS0_10empty_typeEbEEZZNS1_14partition_implILS5_8ELb0ES3_jPKiPS6_PKS6_NS0_5tupleIJPiS6_EEENSE_IJSB_SB_EEENS0_18inequality_wrapperIN6hipcub16HIPCUB_304000_NS8EqualityEEEPlJS6_EEE10hipError_tPvRmT3_T4_T5_T6_T7_T9_mT8_P12ihipStream_tbDpT10_ENKUlT_T0_E_clISt17integral_constantIbLb1EES16_IbLb0EEEEDaS12_S13_EUlS12_E_NS1_11comp_targetILNS1_3genE2ELNS1_11target_archE906ELNS1_3gpuE6ELNS1_3repE0EEENS1_30default_config_static_selectorELNS0_4arch9wavefront6targetE1EEEvT1_.has_indirect_call, 0
	.section	.AMDGPU.csdata,"",@progbits
; Kernel info:
; codeLenInByte = 0
; TotalNumSgprs: 6
; NumVgprs: 0
; NumAgprs: 0
; TotalNumVgprs: 0
; ScratchSize: 0
; MemoryBound: 0
; FloatMode: 240
; IeeeMode: 1
; LDSByteSize: 0 bytes/workgroup (compile time only)
; SGPRBlocks: 0
; VGPRBlocks: 0
; NumSGPRsForWavesPerEU: 6
; NumVGPRsForWavesPerEU: 1
; AccumOffset: 4
; Occupancy: 8
; WaveLimiterHint : 0
; COMPUTE_PGM_RSRC2:SCRATCH_EN: 0
; COMPUTE_PGM_RSRC2:USER_SGPR: 2
; COMPUTE_PGM_RSRC2:TRAP_HANDLER: 0
; COMPUTE_PGM_RSRC2:TGID_X_EN: 1
; COMPUTE_PGM_RSRC2:TGID_Y_EN: 0
; COMPUTE_PGM_RSRC2:TGID_Z_EN: 0
; COMPUTE_PGM_RSRC2:TIDIG_COMP_CNT: 0
; COMPUTE_PGM_RSRC3_GFX90A:ACCUM_OFFSET: 0
; COMPUTE_PGM_RSRC3_GFX90A:TG_SPLIT: 0
	.section	.text._ZN7rocprim17ROCPRIM_400000_NS6detail17trampoline_kernelINS0_14default_configENS1_25partition_config_selectorILNS1_17partition_subalgoE8EiNS0_10empty_typeEbEEZZNS1_14partition_implILS5_8ELb0ES3_jPKiPS6_PKS6_NS0_5tupleIJPiS6_EEENSE_IJSB_SB_EEENS0_18inequality_wrapperIN6hipcub16HIPCUB_304000_NS8EqualityEEEPlJS6_EEE10hipError_tPvRmT3_T4_T5_T6_T7_T9_mT8_P12ihipStream_tbDpT10_ENKUlT_T0_E_clISt17integral_constantIbLb1EES16_IbLb0EEEEDaS12_S13_EUlS12_E_NS1_11comp_targetILNS1_3genE10ELNS1_11target_archE1200ELNS1_3gpuE4ELNS1_3repE0EEENS1_30default_config_static_selectorELNS0_4arch9wavefront6targetE1EEEvT1_,"axG",@progbits,_ZN7rocprim17ROCPRIM_400000_NS6detail17trampoline_kernelINS0_14default_configENS1_25partition_config_selectorILNS1_17partition_subalgoE8EiNS0_10empty_typeEbEEZZNS1_14partition_implILS5_8ELb0ES3_jPKiPS6_PKS6_NS0_5tupleIJPiS6_EEENSE_IJSB_SB_EEENS0_18inequality_wrapperIN6hipcub16HIPCUB_304000_NS8EqualityEEEPlJS6_EEE10hipError_tPvRmT3_T4_T5_T6_T7_T9_mT8_P12ihipStream_tbDpT10_ENKUlT_T0_E_clISt17integral_constantIbLb1EES16_IbLb0EEEEDaS12_S13_EUlS12_E_NS1_11comp_targetILNS1_3genE10ELNS1_11target_archE1200ELNS1_3gpuE4ELNS1_3repE0EEENS1_30default_config_static_selectorELNS0_4arch9wavefront6targetE1EEEvT1_,comdat
	.protected	_ZN7rocprim17ROCPRIM_400000_NS6detail17trampoline_kernelINS0_14default_configENS1_25partition_config_selectorILNS1_17partition_subalgoE8EiNS0_10empty_typeEbEEZZNS1_14partition_implILS5_8ELb0ES3_jPKiPS6_PKS6_NS0_5tupleIJPiS6_EEENSE_IJSB_SB_EEENS0_18inequality_wrapperIN6hipcub16HIPCUB_304000_NS8EqualityEEEPlJS6_EEE10hipError_tPvRmT3_T4_T5_T6_T7_T9_mT8_P12ihipStream_tbDpT10_ENKUlT_T0_E_clISt17integral_constantIbLb1EES16_IbLb0EEEEDaS12_S13_EUlS12_E_NS1_11comp_targetILNS1_3genE10ELNS1_11target_archE1200ELNS1_3gpuE4ELNS1_3repE0EEENS1_30default_config_static_selectorELNS0_4arch9wavefront6targetE1EEEvT1_ ; -- Begin function _ZN7rocprim17ROCPRIM_400000_NS6detail17trampoline_kernelINS0_14default_configENS1_25partition_config_selectorILNS1_17partition_subalgoE8EiNS0_10empty_typeEbEEZZNS1_14partition_implILS5_8ELb0ES3_jPKiPS6_PKS6_NS0_5tupleIJPiS6_EEENSE_IJSB_SB_EEENS0_18inequality_wrapperIN6hipcub16HIPCUB_304000_NS8EqualityEEEPlJS6_EEE10hipError_tPvRmT3_T4_T5_T6_T7_T9_mT8_P12ihipStream_tbDpT10_ENKUlT_T0_E_clISt17integral_constantIbLb1EES16_IbLb0EEEEDaS12_S13_EUlS12_E_NS1_11comp_targetILNS1_3genE10ELNS1_11target_archE1200ELNS1_3gpuE4ELNS1_3repE0EEENS1_30default_config_static_selectorELNS0_4arch9wavefront6targetE1EEEvT1_
	.globl	_ZN7rocprim17ROCPRIM_400000_NS6detail17trampoline_kernelINS0_14default_configENS1_25partition_config_selectorILNS1_17partition_subalgoE8EiNS0_10empty_typeEbEEZZNS1_14partition_implILS5_8ELb0ES3_jPKiPS6_PKS6_NS0_5tupleIJPiS6_EEENSE_IJSB_SB_EEENS0_18inequality_wrapperIN6hipcub16HIPCUB_304000_NS8EqualityEEEPlJS6_EEE10hipError_tPvRmT3_T4_T5_T6_T7_T9_mT8_P12ihipStream_tbDpT10_ENKUlT_T0_E_clISt17integral_constantIbLb1EES16_IbLb0EEEEDaS12_S13_EUlS12_E_NS1_11comp_targetILNS1_3genE10ELNS1_11target_archE1200ELNS1_3gpuE4ELNS1_3repE0EEENS1_30default_config_static_selectorELNS0_4arch9wavefront6targetE1EEEvT1_
	.p2align	8
	.type	_ZN7rocprim17ROCPRIM_400000_NS6detail17trampoline_kernelINS0_14default_configENS1_25partition_config_selectorILNS1_17partition_subalgoE8EiNS0_10empty_typeEbEEZZNS1_14partition_implILS5_8ELb0ES3_jPKiPS6_PKS6_NS0_5tupleIJPiS6_EEENSE_IJSB_SB_EEENS0_18inequality_wrapperIN6hipcub16HIPCUB_304000_NS8EqualityEEEPlJS6_EEE10hipError_tPvRmT3_T4_T5_T6_T7_T9_mT8_P12ihipStream_tbDpT10_ENKUlT_T0_E_clISt17integral_constantIbLb1EES16_IbLb0EEEEDaS12_S13_EUlS12_E_NS1_11comp_targetILNS1_3genE10ELNS1_11target_archE1200ELNS1_3gpuE4ELNS1_3repE0EEENS1_30default_config_static_selectorELNS0_4arch9wavefront6targetE1EEEvT1_,@function
_ZN7rocprim17ROCPRIM_400000_NS6detail17trampoline_kernelINS0_14default_configENS1_25partition_config_selectorILNS1_17partition_subalgoE8EiNS0_10empty_typeEbEEZZNS1_14partition_implILS5_8ELb0ES3_jPKiPS6_PKS6_NS0_5tupleIJPiS6_EEENSE_IJSB_SB_EEENS0_18inequality_wrapperIN6hipcub16HIPCUB_304000_NS8EqualityEEEPlJS6_EEE10hipError_tPvRmT3_T4_T5_T6_T7_T9_mT8_P12ihipStream_tbDpT10_ENKUlT_T0_E_clISt17integral_constantIbLb1EES16_IbLb0EEEEDaS12_S13_EUlS12_E_NS1_11comp_targetILNS1_3genE10ELNS1_11target_archE1200ELNS1_3gpuE4ELNS1_3repE0EEENS1_30default_config_static_selectorELNS0_4arch9wavefront6targetE1EEEvT1_: ; @_ZN7rocprim17ROCPRIM_400000_NS6detail17trampoline_kernelINS0_14default_configENS1_25partition_config_selectorILNS1_17partition_subalgoE8EiNS0_10empty_typeEbEEZZNS1_14partition_implILS5_8ELb0ES3_jPKiPS6_PKS6_NS0_5tupleIJPiS6_EEENSE_IJSB_SB_EEENS0_18inequality_wrapperIN6hipcub16HIPCUB_304000_NS8EqualityEEEPlJS6_EEE10hipError_tPvRmT3_T4_T5_T6_T7_T9_mT8_P12ihipStream_tbDpT10_ENKUlT_T0_E_clISt17integral_constantIbLb1EES16_IbLb0EEEEDaS12_S13_EUlS12_E_NS1_11comp_targetILNS1_3genE10ELNS1_11target_archE1200ELNS1_3gpuE4ELNS1_3repE0EEENS1_30default_config_static_selectorELNS0_4arch9wavefront6targetE1EEEvT1_
; %bb.0:
	.section	.rodata,"a",@progbits
	.p2align	6, 0x0
	.amdhsa_kernel _ZN7rocprim17ROCPRIM_400000_NS6detail17trampoline_kernelINS0_14default_configENS1_25partition_config_selectorILNS1_17partition_subalgoE8EiNS0_10empty_typeEbEEZZNS1_14partition_implILS5_8ELb0ES3_jPKiPS6_PKS6_NS0_5tupleIJPiS6_EEENSE_IJSB_SB_EEENS0_18inequality_wrapperIN6hipcub16HIPCUB_304000_NS8EqualityEEEPlJS6_EEE10hipError_tPvRmT3_T4_T5_T6_T7_T9_mT8_P12ihipStream_tbDpT10_ENKUlT_T0_E_clISt17integral_constantIbLb1EES16_IbLb0EEEEDaS12_S13_EUlS12_E_NS1_11comp_targetILNS1_3genE10ELNS1_11target_archE1200ELNS1_3gpuE4ELNS1_3repE0EEENS1_30default_config_static_selectorELNS0_4arch9wavefront6targetE1EEEvT1_
		.amdhsa_group_segment_fixed_size 0
		.amdhsa_private_segment_fixed_size 0
		.amdhsa_kernarg_size 112
		.amdhsa_user_sgpr_count 2
		.amdhsa_user_sgpr_dispatch_ptr 0
		.amdhsa_user_sgpr_queue_ptr 0
		.amdhsa_user_sgpr_kernarg_segment_ptr 1
		.amdhsa_user_sgpr_dispatch_id 0
		.amdhsa_user_sgpr_kernarg_preload_length 0
		.amdhsa_user_sgpr_kernarg_preload_offset 0
		.amdhsa_user_sgpr_private_segment_size 0
		.amdhsa_uses_dynamic_stack 0
		.amdhsa_enable_private_segment 0
		.amdhsa_system_sgpr_workgroup_id_x 1
		.amdhsa_system_sgpr_workgroup_id_y 0
		.amdhsa_system_sgpr_workgroup_id_z 0
		.amdhsa_system_sgpr_workgroup_info 0
		.amdhsa_system_vgpr_workitem_id 0
		.amdhsa_next_free_vgpr 1
		.amdhsa_next_free_sgpr 0
		.amdhsa_accum_offset 4
		.amdhsa_reserve_vcc 0
		.amdhsa_float_round_mode_32 0
		.amdhsa_float_round_mode_16_64 0
		.amdhsa_float_denorm_mode_32 3
		.amdhsa_float_denorm_mode_16_64 3
		.amdhsa_dx10_clamp 1
		.amdhsa_ieee_mode 1
		.amdhsa_fp16_overflow 0
		.amdhsa_tg_split 0
		.amdhsa_exception_fp_ieee_invalid_op 0
		.amdhsa_exception_fp_denorm_src 0
		.amdhsa_exception_fp_ieee_div_zero 0
		.amdhsa_exception_fp_ieee_overflow 0
		.amdhsa_exception_fp_ieee_underflow 0
		.amdhsa_exception_fp_ieee_inexact 0
		.amdhsa_exception_int_div_zero 0
	.end_amdhsa_kernel
	.section	.text._ZN7rocprim17ROCPRIM_400000_NS6detail17trampoline_kernelINS0_14default_configENS1_25partition_config_selectorILNS1_17partition_subalgoE8EiNS0_10empty_typeEbEEZZNS1_14partition_implILS5_8ELb0ES3_jPKiPS6_PKS6_NS0_5tupleIJPiS6_EEENSE_IJSB_SB_EEENS0_18inequality_wrapperIN6hipcub16HIPCUB_304000_NS8EqualityEEEPlJS6_EEE10hipError_tPvRmT3_T4_T5_T6_T7_T9_mT8_P12ihipStream_tbDpT10_ENKUlT_T0_E_clISt17integral_constantIbLb1EES16_IbLb0EEEEDaS12_S13_EUlS12_E_NS1_11comp_targetILNS1_3genE10ELNS1_11target_archE1200ELNS1_3gpuE4ELNS1_3repE0EEENS1_30default_config_static_selectorELNS0_4arch9wavefront6targetE1EEEvT1_,"axG",@progbits,_ZN7rocprim17ROCPRIM_400000_NS6detail17trampoline_kernelINS0_14default_configENS1_25partition_config_selectorILNS1_17partition_subalgoE8EiNS0_10empty_typeEbEEZZNS1_14partition_implILS5_8ELb0ES3_jPKiPS6_PKS6_NS0_5tupleIJPiS6_EEENSE_IJSB_SB_EEENS0_18inequality_wrapperIN6hipcub16HIPCUB_304000_NS8EqualityEEEPlJS6_EEE10hipError_tPvRmT3_T4_T5_T6_T7_T9_mT8_P12ihipStream_tbDpT10_ENKUlT_T0_E_clISt17integral_constantIbLb1EES16_IbLb0EEEEDaS12_S13_EUlS12_E_NS1_11comp_targetILNS1_3genE10ELNS1_11target_archE1200ELNS1_3gpuE4ELNS1_3repE0EEENS1_30default_config_static_selectorELNS0_4arch9wavefront6targetE1EEEvT1_,comdat
.Lfunc_end209:
	.size	_ZN7rocprim17ROCPRIM_400000_NS6detail17trampoline_kernelINS0_14default_configENS1_25partition_config_selectorILNS1_17partition_subalgoE8EiNS0_10empty_typeEbEEZZNS1_14partition_implILS5_8ELb0ES3_jPKiPS6_PKS6_NS0_5tupleIJPiS6_EEENSE_IJSB_SB_EEENS0_18inequality_wrapperIN6hipcub16HIPCUB_304000_NS8EqualityEEEPlJS6_EEE10hipError_tPvRmT3_T4_T5_T6_T7_T9_mT8_P12ihipStream_tbDpT10_ENKUlT_T0_E_clISt17integral_constantIbLb1EES16_IbLb0EEEEDaS12_S13_EUlS12_E_NS1_11comp_targetILNS1_3genE10ELNS1_11target_archE1200ELNS1_3gpuE4ELNS1_3repE0EEENS1_30default_config_static_selectorELNS0_4arch9wavefront6targetE1EEEvT1_, .Lfunc_end209-_ZN7rocprim17ROCPRIM_400000_NS6detail17trampoline_kernelINS0_14default_configENS1_25partition_config_selectorILNS1_17partition_subalgoE8EiNS0_10empty_typeEbEEZZNS1_14partition_implILS5_8ELb0ES3_jPKiPS6_PKS6_NS0_5tupleIJPiS6_EEENSE_IJSB_SB_EEENS0_18inequality_wrapperIN6hipcub16HIPCUB_304000_NS8EqualityEEEPlJS6_EEE10hipError_tPvRmT3_T4_T5_T6_T7_T9_mT8_P12ihipStream_tbDpT10_ENKUlT_T0_E_clISt17integral_constantIbLb1EES16_IbLb0EEEEDaS12_S13_EUlS12_E_NS1_11comp_targetILNS1_3genE10ELNS1_11target_archE1200ELNS1_3gpuE4ELNS1_3repE0EEENS1_30default_config_static_selectorELNS0_4arch9wavefront6targetE1EEEvT1_
                                        ; -- End function
	.set _ZN7rocprim17ROCPRIM_400000_NS6detail17trampoline_kernelINS0_14default_configENS1_25partition_config_selectorILNS1_17partition_subalgoE8EiNS0_10empty_typeEbEEZZNS1_14partition_implILS5_8ELb0ES3_jPKiPS6_PKS6_NS0_5tupleIJPiS6_EEENSE_IJSB_SB_EEENS0_18inequality_wrapperIN6hipcub16HIPCUB_304000_NS8EqualityEEEPlJS6_EEE10hipError_tPvRmT3_T4_T5_T6_T7_T9_mT8_P12ihipStream_tbDpT10_ENKUlT_T0_E_clISt17integral_constantIbLb1EES16_IbLb0EEEEDaS12_S13_EUlS12_E_NS1_11comp_targetILNS1_3genE10ELNS1_11target_archE1200ELNS1_3gpuE4ELNS1_3repE0EEENS1_30default_config_static_selectorELNS0_4arch9wavefront6targetE1EEEvT1_.num_vgpr, 0
	.set _ZN7rocprim17ROCPRIM_400000_NS6detail17trampoline_kernelINS0_14default_configENS1_25partition_config_selectorILNS1_17partition_subalgoE8EiNS0_10empty_typeEbEEZZNS1_14partition_implILS5_8ELb0ES3_jPKiPS6_PKS6_NS0_5tupleIJPiS6_EEENSE_IJSB_SB_EEENS0_18inequality_wrapperIN6hipcub16HIPCUB_304000_NS8EqualityEEEPlJS6_EEE10hipError_tPvRmT3_T4_T5_T6_T7_T9_mT8_P12ihipStream_tbDpT10_ENKUlT_T0_E_clISt17integral_constantIbLb1EES16_IbLb0EEEEDaS12_S13_EUlS12_E_NS1_11comp_targetILNS1_3genE10ELNS1_11target_archE1200ELNS1_3gpuE4ELNS1_3repE0EEENS1_30default_config_static_selectorELNS0_4arch9wavefront6targetE1EEEvT1_.num_agpr, 0
	.set _ZN7rocprim17ROCPRIM_400000_NS6detail17trampoline_kernelINS0_14default_configENS1_25partition_config_selectorILNS1_17partition_subalgoE8EiNS0_10empty_typeEbEEZZNS1_14partition_implILS5_8ELb0ES3_jPKiPS6_PKS6_NS0_5tupleIJPiS6_EEENSE_IJSB_SB_EEENS0_18inequality_wrapperIN6hipcub16HIPCUB_304000_NS8EqualityEEEPlJS6_EEE10hipError_tPvRmT3_T4_T5_T6_T7_T9_mT8_P12ihipStream_tbDpT10_ENKUlT_T0_E_clISt17integral_constantIbLb1EES16_IbLb0EEEEDaS12_S13_EUlS12_E_NS1_11comp_targetILNS1_3genE10ELNS1_11target_archE1200ELNS1_3gpuE4ELNS1_3repE0EEENS1_30default_config_static_selectorELNS0_4arch9wavefront6targetE1EEEvT1_.numbered_sgpr, 0
	.set _ZN7rocprim17ROCPRIM_400000_NS6detail17trampoline_kernelINS0_14default_configENS1_25partition_config_selectorILNS1_17partition_subalgoE8EiNS0_10empty_typeEbEEZZNS1_14partition_implILS5_8ELb0ES3_jPKiPS6_PKS6_NS0_5tupleIJPiS6_EEENSE_IJSB_SB_EEENS0_18inequality_wrapperIN6hipcub16HIPCUB_304000_NS8EqualityEEEPlJS6_EEE10hipError_tPvRmT3_T4_T5_T6_T7_T9_mT8_P12ihipStream_tbDpT10_ENKUlT_T0_E_clISt17integral_constantIbLb1EES16_IbLb0EEEEDaS12_S13_EUlS12_E_NS1_11comp_targetILNS1_3genE10ELNS1_11target_archE1200ELNS1_3gpuE4ELNS1_3repE0EEENS1_30default_config_static_selectorELNS0_4arch9wavefront6targetE1EEEvT1_.num_named_barrier, 0
	.set _ZN7rocprim17ROCPRIM_400000_NS6detail17trampoline_kernelINS0_14default_configENS1_25partition_config_selectorILNS1_17partition_subalgoE8EiNS0_10empty_typeEbEEZZNS1_14partition_implILS5_8ELb0ES3_jPKiPS6_PKS6_NS0_5tupleIJPiS6_EEENSE_IJSB_SB_EEENS0_18inequality_wrapperIN6hipcub16HIPCUB_304000_NS8EqualityEEEPlJS6_EEE10hipError_tPvRmT3_T4_T5_T6_T7_T9_mT8_P12ihipStream_tbDpT10_ENKUlT_T0_E_clISt17integral_constantIbLb1EES16_IbLb0EEEEDaS12_S13_EUlS12_E_NS1_11comp_targetILNS1_3genE10ELNS1_11target_archE1200ELNS1_3gpuE4ELNS1_3repE0EEENS1_30default_config_static_selectorELNS0_4arch9wavefront6targetE1EEEvT1_.private_seg_size, 0
	.set _ZN7rocprim17ROCPRIM_400000_NS6detail17trampoline_kernelINS0_14default_configENS1_25partition_config_selectorILNS1_17partition_subalgoE8EiNS0_10empty_typeEbEEZZNS1_14partition_implILS5_8ELb0ES3_jPKiPS6_PKS6_NS0_5tupleIJPiS6_EEENSE_IJSB_SB_EEENS0_18inequality_wrapperIN6hipcub16HIPCUB_304000_NS8EqualityEEEPlJS6_EEE10hipError_tPvRmT3_T4_T5_T6_T7_T9_mT8_P12ihipStream_tbDpT10_ENKUlT_T0_E_clISt17integral_constantIbLb1EES16_IbLb0EEEEDaS12_S13_EUlS12_E_NS1_11comp_targetILNS1_3genE10ELNS1_11target_archE1200ELNS1_3gpuE4ELNS1_3repE0EEENS1_30default_config_static_selectorELNS0_4arch9wavefront6targetE1EEEvT1_.uses_vcc, 0
	.set _ZN7rocprim17ROCPRIM_400000_NS6detail17trampoline_kernelINS0_14default_configENS1_25partition_config_selectorILNS1_17partition_subalgoE8EiNS0_10empty_typeEbEEZZNS1_14partition_implILS5_8ELb0ES3_jPKiPS6_PKS6_NS0_5tupleIJPiS6_EEENSE_IJSB_SB_EEENS0_18inequality_wrapperIN6hipcub16HIPCUB_304000_NS8EqualityEEEPlJS6_EEE10hipError_tPvRmT3_T4_T5_T6_T7_T9_mT8_P12ihipStream_tbDpT10_ENKUlT_T0_E_clISt17integral_constantIbLb1EES16_IbLb0EEEEDaS12_S13_EUlS12_E_NS1_11comp_targetILNS1_3genE10ELNS1_11target_archE1200ELNS1_3gpuE4ELNS1_3repE0EEENS1_30default_config_static_selectorELNS0_4arch9wavefront6targetE1EEEvT1_.uses_flat_scratch, 0
	.set _ZN7rocprim17ROCPRIM_400000_NS6detail17trampoline_kernelINS0_14default_configENS1_25partition_config_selectorILNS1_17partition_subalgoE8EiNS0_10empty_typeEbEEZZNS1_14partition_implILS5_8ELb0ES3_jPKiPS6_PKS6_NS0_5tupleIJPiS6_EEENSE_IJSB_SB_EEENS0_18inequality_wrapperIN6hipcub16HIPCUB_304000_NS8EqualityEEEPlJS6_EEE10hipError_tPvRmT3_T4_T5_T6_T7_T9_mT8_P12ihipStream_tbDpT10_ENKUlT_T0_E_clISt17integral_constantIbLb1EES16_IbLb0EEEEDaS12_S13_EUlS12_E_NS1_11comp_targetILNS1_3genE10ELNS1_11target_archE1200ELNS1_3gpuE4ELNS1_3repE0EEENS1_30default_config_static_selectorELNS0_4arch9wavefront6targetE1EEEvT1_.has_dyn_sized_stack, 0
	.set _ZN7rocprim17ROCPRIM_400000_NS6detail17trampoline_kernelINS0_14default_configENS1_25partition_config_selectorILNS1_17partition_subalgoE8EiNS0_10empty_typeEbEEZZNS1_14partition_implILS5_8ELb0ES3_jPKiPS6_PKS6_NS0_5tupleIJPiS6_EEENSE_IJSB_SB_EEENS0_18inequality_wrapperIN6hipcub16HIPCUB_304000_NS8EqualityEEEPlJS6_EEE10hipError_tPvRmT3_T4_T5_T6_T7_T9_mT8_P12ihipStream_tbDpT10_ENKUlT_T0_E_clISt17integral_constantIbLb1EES16_IbLb0EEEEDaS12_S13_EUlS12_E_NS1_11comp_targetILNS1_3genE10ELNS1_11target_archE1200ELNS1_3gpuE4ELNS1_3repE0EEENS1_30default_config_static_selectorELNS0_4arch9wavefront6targetE1EEEvT1_.has_recursion, 0
	.set _ZN7rocprim17ROCPRIM_400000_NS6detail17trampoline_kernelINS0_14default_configENS1_25partition_config_selectorILNS1_17partition_subalgoE8EiNS0_10empty_typeEbEEZZNS1_14partition_implILS5_8ELb0ES3_jPKiPS6_PKS6_NS0_5tupleIJPiS6_EEENSE_IJSB_SB_EEENS0_18inequality_wrapperIN6hipcub16HIPCUB_304000_NS8EqualityEEEPlJS6_EEE10hipError_tPvRmT3_T4_T5_T6_T7_T9_mT8_P12ihipStream_tbDpT10_ENKUlT_T0_E_clISt17integral_constantIbLb1EES16_IbLb0EEEEDaS12_S13_EUlS12_E_NS1_11comp_targetILNS1_3genE10ELNS1_11target_archE1200ELNS1_3gpuE4ELNS1_3repE0EEENS1_30default_config_static_selectorELNS0_4arch9wavefront6targetE1EEEvT1_.has_indirect_call, 0
	.section	.AMDGPU.csdata,"",@progbits
; Kernel info:
; codeLenInByte = 0
; TotalNumSgprs: 6
; NumVgprs: 0
; NumAgprs: 0
; TotalNumVgprs: 0
; ScratchSize: 0
; MemoryBound: 0
; FloatMode: 240
; IeeeMode: 1
; LDSByteSize: 0 bytes/workgroup (compile time only)
; SGPRBlocks: 0
; VGPRBlocks: 0
; NumSGPRsForWavesPerEU: 6
; NumVGPRsForWavesPerEU: 1
; AccumOffset: 4
; Occupancy: 8
; WaveLimiterHint : 0
; COMPUTE_PGM_RSRC2:SCRATCH_EN: 0
; COMPUTE_PGM_RSRC2:USER_SGPR: 2
; COMPUTE_PGM_RSRC2:TRAP_HANDLER: 0
; COMPUTE_PGM_RSRC2:TGID_X_EN: 1
; COMPUTE_PGM_RSRC2:TGID_Y_EN: 0
; COMPUTE_PGM_RSRC2:TGID_Z_EN: 0
; COMPUTE_PGM_RSRC2:TIDIG_COMP_CNT: 0
; COMPUTE_PGM_RSRC3_GFX90A:ACCUM_OFFSET: 0
; COMPUTE_PGM_RSRC3_GFX90A:TG_SPLIT: 0
	.section	.text._ZN7rocprim17ROCPRIM_400000_NS6detail17trampoline_kernelINS0_14default_configENS1_25partition_config_selectorILNS1_17partition_subalgoE8EiNS0_10empty_typeEbEEZZNS1_14partition_implILS5_8ELb0ES3_jPKiPS6_PKS6_NS0_5tupleIJPiS6_EEENSE_IJSB_SB_EEENS0_18inequality_wrapperIN6hipcub16HIPCUB_304000_NS8EqualityEEEPlJS6_EEE10hipError_tPvRmT3_T4_T5_T6_T7_T9_mT8_P12ihipStream_tbDpT10_ENKUlT_T0_E_clISt17integral_constantIbLb1EES16_IbLb0EEEEDaS12_S13_EUlS12_E_NS1_11comp_targetILNS1_3genE9ELNS1_11target_archE1100ELNS1_3gpuE3ELNS1_3repE0EEENS1_30default_config_static_selectorELNS0_4arch9wavefront6targetE1EEEvT1_,"axG",@progbits,_ZN7rocprim17ROCPRIM_400000_NS6detail17trampoline_kernelINS0_14default_configENS1_25partition_config_selectorILNS1_17partition_subalgoE8EiNS0_10empty_typeEbEEZZNS1_14partition_implILS5_8ELb0ES3_jPKiPS6_PKS6_NS0_5tupleIJPiS6_EEENSE_IJSB_SB_EEENS0_18inequality_wrapperIN6hipcub16HIPCUB_304000_NS8EqualityEEEPlJS6_EEE10hipError_tPvRmT3_T4_T5_T6_T7_T9_mT8_P12ihipStream_tbDpT10_ENKUlT_T0_E_clISt17integral_constantIbLb1EES16_IbLb0EEEEDaS12_S13_EUlS12_E_NS1_11comp_targetILNS1_3genE9ELNS1_11target_archE1100ELNS1_3gpuE3ELNS1_3repE0EEENS1_30default_config_static_selectorELNS0_4arch9wavefront6targetE1EEEvT1_,comdat
	.protected	_ZN7rocprim17ROCPRIM_400000_NS6detail17trampoline_kernelINS0_14default_configENS1_25partition_config_selectorILNS1_17partition_subalgoE8EiNS0_10empty_typeEbEEZZNS1_14partition_implILS5_8ELb0ES3_jPKiPS6_PKS6_NS0_5tupleIJPiS6_EEENSE_IJSB_SB_EEENS0_18inequality_wrapperIN6hipcub16HIPCUB_304000_NS8EqualityEEEPlJS6_EEE10hipError_tPvRmT3_T4_T5_T6_T7_T9_mT8_P12ihipStream_tbDpT10_ENKUlT_T0_E_clISt17integral_constantIbLb1EES16_IbLb0EEEEDaS12_S13_EUlS12_E_NS1_11comp_targetILNS1_3genE9ELNS1_11target_archE1100ELNS1_3gpuE3ELNS1_3repE0EEENS1_30default_config_static_selectorELNS0_4arch9wavefront6targetE1EEEvT1_ ; -- Begin function _ZN7rocprim17ROCPRIM_400000_NS6detail17trampoline_kernelINS0_14default_configENS1_25partition_config_selectorILNS1_17partition_subalgoE8EiNS0_10empty_typeEbEEZZNS1_14partition_implILS5_8ELb0ES3_jPKiPS6_PKS6_NS0_5tupleIJPiS6_EEENSE_IJSB_SB_EEENS0_18inequality_wrapperIN6hipcub16HIPCUB_304000_NS8EqualityEEEPlJS6_EEE10hipError_tPvRmT3_T4_T5_T6_T7_T9_mT8_P12ihipStream_tbDpT10_ENKUlT_T0_E_clISt17integral_constantIbLb1EES16_IbLb0EEEEDaS12_S13_EUlS12_E_NS1_11comp_targetILNS1_3genE9ELNS1_11target_archE1100ELNS1_3gpuE3ELNS1_3repE0EEENS1_30default_config_static_selectorELNS0_4arch9wavefront6targetE1EEEvT1_
	.globl	_ZN7rocprim17ROCPRIM_400000_NS6detail17trampoline_kernelINS0_14default_configENS1_25partition_config_selectorILNS1_17partition_subalgoE8EiNS0_10empty_typeEbEEZZNS1_14partition_implILS5_8ELb0ES3_jPKiPS6_PKS6_NS0_5tupleIJPiS6_EEENSE_IJSB_SB_EEENS0_18inequality_wrapperIN6hipcub16HIPCUB_304000_NS8EqualityEEEPlJS6_EEE10hipError_tPvRmT3_T4_T5_T6_T7_T9_mT8_P12ihipStream_tbDpT10_ENKUlT_T0_E_clISt17integral_constantIbLb1EES16_IbLb0EEEEDaS12_S13_EUlS12_E_NS1_11comp_targetILNS1_3genE9ELNS1_11target_archE1100ELNS1_3gpuE3ELNS1_3repE0EEENS1_30default_config_static_selectorELNS0_4arch9wavefront6targetE1EEEvT1_
	.p2align	8
	.type	_ZN7rocprim17ROCPRIM_400000_NS6detail17trampoline_kernelINS0_14default_configENS1_25partition_config_selectorILNS1_17partition_subalgoE8EiNS0_10empty_typeEbEEZZNS1_14partition_implILS5_8ELb0ES3_jPKiPS6_PKS6_NS0_5tupleIJPiS6_EEENSE_IJSB_SB_EEENS0_18inequality_wrapperIN6hipcub16HIPCUB_304000_NS8EqualityEEEPlJS6_EEE10hipError_tPvRmT3_T4_T5_T6_T7_T9_mT8_P12ihipStream_tbDpT10_ENKUlT_T0_E_clISt17integral_constantIbLb1EES16_IbLb0EEEEDaS12_S13_EUlS12_E_NS1_11comp_targetILNS1_3genE9ELNS1_11target_archE1100ELNS1_3gpuE3ELNS1_3repE0EEENS1_30default_config_static_selectorELNS0_4arch9wavefront6targetE1EEEvT1_,@function
_ZN7rocprim17ROCPRIM_400000_NS6detail17trampoline_kernelINS0_14default_configENS1_25partition_config_selectorILNS1_17partition_subalgoE8EiNS0_10empty_typeEbEEZZNS1_14partition_implILS5_8ELb0ES3_jPKiPS6_PKS6_NS0_5tupleIJPiS6_EEENSE_IJSB_SB_EEENS0_18inequality_wrapperIN6hipcub16HIPCUB_304000_NS8EqualityEEEPlJS6_EEE10hipError_tPvRmT3_T4_T5_T6_T7_T9_mT8_P12ihipStream_tbDpT10_ENKUlT_T0_E_clISt17integral_constantIbLb1EES16_IbLb0EEEEDaS12_S13_EUlS12_E_NS1_11comp_targetILNS1_3genE9ELNS1_11target_archE1100ELNS1_3gpuE3ELNS1_3repE0EEENS1_30default_config_static_selectorELNS0_4arch9wavefront6targetE1EEEvT1_: ; @_ZN7rocprim17ROCPRIM_400000_NS6detail17trampoline_kernelINS0_14default_configENS1_25partition_config_selectorILNS1_17partition_subalgoE8EiNS0_10empty_typeEbEEZZNS1_14partition_implILS5_8ELb0ES3_jPKiPS6_PKS6_NS0_5tupleIJPiS6_EEENSE_IJSB_SB_EEENS0_18inequality_wrapperIN6hipcub16HIPCUB_304000_NS8EqualityEEEPlJS6_EEE10hipError_tPvRmT3_T4_T5_T6_T7_T9_mT8_P12ihipStream_tbDpT10_ENKUlT_T0_E_clISt17integral_constantIbLb1EES16_IbLb0EEEEDaS12_S13_EUlS12_E_NS1_11comp_targetILNS1_3genE9ELNS1_11target_archE1100ELNS1_3gpuE3ELNS1_3repE0EEENS1_30default_config_static_selectorELNS0_4arch9wavefront6targetE1EEEvT1_
; %bb.0:
	.section	.rodata,"a",@progbits
	.p2align	6, 0x0
	.amdhsa_kernel _ZN7rocprim17ROCPRIM_400000_NS6detail17trampoline_kernelINS0_14default_configENS1_25partition_config_selectorILNS1_17partition_subalgoE8EiNS0_10empty_typeEbEEZZNS1_14partition_implILS5_8ELb0ES3_jPKiPS6_PKS6_NS0_5tupleIJPiS6_EEENSE_IJSB_SB_EEENS0_18inequality_wrapperIN6hipcub16HIPCUB_304000_NS8EqualityEEEPlJS6_EEE10hipError_tPvRmT3_T4_T5_T6_T7_T9_mT8_P12ihipStream_tbDpT10_ENKUlT_T0_E_clISt17integral_constantIbLb1EES16_IbLb0EEEEDaS12_S13_EUlS12_E_NS1_11comp_targetILNS1_3genE9ELNS1_11target_archE1100ELNS1_3gpuE3ELNS1_3repE0EEENS1_30default_config_static_selectorELNS0_4arch9wavefront6targetE1EEEvT1_
		.amdhsa_group_segment_fixed_size 0
		.amdhsa_private_segment_fixed_size 0
		.amdhsa_kernarg_size 112
		.amdhsa_user_sgpr_count 2
		.amdhsa_user_sgpr_dispatch_ptr 0
		.amdhsa_user_sgpr_queue_ptr 0
		.amdhsa_user_sgpr_kernarg_segment_ptr 1
		.amdhsa_user_sgpr_dispatch_id 0
		.amdhsa_user_sgpr_kernarg_preload_length 0
		.amdhsa_user_sgpr_kernarg_preload_offset 0
		.amdhsa_user_sgpr_private_segment_size 0
		.amdhsa_uses_dynamic_stack 0
		.amdhsa_enable_private_segment 0
		.amdhsa_system_sgpr_workgroup_id_x 1
		.amdhsa_system_sgpr_workgroup_id_y 0
		.amdhsa_system_sgpr_workgroup_id_z 0
		.amdhsa_system_sgpr_workgroup_info 0
		.amdhsa_system_vgpr_workitem_id 0
		.amdhsa_next_free_vgpr 1
		.amdhsa_next_free_sgpr 0
		.amdhsa_accum_offset 4
		.amdhsa_reserve_vcc 0
		.amdhsa_float_round_mode_32 0
		.amdhsa_float_round_mode_16_64 0
		.amdhsa_float_denorm_mode_32 3
		.amdhsa_float_denorm_mode_16_64 3
		.amdhsa_dx10_clamp 1
		.amdhsa_ieee_mode 1
		.amdhsa_fp16_overflow 0
		.amdhsa_tg_split 0
		.amdhsa_exception_fp_ieee_invalid_op 0
		.amdhsa_exception_fp_denorm_src 0
		.amdhsa_exception_fp_ieee_div_zero 0
		.amdhsa_exception_fp_ieee_overflow 0
		.amdhsa_exception_fp_ieee_underflow 0
		.amdhsa_exception_fp_ieee_inexact 0
		.amdhsa_exception_int_div_zero 0
	.end_amdhsa_kernel
	.section	.text._ZN7rocprim17ROCPRIM_400000_NS6detail17trampoline_kernelINS0_14default_configENS1_25partition_config_selectorILNS1_17partition_subalgoE8EiNS0_10empty_typeEbEEZZNS1_14partition_implILS5_8ELb0ES3_jPKiPS6_PKS6_NS0_5tupleIJPiS6_EEENSE_IJSB_SB_EEENS0_18inequality_wrapperIN6hipcub16HIPCUB_304000_NS8EqualityEEEPlJS6_EEE10hipError_tPvRmT3_T4_T5_T6_T7_T9_mT8_P12ihipStream_tbDpT10_ENKUlT_T0_E_clISt17integral_constantIbLb1EES16_IbLb0EEEEDaS12_S13_EUlS12_E_NS1_11comp_targetILNS1_3genE9ELNS1_11target_archE1100ELNS1_3gpuE3ELNS1_3repE0EEENS1_30default_config_static_selectorELNS0_4arch9wavefront6targetE1EEEvT1_,"axG",@progbits,_ZN7rocprim17ROCPRIM_400000_NS6detail17trampoline_kernelINS0_14default_configENS1_25partition_config_selectorILNS1_17partition_subalgoE8EiNS0_10empty_typeEbEEZZNS1_14partition_implILS5_8ELb0ES3_jPKiPS6_PKS6_NS0_5tupleIJPiS6_EEENSE_IJSB_SB_EEENS0_18inequality_wrapperIN6hipcub16HIPCUB_304000_NS8EqualityEEEPlJS6_EEE10hipError_tPvRmT3_T4_T5_T6_T7_T9_mT8_P12ihipStream_tbDpT10_ENKUlT_T0_E_clISt17integral_constantIbLb1EES16_IbLb0EEEEDaS12_S13_EUlS12_E_NS1_11comp_targetILNS1_3genE9ELNS1_11target_archE1100ELNS1_3gpuE3ELNS1_3repE0EEENS1_30default_config_static_selectorELNS0_4arch9wavefront6targetE1EEEvT1_,comdat
.Lfunc_end210:
	.size	_ZN7rocprim17ROCPRIM_400000_NS6detail17trampoline_kernelINS0_14default_configENS1_25partition_config_selectorILNS1_17partition_subalgoE8EiNS0_10empty_typeEbEEZZNS1_14partition_implILS5_8ELb0ES3_jPKiPS6_PKS6_NS0_5tupleIJPiS6_EEENSE_IJSB_SB_EEENS0_18inequality_wrapperIN6hipcub16HIPCUB_304000_NS8EqualityEEEPlJS6_EEE10hipError_tPvRmT3_T4_T5_T6_T7_T9_mT8_P12ihipStream_tbDpT10_ENKUlT_T0_E_clISt17integral_constantIbLb1EES16_IbLb0EEEEDaS12_S13_EUlS12_E_NS1_11comp_targetILNS1_3genE9ELNS1_11target_archE1100ELNS1_3gpuE3ELNS1_3repE0EEENS1_30default_config_static_selectorELNS0_4arch9wavefront6targetE1EEEvT1_, .Lfunc_end210-_ZN7rocprim17ROCPRIM_400000_NS6detail17trampoline_kernelINS0_14default_configENS1_25partition_config_selectorILNS1_17partition_subalgoE8EiNS0_10empty_typeEbEEZZNS1_14partition_implILS5_8ELb0ES3_jPKiPS6_PKS6_NS0_5tupleIJPiS6_EEENSE_IJSB_SB_EEENS0_18inequality_wrapperIN6hipcub16HIPCUB_304000_NS8EqualityEEEPlJS6_EEE10hipError_tPvRmT3_T4_T5_T6_T7_T9_mT8_P12ihipStream_tbDpT10_ENKUlT_T0_E_clISt17integral_constantIbLb1EES16_IbLb0EEEEDaS12_S13_EUlS12_E_NS1_11comp_targetILNS1_3genE9ELNS1_11target_archE1100ELNS1_3gpuE3ELNS1_3repE0EEENS1_30default_config_static_selectorELNS0_4arch9wavefront6targetE1EEEvT1_
                                        ; -- End function
	.set _ZN7rocprim17ROCPRIM_400000_NS6detail17trampoline_kernelINS0_14default_configENS1_25partition_config_selectorILNS1_17partition_subalgoE8EiNS0_10empty_typeEbEEZZNS1_14partition_implILS5_8ELb0ES3_jPKiPS6_PKS6_NS0_5tupleIJPiS6_EEENSE_IJSB_SB_EEENS0_18inequality_wrapperIN6hipcub16HIPCUB_304000_NS8EqualityEEEPlJS6_EEE10hipError_tPvRmT3_T4_T5_T6_T7_T9_mT8_P12ihipStream_tbDpT10_ENKUlT_T0_E_clISt17integral_constantIbLb1EES16_IbLb0EEEEDaS12_S13_EUlS12_E_NS1_11comp_targetILNS1_3genE9ELNS1_11target_archE1100ELNS1_3gpuE3ELNS1_3repE0EEENS1_30default_config_static_selectorELNS0_4arch9wavefront6targetE1EEEvT1_.num_vgpr, 0
	.set _ZN7rocprim17ROCPRIM_400000_NS6detail17trampoline_kernelINS0_14default_configENS1_25partition_config_selectorILNS1_17partition_subalgoE8EiNS0_10empty_typeEbEEZZNS1_14partition_implILS5_8ELb0ES3_jPKiPS6_PKS6_NS0_5tupleIJPiS6_EEENSE_IJSB_SB_EEENS0_18inequality_wrapperIN6hipcub16HIPCUB_304000_NS8EqualityEEEPlJS6_EEE10hipError_tPvRmT3_T4_T5_T6_T7_T9_mT8_P12ihipStream_tbDpT10_ENKUlT_T0_E_clISt17integral_constantIbLb1EES16_IbLb0EEEEDaS12_S13_EUlS12_E_NS1_11comp_targetILNS1_3genE9ELNS1_11target_archE1100ELNS1_3gpuE3ELNS1_3repE0EEENS1_30default_config_static_selectorELNS0_4arch9wavefront6targetE1EEEvT1_.num_agpr, 0
	.set _ZN7rocprim17ROCPRIM_400000_NS6detail17trampoline_kernelINS0_14default_configENS1_25partition_config_selectorILNS1_17partition_subalgoE8EiNS0_10empty_typeEbEEZZNS1_14partition_implILS5_8ELb0ES3_jPKiPS6_PKS6_NS0_5tupleIJPiS6_EEENSE_IJSB_SB_EEENS0_18inequality_wrapperIN6hipcub16HIPCUB_304000_NS8EqualityEEEPlJS6_EEE10hipError_tPvRmT3_T4_T5_T6_T7_T9_mT8_P12ihipStream_tbDpT10_ENKUlT_T0_E_clISt17integral_constantIbLb1EES16_IbLb0EEEEDaS12_S13_EUlS12_E_NS1_11comp_targetILNS1_3genE9ELNS1_11target_archE1100ELNS1_3gpuE3ELNS1_3repE0EEENS1_30default_config_static_selectorELNS0_4arch9wavefront6targetE1EEEvT1_.numbered_sgpr, 0
	.set _ZN7rocprim17ROCPRIM_400000_NS6detail17trampoline_kernelINS0_14default_configENS1_25partition_config_selectorILNS1_17partition_subalgoE8EiNS0_10empty_typeEbEEZZNS1_14partition_implILS5_8ELb0ES3_jPKiPS6_PKS6_NS0_5tupleIJPiS6_EEENSE_IJSB_SB_EEENS0_18inequality_wrapperIN6hipcub16HIPCUB_304000_NS8EqualityEEEPlJS6_EEE10hipError_tPvRmT3_T4_T5_T6_T7_T9_mT8_P12ihipStream_tbDpT10_ENKUlT_T0_E_clISt17integral_constantIbLb1EES16_IbLb0EEEEDaS12_S13_EUlS12_E_NS1_11comp_targetILNS1_3genE9ELNS1_11target_archE1100ELNS1_3gpuE3ELNS1_3repE0EEENS1_30default_config_static_selectorELNS0_4arch9wavefront6targetE1EEEvT1_.num_named_barrier, 0
	.set _ZN7rocprim17ROCPRIM_400000_NS6detail17trampoline_kernelINS0_14default_configENS1_25partition_config_selectorILNS1_17partition_subalgoE8EiNS0_10empty_typeEbEEZZNS1_14partition_implILS5_8ELb0ES3_jPKiPS6_PKS6_NS0_5tupleIJPiS6_EEENSE_IJSB_SB_EEENS0_18inequality_wrapperIN6hipcub16HIPCUB_304000_NS8EqualityEEEPlJS6_EEE10hipError_tPvRmT3_T4_T5_T6_T7_T9_mT8_P12ihipStream_tbDpT10_ENKUlT_T0_E_clISt17integral_constantIbLb1EES16_IbLb0EEEEDaS12_S13_EUlS12_E_NS1_11comp_targetILNS1_3genE9ELNS1_11target_archE1100ELNS1_3gpuE3ELNS1_3repE0EEENS1_30default_config_static_selectorELNS0_4arch9wavefront6targetE1EEEvT1_.private_seg_size, 0
	.set _ZN7rocprim17ROCPRIM_400000_NS6detail17trampoline_kernelINS0_14default_configENS1_25partition_config_selectorILNS1_17partition_subalgoE8EiNS0_10empty_typeEbEEZZNS1_14partition_implILS5_8ELb0ES3_jPKiPS6_PKS6_NS0_5tupleIJPiS6_EEENSE_IJSB_SB_EEENS0_18inequality_wrapperIN6hipcub16HIPCUB_304000_NS8EqualityEEEPlJS6_EEE10hipError_tPvRmT3_T4_T5_T6_T7_T9_mT8_P12ihipStream_tbDpT10_ENKUlT_T0_E_clISt17integral_constantIbLb1EES16_IbLb0EEEEDaS12_S13_EUlS12_E_NS1_11comp_targetILNS1_3genE9ELNS1_11target_archE1100ELNS1_3gpuE3ELNS1_3repE0EEENS1_30default_config_static_selectorELNS0_4arch9wavefront6targetE1EEEvT1_.uses_vcc, 0
	.set _ZN7rocprim17ROCPRIM_400000_NS6detail17trampoline_kernelINS0_14default_configENS1_25partition_config_selectorILNS1_17partition_subalgoE8EiNS0_10empty_typeEbEEZZNS1_14partition_implILS5_8ELb0ES3_jPKiPS6_PKS6_NS0_5tupleIJPiS6_EEENSE_IJSB_SB_EEENS0_18inequality_wrapperIN6hipcub16HIPCUB_304000_NS8EqualityEEEPlJS6_EEE10hipError_tPvRmT3_T4_T5_T6_T7_T9_mT8_P12ihipStream_tbDpT10_ENKUlT_T0_E_clISt17integral_constantIbLb1EES16_IbLb0EEEEDaS12_S13_EUlS12_E_NS1_11comp_targetILNS1_3genE9ELNS1_11target_archE1100ELNS1_3gpuE3ELNS1_3repE0EEENS1_30default_config_static_selectorELNS0_4arch9wavefront6targetE1EEEvT1_.uses_flat_scratch, 0
	.set _ZN7rocprim17ROCPRIM_400000_NS6detail17trampoline_kernelINS0_14default_configENS1_25partition_config_selectorILNS1_17partition_subalgoE8EiNS0_10empty_typeEbEEZZNS1_14partition_implILS5_8ELb0ES3_jPKiPS6_PKS6_NS0_5tupleIJPiS6_EEENSE_IJSB_SB_EEENS0_18inequality_wrapperIN6hipcub16HIPCUB_304000_NS8EqualityEEEPlJS6_EEE10hipError_tPvRmT3_T4_T5_T6_T7_T9_mT8_P12ihipStream_tbDpT10_ENKUlT_T0_E_clISt17integral_constantIbLb1EES16_IbLb0EEEEDaS12_S13_EUlS12_E_NS1_11comp_targetILNS1_3genE9ELNS1_11target_archE1100ELNS1_3gpuE3ELNS1_3repE0EEENS1_30default_config_static_selectorELNS0_4arch9wavefront6targetE1EEEvT1_.has_dyn_sized_stack, 0
	.set _ZN7rocprim17ROCPRIM_400000_NS6detail17trampoline_kernelINS0_14default_configENS1_25partition_config_selectorILNS1_17partition_subalgoE8EiNS0_10empty_typeEbEEZZNS1_14partition_implILS5_8ELb0ES3_jPKiPS6_PKS6_NS0_5tupleIJPiS6_EEENSE_IJSB_SB_EEENS0_18inequality_wrapperIN6hipcub16HIPCUB_304000_NS8EqualityEEEPlJS6_EEE10hipError_tPvRmT3_T4_T5_T6_T7_T9_mT8_P12ihipStream_tbDpT10_ENKUlT_T0_E_clISt17integral_constantIbLb1EES16_IbLb0EEEEDaS12_S13_EUlS12_E_NS1_11comp_targetILNS1_3genE9ELNS1_11target_archE1100ELNS1_3gpuE3ELNS1_3repE0EEENS1_30default_config_static_selectorELNS0_4arch9wavefront6targetE1EEEvT1_.has_recursion, 0
	.set _ZN7rocprim17ROCPRIM_400000_NS6detail17trampoline_kernelINS0_14default_configENS1_25partition_config_selectorILNS1_17partition_subalgoE8EiNS0_10empty_typeEbEEZZNS1_14partition_implILS5_8ELb0ES3_jPKiPS6_PKS6_NS0_5tupleIJPiS6_EEENSE_IJSB_SB_EEENS0_18inequality_wrapperIN6hipcub16HIPCUB_304000_NS8EqualityEEEPlJS6_EEE10hipError_tPvRmT3_T4_T5_T6_T7_T9_mT8_P12ihipStream_tbDpT10_ENKUlT_T0_E_clISt17integral_constantIbLb1EES16_IbLb0EEEEDaS12_S13_EUlS12_E_NS1_11comp_targetILNS1_3genE9ELNS1_11target_archE1100ELNS1_3gpuE3ELNS1_3repE0EEENS1_30default_config_static_selectorELNS0_4arch9wavefront6targetE1EEEvT1_.has_indirect_call, 0
	.section	.AMDGPU.csdata,"",@progbits
; Kernel info:
; codeLenInByte = 0
; TotalNumSgprs: 6
; NumVgprs: 0
; NumAgprs: 0
; TotalNumVgprs: 0
; ScratchSize: 0
; MemoryBound: 0
; FloatMode: 240
; IeeeMode: 1
; LDSByteSize: 0 bytes/workgroup (compile time only)
; SGPRBlocks: 0
; VGPRBlocks: 0
; NumSGPRsForWavesPerEU: 6
; NumVGPRsForWavesPerEU: 1
; AccumOffset: 4
; Occupancy: 8
; WaveLimiterHint : 0
; COMPUTE_PGM_RSRC2:SCRATCH_EN: 0
; COMPUTE_PGM_RSRC2:USER_SGPR: 2
; COMPUTE_PGM_RSRC2:TRAP_HANDLER: 0
; COMPUTE_PGM_RSRC2:TGID_X_EN: 1
; COMPUTE_PGM_RSRC2:TGID_Y_EN: 0
; COMPUTE_PGM_RSRC2:TGID_Z_EN: 0
; COMPUTE_PGM_RSRC2:TIDIG_COMP_CNT: 0
; COMPUTE_PGM_RSRC3_GFX90A:ACCUM_OFFSET: 0
; COMPUTE_PGM_RSRC3_GFX90A:TG_SPLIT: 0
	.section	.text._ZN7rocprim17ROCPRIM_400000_NS6detail17trampoline_kernelINS0_14default_configENS1_25partition_config_selectorILNS1_17partition_subalgoE8EiNS0_10empty_typeEbEEZZNS1_14partition_implILS5_8ELb0ES3_jPKiPS6_PKS6_NS0_5tupleIJPiS6_EEENSE_IJSB_SB_EEENS0_18inequality_wrapperIN6hipcub16HIPCUB_304000_NS8EqualityEEEPlJS6_EEE10hipError_tPvRmT3_T4_T5_T6_T7_T9_mT8_P12ihipStream_tbDpT10_ENKUlT_T0_E_clISt17integral_constantIbLb1EES16_IbLb0EEEEDaS12_S13_EUlS12_E_NS1_11comp_targetILNS1_3genE8ELNS1_11target_archE1030ELNS1_3gpuE2ELNS1_3repE0EEENS1_30default_config_static_selectorELNS0_4arch9wavefront6targetE1EEEvT1_,"axG",@progbits,_ZN7rocprim17ROCPRIM_400000_NS6detail17trampoline_kernelINS0_14default_configENS1_25partition_config_selectorILNS1_17partition_subalgoE8EiNS0_10empty_typeEbEEZZNS1_14partition_implILS5_8ELb0ES3_jPKiPS6_PKS6_NS0_5tupleIJPiS6_EEENSE_IJSB_SB_EEENS0_18inequality_wrapperIN6hipcub16HIPCUB_304000_NS8EqualityEEEPlJS6_EEE10hipError_tPvRmT3_T4_T5_T6_T7_T9_mT8_P12ihipStream_tbDpT10_ENKUlT_T0_E_clISt17integral_constantIbLb1EES16_IbLb0EEEEDaS12_S13_EUlS12_E_NS1_11comp_targetILNS1_3genE8ELNS1_11target_archE1030ELNS1_3gpuE2ELNS1_3repE0EEENS1_30default_config_static_selectorELNS0_4arch9wavefront6targetE1EEEvT1_,comdat
	.protected	_ZN7rocprim17ROCPRIM_400000_NS6detail17trampoline_kernelINS0_14default_configENS1_25partition_config_selectorILNS1_17partition_subalgoE8EiNS0_10empty_typeEbEEZZNS1_14partition_implILS5_8ELb0ES3_jPKiPS6_PKS6_NS0_5tupleIJPiS6_EEENSE_IJSB_SB_EEENS0_18inequality_wrapperIN6hipcub16HIPCUB_304000_NS8EqualityEEEPlJS6_EEE10hipError_tPvRmT3_T4_T5_T6_T7_T9_mT8_P12ihipStream_tbDpT10_ENKUlT_T0_E_clISt17integral_constantIbLb1EES16_IbLb0EEEEDaS12_S13_EUlS12_E_NS1_11comp_targetILNS1_3genE8ELNS1_11target_archE1030ELNS1_3gpuE2ELNS1_3repE0EEENS1_30default_config_static_selectorELNS0_4arch9wavefront6targetE1EEEvT1_ ; -- Begin function _ZN7rocprim17ROCPRIM_400000_NS6detail17trampoline_kernelINS0_14default_configENS1_25partition_config_selectorILNS1_17partition_subalgoE8EiNS0_10empty_typeEbEEZZNS1_14partition_implILS5_8ELb0ES3_jPKiPS6_PKS6_NS0_5tupleIJPiS6_EEENSE_IJSB_SB_EEENS0_18inequality_wrapperIN6hipcub16HIPCUB_304000_NS8EqualityEEEPlJS6_EEE10hipError_tPvRmT3_T4_T5_T6_T7_T9_mT8_P12ihipStream_tbDpT10_ENKUlT_T0_E_clISt17integral_constantIbLb1EES16_IbLb0EEEEDaS12_S13_EUlS12_E_NS1_11comp_targetILNS1_3genE8ELNS1_11target_archE1030ELNS1_3gpuE2ELNS1_3repE0EEENS1_30default_config_static_selectorELNS0_4arch9wavefront6targetE1EEEvT1_
	.globl	_ZN7rocprim17ROCPRIM_400000_NS6detail17trampoline_kernelINS0_14default_configENS1_25partition_config_selectorILNS1_17partition_subalgoE8EiNS0_10empty_typeEbEEZZNS1_14partition_implILS5_8ELb0ES3_jPKiPS6_PKS6_NS0_5tupleIJPiS6_EEENSE_IJSB_SB_EEENS0_18inequality_wrapperIN6hipcub16HIPCUB_304000_NS8EqualityEEEPlJS6_EEE10hipError_tPvRmT3_T4_T5_T6_T7_T9_mT8_P12ihipStream_tbDpT10_ENKUlT_T0_E_clISt17integral_constantIbLb1EES16_IbLb0EEEEDaS12_S13_EUlS12_E_NS1_11comp_targetILNS1_3genE8ELNS1_11target_archE1030ELNS1_3gpuE2ELNS1_3repE0EEENS1_30default_config_static_selectorELNS0_4arch9wavefront6targetE1EEEvT1_
	.p2align	8
	.type	_ZN7rocprim17ROCPRIM_400000_NS6detail17trampoline_kernelINS0_14default_configENS1_25partition_config_selectorILNS1_17partition_subalgoE8EiNS0_10empty_typeEbEEZZNS1_14partition_implILS5_8ELb0ES3_jPKiPS6_PKS6_NS0_5tupleIJPiS6_EEENSE_IJSB_SB_EEENS0_18inequality_wrapperIN6hipcub16HIPCUB_304000_NS8EqualityEEEPlJS6_EEE10hipError_tPvRmT3_T4_T5_T6_T7_T9_mT8_P12ihipStream_tbDpT10_ENKUlT_T0_E_clISt17integral_constantIbLb1EES16_IbLb0EEEEDaS12_S13_EUlS12_E_NS1_11comp_targetILNS1_3genE8ELNS1_11target_archE1030ELNS1_3gpuE2ELNS1_3repE0EEENS1_30default_config_static_selectorELNS0_4arch9wavefront6targetE1EEEvT1_,@function
_ZN7rocprim17ROCPRIM_400000_NS6detail17trampoline_kernelINS0_14default_configENS1_25partition_config_selectorILNS1_17partition_subalgoE8EiNS0_10empty_typeEbEEZZNS1_14partition_implILS5_8ELb0ES3_jPKiPS6_PKS6_NS0_5tupleIJPiS6_EEENSE_IJSB_SB_EEENS0_18inequality_wrapperIN6hipcub16HIPCUB_304000_NS8EqualityEEEPlJS6_EEE10hipError_tPvRmT3_T4_T5_T6_T7_T9_mT8_P12ihipStream_tbDpT10_ENKUlT_T0_E_clISt17integral_constantIbLb1EES16_IbLb0EEEEDaS12_S13_EUlS12_E_NS1_11comp_targetILNS1_3genE8ELNS1_11target_archE1030ELNS1_3gpuE2ELNS1_3repE0EEENS1_30default_config_static_selectorELNS0_4arch9wavefront6targetE1EEEvT1_: ; @_ZN7rocprim17ROCPRIM_400000_NS6detail17trampoline_kernelINS0_14default_configENS1_25partition_config_selectorILNS1_17partition_subalgoE8EiNS0_10empty_typeEbEEZZNS1_14partition_implILS5_8ELb0ES3_jPKiPS6_PKS6_NS0_5tupleIJPiS6_EEENSE_IJSB_SB_EEENS0_18inequality_wrapperIN6hipcub16HIPCUB_304000_NS8EqualityEEEPlJS6_EEE10hipError_tPvRmT3_T4_T5_T6_T7_T9_mT8_P12ihipStream_tbDpT10_ENKUlT_T0_E_clISt17integral_constantIbLb1EES16_IbLb0EEEEDaS12_S13_EUlS12_E_NS1_11comp_targetILNS1_3genE8ELNS1_11target_archE1030ELNS1_3gpuE2ELNS1_3repE0EEENS1_30default_config_static_selectorELNS0_4arch9wavefront6targetE1EEEvT1_
; %bb.0:
	.section	.rodata,"a",@progbits
	.p2align	6, 0x0
	.amdhsa_kernel _ZN7rocprim17ROCPRIM_400000_NS6detail17trampoline_kernelINS0_14default_configENS1_25partition_config_selectorILNS1_17partition_subalgoE8EiNS0_10empty_typeEbEEZZNS1_14partition_implILS5_8ELb0ES3_jPKiPS6_PKS6_NS0_5tupleIJPiS6_EEENSE_IJSB_SB_EEENS0_18inequality_wrapperIN6hipcub16HIPCUB_304000_NS8EqualityEEEPlJS6_EEE10hipError_tPvRmT3_T4_T5_T6_T7_T9_mT8_P12ihipStream_tbDpT10_ENKUlT_T0_E_clISt17integral_constantIbLb1EES16_IbLb0EEEEDaS12_S13_EUlS12_E_NS1_11comp_targetILNS1_3genE8ELNS1_11target_archE1030ELNS1_3gpuE2ELNS1_3repE0EEENS1_30default_config_static_selectorELNS0_4arch9wavefront6targetE1EEEvT1_
		.amdhsa_group_segment_fixed_size 0
		.amdhsa_private_segment_fixed_size 0
		.amdhsa_kernarg_size 112
		.amdhsa_user_sgpr_count 2
		.amdhsa_user_sgpr_dispatch_ptr 0
		.amdhsa_user_sgpr_queue_ptr 0
		.amdhsa_user_sgpr_kernarg_segment_ptr 1
		.amdhsa_user_sgpr_dispatch_id 0
		.amdhsa_user_sgpr_kernarg_preload_length 0
		.amdhsa_user_sgpr_kernarg_preload_offset 0
		.amdhsa_user_sgpr_private_segment_size 0
		.amdhsa_uses_dynamic_stack 0
		.amdhsa_enable_private_segment 0
		.amdhsa_system_sgpr_workgroup_id_x 1
		.amdhsa_system_sgpr_workgroup_id_y 0
		.amdhsa_system_sgpr_workgroup_id_z 0
		.amdhsa_system_sgpr_workgroup_info 0
		.amdhsa_system_vgpr_workitem_id 0
		.amdhsa_next_free_vgpr 1
		.amdhsa_next_free_sgpr 0
		.amdhsa_accum_offset 4
		.amdhsa_reserve_vcc 0
		.amdhsa_float_round_mode_32 0
		.amdhsa_float_round_mode_16_64 0
		.amdhsa_float_denorm_mode_32 3
		.amdhsa_float_denorm_mode_16_64 3
		.amdhsa_dx10_clamp 1
		.amdhsa_ieee_mode 1
		.amdhsa_fp16_overflow 0
		.amdhsa_tg_split 0
		.amdhsa_exception_fp_ieee_invalid_op 0
		.amdhsa_exception_fp_denorm_src 0
		.amdhsa_exception_fp_ieee_div_zero 0
		.amdhsa_exception_fp_ieee_overflow 0
		.amdhsa_exception_fp_ieee_underflow 0
		.amdhsa_exception_fp_ieee_inexact 0
		.amdhsa_exception_int_div_zero 0
	.end_amdhsa_kernel
	.section	.text._ZN7rocprim17ROCPRIM_400000_NS6detail17trampoline_kernelINS0_14default_configENS1_25partition_config_selectorILNS1_17partition_subalgoE8EiNS0_10empty_typeEbEEZZNS1_14partition_implILS5_8ELb0ES3_jPKiPS6_PKS6_NS0_5tupleIJPiS6_EEENSE_IJSB_SB_EEENS0_18inequality_wrapperIN6hipcub16HIPCUB_304000_NS8EqualityEEEPlJS6_EEE10hipError_tPvRmT3_T4_T5_T6_T7_T9_mT8_P12ihipStream_tbDpT10_ENKUlT_T0_E_clISt17integral_constantIbLb1EES16_IbLb0EEEEDaS12_S13_EUlS12_E_NS1_11comp_targetILNS1_3genE8ELNS1_11target_archE1030ELNS1_3gpuE2ELNS1_3repE0EEENS1_30default_config_static_selectorELNS0_4arch9wavefront6targetE1EEEvT1_,"axG",@progbits,_ZN7rocprim17ROCPRIM_400000_NS6detail17trampoline_kernelINS0_14default_configENS1_25partition_config_selectorILNS1_17partition_subalgoE8EiNS0_10empty_typeEbEEZZNS1_14partition_implILS5_8ELb0ES3_jPKiPS6_PKS6_NS0_5tupleIJPiS6_EEENSE_IJSB_SB_EEENS0_18inequality_wrapperIN6hipcub16HIPCUB_304000_NS8EqualityEEEPlJS6_EEE10hipError_tPvRmT3_T4_T5_T6_T7_T9_mT8_P12ihipStream_tbDpT10_ENKUlT_T0_E_clISt17integral_constantIbLb1EES16_IbLb0EEEEDaS12_S13_EUlS12_E_NS1_11comp_targetILNS1_3genE8ELNS1_11target_archE1030ELNS1_3gpuE2ELNS1_3repE0EEENS1_30default_config_static_selectorELNS0_4arch9wavefront6targetE1EEEvT1_,comdat
.Lfunc_end211:
	.size	_ZN7rocprim17ROCPRIM_400000_NS6detail17trampoline_kernelINS0_14default_configENS1_25partition_config_selectorILNS1_17partition_subalgoE8EiNS0_10empty_typeEbEEZZNS1_14partition_implILS5_8ELb0ES3_jPKiPS6_PKS6_NS0_5tupleIJPiS6_EEENSE_IJSB_SB_EEENS0_18inequality_wrapperIN6hipcub16HIPCUB_304000_NS8EqualityEEEPlJS6_EEE10hipError_tPvRmT3_T4_T5_T6_T7_T9_mT8_P12ihipStream_tbDpT10_ENKUlT_T0_E_clISt17integral_constantIbLb1EES16_IbLb0EEEEDaS12_S13_EUlS12_E_NS1_11comp_targetILNS1_3genE8ELNS1_11target_archE1030ELNS1_3gpuE2ELNS1_3repE0EEENS1_30default_config_static_selectorELNS0_4arch9wavefront6targetE1EEEvT1_, .Lfunc_end211-_ZN7rocprim17ROCPRIM_400000_NS6detail17trampoline_kernelINS0_14default_configENS1_25partition_config_selectorILNS1_17partition_subalgoE8EiNS0_10empty_typeEbEEZZNS1_14partition_implILS5_8ELb0ES3_jPKiPS6_PKS6_NS0_5tupleIJPiS6_EEENSE_IJSB_SB_EEENS0_18inequality_wrapperIN6hipcub16HIPCUB_304000_NS8EqualityEEEPlJS6_EEE10hipError_tPvRmT3_T4_T5_T6_T7_T9_mT8_P12ihipStream_tbDpT10_ENKUlT_T0_E_clISt17integral_constantIbLb1EES16_IbLb0EEEEDaS12_S13_EUlS12_E_NS1_11comp_targetILNS1_3genE8ELNS1_11target_archE1030ELNS1_3gpuE2ELNS1_3repE0EEENS1_30default_config_static_selectorELNS0_4arch9wavefront6targetE1EEEvT1_
                                        ; -- End function
	.set _ZN7rocprim17ROCPRIM_400000_NS6detail17trampoline_kernelINS0_14default_configENS1_25partition_config_selectorILNS1_17partition_subalgoE8EiNS0_10empty_typeEbEEZZNS1_14partition_implILS5_8ELb0ES3_jPKiPS6_PKS6_NS0_5tupleIJPiS6_EEENSE_IJSB_SB_EEENS0_18inequality_wrapperIN6hipcub16HIPCUB_304000_NS8EqualityEEEPlJS6_EEE10hipError_tPvRmT3_T4_T5_T6_T7_T9_mT8_P12ihipStream_tbDpT10_ENKUlT_T0_E_clISt17integral_constantIbLb1EES16_IbLb0EEEEDaS12_S13_EUlS12_E_NS1_11comp_targetILNS1_3genE8ELNS1_11target_archE1030ELNS1_3gpuE2ELNS1_3repE0EEENS1_30default_config_static_selectorELNS0_4arch9wavefront6targetE1EEEvT1_.num_vgpr, 0
	.set _ZN7rocprim17ROCPRIM_400000_NS6detail17trampoline_kernelINS0_14default_configENS1_25partition_config_selectorILNS1_17partition_subalgoE8EiNS0_10empty_typeEbEEZZNS1_14partition_implILS5_8ELb0ES3_jPKiPS6_PKS6_NS0_5tupleIJPiS6_EEENSE_IJSB_SB_EEENS0_18inequality_wrapperIN6hipcub16HIPCUB_304000_NS8EqualityEEEPlJS6_EEE10hipError_tPvRmT3_T4_T5_T6_T7_T9_mT8_P12ihipStream_tbDpT10_ENKUlT_T0_E_clISt17integral_constantIbLb1EES16_IbLb0EEEEDaS12_S13_EUlS12_E_NS1_11comp_targetILNS1_3genE8ELNS1_11target_archE1030ELNS1_3gpuE2ELNS1_3repE0EEENS1_30default_config_static_selectorELNS0_4arch9wavefront6targetE1EEEvT1_.num_agpr, 0
	.set _ZN7rocprim17ROCPRIM_400000_NS6detail17trampoline_kernelINS0_14default_configENS1_25partition_config_selectorILNS1_17partition_subalgoE8EiNS0_10empty_typeEbEEZZNS1_14partition_implILS5_8ELb0ES3_jPKiPS6_PKS6_NS0_5tupleIJPiS6_EEENSE_IJSB_SB_EEENS0_18inequality_wrapperIN6hipcub16HIPCUB_304000_NS8EqualityEEEPlJS6_EEE10hipError_tPvRmT3_T4_T5_T6_T7_T9_mT8_P12ihipStream_tbDpT10_ENKUlT_T0_E_clISt17integral_constantIbLb1EES16_IbLb0EEEEDaS12_S13_EUlS12_E_NS1_11comp_targetILNS1_3genE8ELNS1_11target_archE1030ELNS1_3gpuE2ELNS1_3repE0EEENS1_30default_config_static_selectorELNS0_4arch9wavefront6targetE1EEEvT1_.numbered_sgpr, 0
	.set _ZN7rocprim17ROCPRIM_400000_NS6detail17trampoline_kernelINS0_14default_configENS1_25partition_config_selectorILNS1_17partition_subalgoE8EiNS0_10empty_typeEbEEZZNS1_14partition_implILS5_8ELb0ES3_jPKiPS6_PKS6_NS0_5tupleIJPiS6_EEENSE_IJSB_SB_EEENS0_18inequality_wrapperIN6hipcub16HIPCUB_304000_NS8EqualityEEEPlJS6_EEE10hipError_tPvRmT3_T4_T5_T6_T7_T9_mT8_P12ihipStream_tbDpT10_ENKUlT_T0_E_clISt17integral_constantIbLb1EES16_IbLb0EEEEDaS12_S13_EUlS12_E_NS1_11comp_targetILNS1_3genE8ELNS1_11target_archE1030ELNS1_3gpuE2ELNS1_3repE0EEENS1_30default_config_static_selectorELNS0_4arch9wavefront6targetE1EEEvT1_.num_named_barrier, 0
	.set _ZN7rocprim17ROCPRIM_400000_NS6detail17trampoline_kernelINS0_14default_configENS1_25partition_config_selectorILNS1_17partition_subalgoE8EiNS0_10empty_typeEbEEZZNS1_14partition_implILS5_8ELb0ES3_jPKiPS6_PKS6_NS0_5tupleIJPiS6_EEENSE_IJSB_SB_EEENS0_18inequality_wrapperIN6hipcub16HIPCUB_304000_NS8EqualityEEEPlJS6_EEE10hipError_tPvRmT3_T4_T5_T6_T7_T9_mT8_P12ihipStream_tbDpT10_ENKUlT_T0_E_clISt17integral_constantIbLb1EES16_IbLb0EEEEDaS12_S13_EUlS12_E_NS1_11comp_targetILNS1_3genE8ELNS1_11target_archE1030ELNS1_3gpuE2ELNS1_3repE0EEENS1_30default_config_static_selectorELNS0_4arch9wavefront6targetE1EEEvT1_.private_seg_size, 0
	.set _ZN7rocprim17ROCPRIM_400000_NS6detail17trampoline_kernelINS0_14default_configENS1_25partition_config_selectorILNS1_17partition_subalgoE8EiNS0_10empty_typeEbEEZZNS1_14partition_implILS5_8ELb0ES3_jPKiPS6_PKS6_NS0_5tupleIJPiS6_EEENSE_IJSB_SB_EEENS0_18inequality_wrapperIN6hipcub16HIPCUB_304000_NS8EqualityEEEPlJS6_EEE10hipError_tPvRmT3_T4_T5_T6_T7_T9_mT8_P12ihipStream_tbDpT10_ENKUlT_T0_E_clISt17integral_constantIbLb1EES16_IbLb0EEEEDaS12_S13_EUlS12_E_NS1_11comp_targetILNS1_3genE8ELNS1_11target_archE1030ELNS1_3gpuE2ELNS1_3repE0EEENS1_30default_config_static_selectorELNS0_4arch9wavefront6targetE1EEEvT1_.uses_vcc, 0
	.set _ZN7rocprim17ROCPRIM_400000_NS6detail17trampoline_kernelINS0_14default_configENS1_25partition_config_selectorILNS1_17partition_subalgoE8EiNS0_10empty_typeEbEEZZNS1_14partition_implILS5_8ELb0ES3_jPKiPS6_PKS6_NS0_5tupleIJPiS6_EEENSE_IJSB_SB_EEENS0_18inequality_wrapperIN6hipcub16HIPCUB_304000_NS8EqualityEEEPlJS6_EEE10hipError_tPvRmT3_T4_T5_T6_T7_T9_mT8_P12ihipStream_tbDpT10_ENKUlT_T0_E_clISt17integral_constantIbLb1EES16_IbLb0EEEEDaS12_S13_EUlS12_E_NS1_11comp_targetILNS1_3genE8ELNS1_11target_archE1030ELNS1_3gpuE2ELNS1_3repE0EEENS1_30default_config_static_selectorELNS0_4arch9wavefront6targetE1EEEvT1_.uses_flat_scratch, 0
	.set _ZN7rocprim17ROCPRIM_400000_NS6detail17trampoline_kernelINS0_14default_configENS1_25partition_config_selectorILNS1_17partition_subalgoE8EiNS0_10empty_typeEbEEZZNS1_14partition_implILS5_8ELb0ES3_jPKiPS6_PKS6_NS0_5tupleIJPiS6_EEENSE_IJSB_SB_EEENS0_18inequality_wrapperIN6hipcub16HIPCUB_304000_NS8EqualityEEEPlJS6_EEE10hipError_tPvRmT3_T4_T5_T6_T7_T9_mT8_P12ihipStream_tbDpT10_ENKUlT_T0_E_clISt17integral_constantIbLb1EES16_IbLb0EEEEDaS12_S13_EUlS12_E_NS1_11comp_targetILNS1_3genE8ELNS1_11target_archE1030ELNS1_3gpuE2ELNS1_3repE0EEENS1_30default_config_static_selectorELNS0_4arch9wavefront6targetE1EEEvT1_.has_dyn_sized_stack, 0
	.set _ZN7rocprim17ROCPRIM_400000_NS6detail17trampoline_kernelINS0_14default_configENS1_25partition_config_selectorILNS1_17partition_subalgoE8EiNS0_10empty_typeEbEEZZNS1_14partition_implILS5_8ELb0ES3_jPKiPS6_PKS6_NS0_5tupleIJPiS6_EEENSE_IJSB_SB_EEENS0_18inequality_wrapperIN6hipcub16HIPCUB_304000_NS8EqualityEEEPlJS6_EEE10hipError_tPvRmT3_T4_T5_T6_T7_T9_mT8_P12ihipStream_tbDpT10_ENKUlT_T0_E_clISt17integral_constantIbLb1EES16_IbLb0EEEEDaS12_S13_EUlS12_E_NS1_11comp_targetILNS1_3genE8ELNS1_11target_archE1030ELNS1_3gpuE2ELNS1_3repE0EEENS1_30default_config_static_selectorELNS0_4arch9wavefront6targetE1EEEvT1_.has_recursion, 0
	.set _ZN7rocprim17ROCPRIM_400000_NS6detail17trampoline_kernelINS0_14default_configENS1_25partition_config_selectorILNS1_17partition_subalgoE8EiNS0_10empty_typeEbEEZZNS1_14partition_implILS5_8ELb0ES3_jPKiPS6_PKS6_NS0_5tupleIJPiS6_EEENSE_IJSB_SB_EEENS0_18inequality_wrapperIN6hipcub16HIPCUB_304000_NS8EqualityEEEPlJS6_EEE10hipError_tPvRmT3_T4_T5_T6_T7_T9_mT8_P12ihipStream_tbDpT10_ENKUlT_T0_E_clISt17integral_constantIbLb1EES16_IbLb0EEEEDaS12_S13_EUlS12_E_NS1_11comp_targetILNS1_3genE8ELNS1_11target_archE1030ELNS1_3gpuE2ELNS1_3repE0EEENS1_30default_config_static_selectorELNS0_4arch9wavefront6targetE1EEEvT1_.has_indirect_call, 0
	.section	.AMDGPU.csdata,"",@progbits
; Kernel info:
; codeLenInByte = 0
; TotalNumSgprs: 6
; NumVgprs: 0
; NumAgprs: 0
; TotalNumVgprs: 0
; ScratchSize: 0
; MemoryBound: 0
; FloatMode: 240
; IeeeMode: 1
; LDSByteSize: 0 bytes/workgroup (compile time only)
; SGPRBlocks: 0
; VGPRBlocks: 0
; NumSGPRsForWavesPerEU: 6
; NumVGPRsForWavesPerEU: 1
; AccumOffset: 4
; Occupancy: 8
; WaveLimiterHint : 0
; COMPUTE_PGM_RSRC2:SCRATCH_EN: 0
; COMPUTE_PGM_RSRC2:USER_SGPR: 2
; COMPUTE_PGM_RSRC2:TRAP_HANDLER: 0
; COMPUTE_PGM_RSRC2:TGID_X_EN: 1
; COMPUTE_PGM_RSRC2:TGID_Y_EN: 0
; COMPUTE_PGM_RSRC2:TGID_Z_EN: 0
; COMPUTE_PGM_RSRC2:TIDIG_COMP_CNT: 0
; COMPUTE_PGM_RSRC3_GFX90A:ACCUM_OFFSET: 0
; COMPUTE_PGM_RSRC3_GFX90A:TG_SPLIT: 0
	.section	.text._ZN7rocprim17ROCPRIM_400000_NS6detail31init_lookback_scan_state_kernelINS1_19lookback_scan_stateIjLb0ELb1EEENS1_16block_id_wrapperIjLb1EEEEEvT_jT0_jPNS7_10value_typeE,"axG",@progbits,_ZN7rocprim17ROCPRIM_400000_NS6detail31init_lookback_scan_state_kernelINS1_19lookback_scan_stateIjLb0ELb1EEENS1_16block_id_wrapperIjLb1EEEEEvT_jT0_jPNS7_10value_typeE,comdat
	.protected	_ZN7rocprim17ROCPRIM_400000_NS6detail31init_lookback_scan_state_kernelINS1_19lookback_scan_stateIjLb0ELb1EEENS1_16block_id_wrapperIjLb1EEEEEvT_jT0_jPNS7_10value_typeE ; -- Begin function _ZN7rocprim17ROCPRIM_400000_NS6detail31init_lookback_scan_state_kernelINS1_19lookback_scan_stateIjLb0ELb1EEENS1_16block_id_wrapperIjLb1EEEEEvT_jT0_jPNS7_10value_typeE
	.globl	_ZN7rocprim17ROCPRIM_400000_NS6detail31init_lookback_scan_state_kernelINS1_19lookback_scan_stateIjLb0ELb1EEENS1_16block_id_wrapperIjLb1EEEEEvT_jT0_jPNS7_10value_typeE
	.p2align	8
	.type	_ZN7rocprim17ROCPRIM_400000_NS6detail31init_lookback_scan_state_kernelINS1_19lookback_scan_stateIjLb0ELb1EEENS1_16block_id_wrapperIjLb1EEEEEvT_jT0_jPNS7_10value_typeE,@function
_ZN7rocprim17ROCPRIM_400000_NS6detail31init_lookback_scan_state_kernelINS1_19lookback_scan_stateIjLb0ELb1EEENS1_16block_id_wrapperIjLb1EEEEEvT_jT0_jPNS7_10value_typeE: ; @_ZN7rocprim17ROCPRIM_400000_NS6detail31init_lookback_scan_state_kernelINS1_19lookback_scan_stateIjLb0ELb1EEENS1_16block_id_wrapperIjLb1EEEEEvT_jT0_jPNS7_10value_typeE
; %bb.0:
	s_load_dword s3, s[0:1], 0x34
	s_load_dwordx2 s[6:7], s[0:1], 0x20
	s_load_dwordx2 s[4:5], s[0:1], 0x0
	s_load_dword s10, s[0:1], 0x8
	s_waitcnt lgkmcnt(0)
	s_and_b32 s3, s3, 0xffff
	s_mul_i32 s2, s2, s3
	s_cmp_eq_u64 s[6:7], 0
	v_add_u32_e32 v0, s2, v0
	s_cbranch_scc1 .LBB212_6
; %bb.1:
	s_load_dword s8, s[0:1], 0x18
	s_mov_b32 s9, 0
	s_waitcnt lgkmcnt(0)
	s_cmp_lt_u32 s8, s10
	s_cselect_b32 s2, s8, 0
	v_cmp_eq_u32_e32 vcc, s2, v0
	s_and_saveexec_b64 s[2:3], vcc
	s_cbranch_execz .LBB212_5
; %bb.2:
	s_add_i32 s8, s8, 64
	s_lshl_b64 s[8:9], s[8:9], 3
	s_add_u32 s8, s4, s8
	s_addc_u32 s9, s5, s9
	v_mov_b32_e32 v4, 0
	global_load_dwordx2 v[2:3], v4, s[8:9] sc1
	s_waitcnt vmcnt(0)
	v_and_b32_e32 v5, 0xff, v3
	v_cmp_ne_u64_e32 vcc, 0, v[4:5]
	s_cbranch_vccnz .LBB212_4
.LBB212_3:                              ; =>This Inner Loop Header: Depth=1
	global_load_dwordx2 v[2:3], v4, s[8:9] sc1
	s_waitcnt vmcnt(0)
	v_and_b32_e32 v5, 0xff, v3
	v_cmp_eq_u64_e32 vcc, 0, v[4:5]
	s_cbranch_vccnz .LBB212_3
.LBB212_4:
	v_mov_b32_e32 v1, 0
	global_store_dword v1, v2, s[6:7]
.LBB212_5:
	s_or_b64 exec, exec, s[2:3]
.LBB212_6:
	v_cmp_eq_u32_e32 vcc, 0, v0
	s_and_saveexec_b64 s[2:3], vcc
	s_cbranch_execnz .LBB212_10
; %bb.7:
	s_or_b64 exec, exec, s[2:3]
	v_cmp_gt_u32_e32 vcc, s10, v0
	s_and_saveexec_b64 s[0:1], vcc
	s_cbranch_execnz .LBB212_11
.LBB212_8:
	s_or_b64 exec, exec, s[0:1]
	v_cmp_gt_u32_e32 vcc, 64, v0
	s_and_saveexec_b64 s[0:1], vcc
	s_cbranch_execnz .LBB212_12
.LBB212_9:
	s_endpgm
.LBB212_10:
	s_load_dwordx2 s[0:1], s[0:1], 0x10
	v_mov_b32_e32 v1, 0
	s_waitcnt lgkmcnt(0)
	global_store_dword v1, v1, s[0:1]
	s_or_b64 exec, exec, s[2:3]
	v_cmp_gt_u32_e32 vcc, s10, v0
	s_and_saveexec_b64 s[0:1], vcc
	s_cbranch_execz .LBB212_8
.LBB212_11:
	v_add_u32_e32 v2, 64, v0
	v_mov_b32_e32 v3, 0
	v_lshl_add_u64 v[4:5], v[2:3], 3, s[4:5]
	v_mov_b32_e32 v2, v3
	global_store_dwordx2 v[4:5], v[2:3], off
	s_or_b64 exec, exec, s[0:1]
	v_cmp_gt_u32_e32 vcc, 64, v0
	s_and_saveexec_b64 s[0:1], vcc
	s_cbranch_execz .LBB212_9
.LBB212_12:
	v_mov_b32_e32 v1, 0
	v_lshl_add_u64 v[2:3], v[0:1], 3, s[4:5]
	v_mov_b32_e32 v5, 0xff
	v_mov_b32_e32 v4, v1
	global_store_dwordx2 v[2:3], v[4:5], off
	s_endpgm
	.section	.rodata,"a",@progbits
	.p2align	6, 0x0
	.amdhsa_kernel _ZN7rocprim17ROCPRIM_400000_NS6detail31init_lookback_scan_state_kernelINS1_19lookback_scan_stateIjLb0ELb1EEENS1_16block_id_wrapperIjLb1EEEEEvT_jT0_jPNS7_10value_typeE
		.amdhsa_group_segment_fixed_size 0
		.amdhsa_private_segment_fixed_size 0
		.amdhsa_kernarg_size 296
		.amdhsa_user_sgpr_count 2
		.amdhsa_user_sgpr_dispatch_ptr 0
		.amdhsa_user_sgpr_queue_ptr 0
		.amdhsa_user_sgpr_kernarg_segment_ptr 1
		.amdhsa_user_sgpr_dispatch_id 0
		.amdhsa_user_sgpr_kernarg_preload_length 0
		.amdhsa_user_sgpr_kernarg_preload_offset 0
		.amdhsa_user_sgpr_private_segment_size 0
		.amdhsa_uses_dynamic_stack 0
		.amdhsa_enable_private_segment 0
		.amdhsa_system_sgpr_workgroup_id_x 1
		.amdhsa_system_sgpr_workgroup_id_y 0
		.amdhsa_system_sgpr_workgroup_id_z 0
		.amdhsa_system_sgpr_workgroup_info 0
		.amdhsa_system_vgpr_workitem_id 0
		.amdhsa_next_free_vgpr 6
		.amdhsa_next_free_sgpr 11
		.amdhsa_accum_offset 8
		.amdhsa_reserve_vcc 1
		.amdhsa_float_round_mode_32 0
		.amdhsa_float_round_mode_16_64 0
		.amdhsa_float_denorm_mode_32 3
		.amdhsa_float_denorm_mode_16_64 3
		.amdhsa_dx10_clamp 1
		.amdhsa_ieee_mode 1
		.amdhsa_fp16_overflow 0
		.amdhsa_tg_split 0
		.amdhsa_exception_fp_ieee_invalid_op 0
		.amdhsa_exception_fp_denorm_src 0
		.amdhsa_exception_fp_ieee_div_zero 0
		.amdhsa_exception_fp_ieee_overflow 0
		.amdhsa_exception_fp_ieee_underflow 0
		.amdhsa_exception_fp_ieee_inexact 0
		.amdhsa_exception_int_div_zero 0
	.end_amdhsa_kernel
	.section	.text._ZN7rocprim17ROCPRIM_400000_NS6detail31init_lookback_scan_state_kernelINS1_19lookback_scan_stateIjLb0ELb1EEENS1_16block_id_wrapperIjLb1EEEEEvT_jT0_jPNS7_10value_typeE,"axG",@progbits,_ZN7rocprim17ROCPRIM_400000_NS6detail31init_lookback_scan_state_kernelINS1_19lookback_scan_stateIjLb0ELb1EEENS1_16block_id_wrapperIjLb1EEEEEvT_jT0_jPNS7_10value_typeE,comdat
.Lfunc_end212:
	.size	_ZN7rocprim17ROCPRIM_400000_NS6detail31init_lookback_scan_state_kernelINS1_19lookback_scan_stateIjLb0ELb1EEENS1_16block_id_wrapperIjLb1EEEEEvT_jT0_jPNS7_10value_typeE, .Lfunc_end212-_ZN7rocprim17ROCPRIM_400000_NS6detail31init_lookback_scan_state_kernelINS1_19lookback_scan_stateIjLb0ELb1EEENS1_16block_id_wrapperIjLb1EEEEEvT_jT0_jPNS7_10value_typeE
                                        ; -- End function
	.set _ZN7rocprim17ROCPRIM_400000_NS6detail31init_lookback_scan_state_kernelINS1_19lookback_scan_stateIjLb0ELb1EEENS1_16block_id_wrapperIjLb1EEEEEvT_jT0_jPNS7_10value_typeE.num_vgpr, 6
	.set _ZN7rocprim17ROCPRIM_400000_NS6detail31init_lookback_scan_state_kernelINS1_19lookback_scan_stateIjLb0ELb1EEENS1_16block_id_wrapperIjLb1EEEEEvT_jT0_jPNS7_10value_typeE.num_agpr, 0
	.set _ZN7rocprim17ROCPRIM_400000_NS6detail31init_lookback_scan_state_kernelINS1_19lookback_scan_stateIjLb0ELb1EEENS1_16block_id_wrapperIjLb1EEEEEvT_jT0_jPNS7_10value_typeE.numbered_sgpr, 11
	.set _ZN7rocprim17ROCPRIM_400000_NS6detail31init_lookback_scan_state_kernelINS1_19lookback_scan_stateIjLb0ELb1EEENS1_16block_id_wrapperIjLb1EEEEEvT_jT0_jPNS7_10value_typeE.num_named_barrier, 0
	.set _ZN7rocprim17ROCPRIM_400000_NS6detail31init_lookback_scan_state_kernelINS1_19lookback_scan_stateIjLb0ELb1EEENS1_16block_id_wrapperIjLb1EEEEEvT_jT0_jPNS7_10value_typeE.private_seg_size, 0
	.set _ZN7rocprim17ROCPRIM_400000_NS6detail31init_lookback_scan_state_kernelINS1_19lookback_scan_stateIjLb0ELb1EEENS1_16block_id_wrapperIjLb1EEEEEvT_jT0_jPNS7_10value_typeE.uses_vcc, 1
	.set _ZN7rocprim17ROCPRIM_400000_NS6detail31init_lookback_scan_state_kernelINS1_19lookback_scan_stateIjLb0ELb1EEENS1_16block_id_wrapperIjLb1EEEEEvT_jT0_jPNS7_10value_typeE.uses_flat_scratch, 0
	.set _ZN7rocprim17ROCPRIM_400000_NS6detail31init_lookback_scan_state_kernelINS1_19lookback_scan_stateIjLb0ELb1EEENS1_16block_id_wrapperIjLb1EEEEEvT_jT0_jPNS7_10value_typeE.has_dyn_sized_stack, 0
	.set _ZN7rocprim17ROCPRIM_400000_NS6detail31init_lookback_scan_state_kernelINS1_19lookback_scan_stateIjLb0ELb1EEENS1_16block_id_wrapperIjLb1EEEEEvT_jT0_jPNS7_10value_typeE.has_recursion, 0
	.set _ZN7rocprim17ROCPRIM_400000_NS6detail31init_lookback_scan_state_kernelINS1_19lookback_scan_stateIjLb0ELb1EEENS1_16block_id_wrapperIjLb1EEEEEvT_jT0_jPNS7_10value_typeE.has_indirect_call, 0
	.section	.AMDGPU.csdata,"",@progbits
; Kernel info:
; codeLenInByte = 356
; TotalNumSgprs: 17
; NumVgprs: 6
; NumAgprs: 0
; TotalNumVgprs: 6
; ScratchSize: 0
; MemoryBound: 0
; FloatMode: 240
; IeeeMode: 1
; LDSByteSize: 0 bytes/workgroup (compile time only)
; SGPRBlocks: 2
; VGPRBlocks: 0
; NumSGPRsForWavesPerEU: 17
; NumVGPRsForWavesPerEU: 6
; AccumOffset: 8
; Occupancy: 8
; WaveLimiterHint : 0
; COMPUTE_PGM_RSRC2:SCRATCH_EN: 0
; COMPUTE_PGM_RSRC2:USER_SGPR: 2
; COMPUTE_PGM_RSRC2:TRAP_HANDLER: 0
; COMPUTE_PGM_RSRC2:TGID_X_EN: 1
; COMPUTE_PGM_RSRC2:TGID_Y_EN: 0
; COMPUTE_PGM_RSRC2:TGID_Z_EN: 0
; COMPUTE_PGM_RSRC2:TIDIG_COMP_CNT: 0
; COMPUTE_PGM_RSRC3_GFX90A:ACCUM_OFFSET: 1
; COMPUTE_PGM_RSRC3_GFX90A:TG_SPLIT: 0
	.section	.text._ZN7rocprim17ROCPRIM_400000_NS6detail17trampoline_kernelINS0_14default_configENS1_25partition_config_selectorILNS1_17partition_subalgoE8EiNS0_10empty_typeEbEEZZNS1_14partition_implILS5_8ELb0ES3_jPKiPS6_PKS6_NS0_5tupleIJPiS6_EEENSE_IJSB_SB_EEENS0_18inequality_wrapperIN6hipcub16HIPCUB_304000_NS8EqualityEEEPlJS6_EEE10hipError_tPvRmT3_T4_T5_T6_T7_T9_mT8_P12ihipStream_tbDpT10_ENKUlT_T0_E_clISt17integral_constantIbLb0EES16_IbLb1EEEEDaS12_S13_EUlS12_E_NS1_11comp_targetILNS1_3genE0ELNS1_11target_archE4294967295ELNS1_3gpuE0ELNS1_3repE0EEENS1_30default_config_static_selectorELNS0_4arch9wavefront6targetE1EEEvT1_,"axG",@progbits,_ZN7rocprim17ROCPRIM_400000_NS6detail17trampoline_kernelINS0_14default_configENS1_25partition_config_selectorILNS1_17partition_subalgoE8EiNS0_10empty_typeEbEEZZNS1_14partition_implILS5_8ELb0ES3_jPKiPS6_PKS6_NS0_5tupleIJPiS6_EEENSE_IJSB_SB_EEENS0_18inequality_wrapperIN6hipcub16HIPCUB_304000_NS8EqualityEEEPlJS6_EEE10hipError_tPvRmT3_T4_T5_T6_T7_T9_mT8_P12ihipStream_tbDpT10_ENKUlT_T0_E_clISt17integral_constantIbLb0EES16_IbLb1EEEEDaS12_S13_EUlS12_E_NS1_11comp_targetILNS1_3genE0ELNS1_11target_archE4294967295ELNS1_3gpuE0ELNS1_3repE0EEENS1_30default_config_static_selectorELNS0_4arch9wavefront6targetE1EEEvT1_,comdat
	.protected	_ZN7rocprim17ROCPRIM_400000_NS6detail17trampoline_kernelINS0_14default_configENS1_25partition_config_selectorILNS1_17partition_subalgoE8EiNS0_10empty_typeEbEEZZNS1_14partition_implILS5_8ELb0ES3_jPKiPS6_PKS6_NS0_5tupleIJPiS6_EEENSE_IJSB_SB_EEENS0_18inequality_wrapperIN6hipcub16HIPCUB_304000_NS8EqualityEEEPlJS6_EEE10hipError_tPvRmT3_T4_T5_T6_T7_T9_mT8_P12ihipStream_tbDpT10_ENKUlT_T0_E_clISt17integral_constantIbLb0EES16_IbLb1EEEEDaS12_S13_EUlS12_E_NS1_11comp_targetILNS1_3genE0ELNS1_11target_archE4294967295ELNS1_3gpuE0ELNS1_3repE0EEENS1_30default_config_static_selectorELNS0_4arch9wavefront6targetE1EEEvT1_ ; -- Begin function _ZN7rocprim17ROCPRIM_400000_NS6detail17trampoline_kernelINS0_14default_configENS1_25partition_config_selectorILNS1_17partition_subalgoE8EiNS0_10empty_typeEbEEZZNS1_14partition_implILS5_8ELb0ES3_jPKiPS6_PKS6_NS0_5tupleIJPiS6_EEENSE_IJSB_SB_EEENS0_18inequality_wrapperIN6hipcub16HIPCUB_304000_NS8EqualityEEEPlJS6_EEE10hipError_tPvRmT3_T4_T5_T6_T7_T9_mT8_P12ihipStream_tbDpT10_ENKUlT_T0_E_clISt17integral_constantIbLb0EES16_IbLb1EEEEDaS12_S13_EUlS12_E_NS1_11comp_targetILNS1_3genE0ELNS1_11target_archE4294967295ELNS1_3gpuE0ELNS1_3repE0EEENS1_30default_config_static_selectorELNS0_4arch9wavefront6targetE1EEEvT1_
	.globl	_ZN7rocprim17ROCPRIM_400000_NS6detail17trampoline_kernelINS0_14default_configENS1_25partition_config_selectorILNS1_17partition_subalgoE8EiNS0_10empty_typeEbEEZZNS1_14partition_implILS5_8ELb0ES3_jPKiPS6_PKS6_NS0_5tupleIJPiS6_EEENSE_IJSB_SB_EEENS0_18inequality_wrapperIN6hipcub16HIPCUB_304000_NS8EqualityEEEPlJS6_EEE10hipError_tPvRmT3_T4_T5_T6_T7_T9_mT8_P12ihipStream_tbDpT10_ENKUlT_T0_E_clISt17integral_constantIbLb0EES16_IbLb1EEEEDaS12_S13_EUlS12_E_NS1_11comp_targetILNS1_3genE0ELNS1_11target_archE4294967295ELNS1_3gpuE0ELNS1_3repE0EEENS1_30default_config_static_selectorELNS0_4arch9wavefront6targetE1EEEvT1_
	.p2align	8
	.type	_ZN7rocprim17ROCPRIM_400000_NS6detail17trampoline_kernelINS0_14default_configENS1_25partition_config_selectorILNS1_17partition_subalgoE8EiNS0_10empty_typeEbEEZZNS1_14partition_implILS5_8ELb0ES3_jPKiPS6_PKS6_NS0_5tupleIJPiS6_EEENSE_IJSB_SB_EEENS0_18inequality_wrapperIN6hipcub16HIPCUB_304000_NS8EqualityEEEPlJS6_EEE10hipError_tPvRmT3_T4_T5_T6_T7_T9_mT8_P12ihipStream_tbDpT10_ENKUlT_T0_E_clISt17integral_constantIbLb0EES16_IbLb1EEEEDaS12_S13_EUlS12_E_NS1_11comp_targetILNS1_3genE0ELNS1_11target_archE4294967295ELNS1_3gpuE0ELNS1_3repE0EEENS1_30default_config_static_selectorELNS0_4arch9wavefront6targetE1EEEvT1_,@function
_ZN7rocprim17ROCPRIM_400000_NS6detail17trampoline_kernelINS0_14default_configENS1_25partition_config_selectorILNS1_17partition_subalgoE8EiNS0_10empty_typeEbEEZZNS1_14partition_implILS5_8ELb0ES3_jPKiPS6_PKS6_NS0_5tupleIJPiS6_EEENSE_IJSB_SB_EEENS0_18inequality_wrapperIN6hipcub16HIPCUB_304000_NS8EqualityEEEPlJS6_EEE10hipError_tPvRmT3_T4_T5_T6_T7_T9_mT8_P12ihipStream_tbDpT10_ENKUlT_T0_E_clISt17integral_constantIbLb0EES16_IbLb1EEEEDaS12_S13_EUlS12_E_NS1_11comp_targetILNS1_3genE0ELNS1_11target_archE4294967295ELNS1_3gpuE0ELNS1_3repE0EEENS1_30default_config_static_selectorELNS0_4arch9wavefront6targetE1EEEvT1_: ; @_ZN7rocprim17ROCPRIM_400000_NS6detail17trampoline_kernelINS0_14default_configENS1_25partition_config_selectorILNS1_17partition_subalgoE8EiNS0_10empty_typeEbEEZZNS1_14partition_implILS5_8ELb0ES3_jPKiPS6_PKS6_NS0_5tupleIJPiS6_EEENSE_IJSB_SB_EEENS0_18inequality_wrapperIN6hipcub16HIPCUB_304000_NS8EqualityEEEPlJS6_EEE10hipError_tPvRmT3_T4_T5_T6_T7_T9_mT8_P12ihipStream_tbDpT10_ENKUlT_T0_E_clISt17integral_constantIbLb0EES16_IbLb1EEEEDaS12_S13_EUlS12_E_NS1_11comp_targetILNS1_3genE0ELNS1_11target_archE4294967295ELNS1_3gpuE0ELNS1_3repE0EEENS1_30default_config_static_selectorELNS0_4arch9wavefront6targetE1EEEvT1_
; %bb.0:
	s_load_dwordx4 s[44:47], s[0:1], 0x40
	s_load_dwordx2 s[8:9], s[0:1], 0x50
	s_load_dwordx2 s[52:53], s[0:1], 0x60
	v_cmp_ne_u32_e64 s[2:3], 0, v0
	v_cmp_eq_u32_e64 s[18:19], 0, v0
	s_and_saveexec_b64 s[4:5], s[18:19]
	s_cbranch_execz .LBB213_4
; %bb.1:
	s_mov_b64 s[10:11], exec
	v_mbcnt_lo_u32_b32 v1, s10, 0
	v_mbcnt_hi_u32_b32 v1, s11, v1
	v_cmp_eq_u32_e32 vcc, 0, v1
                                        ; implicit-def: $vgpr2
	s_and_saveexec_b64 s[6:7], vcc
	s_cbranch_execz .LBB213_3
; %bb.2:
	s_load_dwordx2 s[12:13], s[0:1], 0x70
	s_bcnt1_i32_b64 s10, s[10:11]
	v_mov_b32_e32 v2, 0
	v_mov_b32_e32 v3, s10
	s_waitcnt lgkmcnt(0)
	global_atomic_add v2, v2, v3, s[12:13] sc0
.LBB213_3:
	s_or_b64 exec, exec, s[6:7]
	s_waitcnt vmcnt(0)
	v_readfirstlane_b32 s6, v2
	v_mov_b32_e32 v2, 0
	s_nop 0
	v_add_u32_e32 v1, s6, v1
	ds_write_b32 v2, v1
.LBB213_4:
	s_or_b64 exec, exec, s[4:5]
	v_mov_b32_e32 v3, 0
	s_load_dwordx4 s[4:7], s[0:1], 0x8
	s_load_dwordx2 s[48:49], s[0:1], 0x28
	s_load_dword s10, s[0:1], 0x68
	s_waitcnt lgkmcnt(0)
	s_barrier
	ds_read_b32 v1, v3
	s_waitcnt lgkmcnt(0)
	s_barrier
	global_load_dwordx2 v[14:15], v3, s[46:47]
	s_lshl_b64 s[0:1], s[6:7], 2
	s_add_u32 s4, s4, s0
	s_movk_i32 s0, 0x1600
	v_mul_lo_u32 v2, v1, s0
	s_mul_i32 s0, s10, 0x1600
	s_addc_u32 s5, s5, s1
	s_add_i32 s1, s0, s6
	s_add_i32 s11, s10, -1
	s_sub_i32 s60, s8, s1
	s_add_u32 s0, s6, s0
	v_readfirstlane_b32 s33, v1
	s_addc_u32 s1, s7, 0
	v_mov_b64_e32 v[4:5], s[0:1]
	s_cmp_eq_u32 s33, s11
	v_cmp_le_u64_e32 vcc, s[8:9], v[4:5]
	s_cselect_b64 s[46:47], -1, 0
	s_and_b64 s[54:55], vcc, s[46:47]
	s_xor_b64 s[50:51], s[54:55], -1
	v_lshlrev_b64 v[4:5], 2, v[2:3]
	s_mov_b64 s[0:1], -1
	v_lshl_add_u64 v[26:27], s[4:5], 0, v[4:5]
	s_and_b64 vcc, exec, s[50:51]
	s_cbranch_vccz .LBB213_6
; %bb.5:
	v_lshlrev_b32_e32 v2, 2, v0
	v_lshl_add_u64 v[4:5], v[26:27], 0, v[2:3]
	v_add_co_u32_e32 v6, vcc, 0x1000, v4
	v_readfirstlane_b32 s0, v26
	s_nop 0
	v_addc_co_u32_e32 v7, vcc, 0, v5, vcc
	v_add_co_u32_e32 v8, vcc, 0x2000, v4
	v_readfirstlane_b32 s1, v27
	s_nop 0
	v_addc_co_u32_e32 v9, vcc, 0, v5, vcc
	v_add_co_u32_e32 v10, vcc, 0x3000, v4
	s_nop 1
	global_load_dword v1, v2, s[0:1]
	global_load_dword v3, v2, s[0:1] offset:2048
	v_addc_co_u32_e32 v11, vcc, 0, v5, vcc
	v_add_co_u32_e32 v12, vcc, 0x4000, v4
	s_mov_b64 s[0:1], 0
	s_nop 0
	v_addc_co_u32_e32 v13, vcc, 0, v5, vcc
	global_load_dword v16, v[6:7], off
	global_load_dword v17, v[6:7], off offset:2048
	global_load_dword v18, v[8:9], off
	global_load_dword v19, v[8:9], off offset:2048
	;; [unrolled: 2-line block ×4, first 2 shown]
	v_add_co_u32_e32 v4, vcc, 0x5000, v4
	s_nop 1
	v_addc_co_u32_e32 v5, vcc, 0, v5, vcc
	global_load_dword v4, v[4:5], off
	s_waitcnt vmcnt(9)
	ds_write2st64_b32 v2, v1, v3 offset1:8
	s_waitcnt vmcnt(7)
	ds_write2st64_b32 v2, v16, v17 offset0:16 offset1:24
	s_waitcnt vmcnt(5)
	ds_write2st64_b32 v2, v18, v19 offset0:32 offset1:40
	;; [unrolled: 2-line block ×4, first 2 shown]
	s_waitcnt vmcnt(0)
	ds_write_b32 v2, v4 offset:20480
	s_waitcnt lgkmcnt(0)
	s_barrier
.LBB213_6:
	s_andn2_b64 vcc, exec, s[0:1]
	s_addk_i32 s60, 0x1600
	s_cbranch_vccnz .LBB213_30
; %bb.7:
	v_mov_b32_e32 v2, 0
	v_cmp_gt_u32_e32 vcc, s60, v0
	v_mov_b32_e32 v3, v2
	v_mov_b32_e32 v4, v2
	;; [unrolled: 1-line block ×10, first 2 shown]
	s_and_saveexec_b64 s[0:1], vcc
	s_cbranch_execz .LBB213_9
; %bb.8:
	v_lshlrev_b32_e32 v1, 2, v0
	v_readfirstlane_b32 s4, v26
	v_readfirstlane_b32 s5, v27
	v_mov_b32_e32 v29, v2
	v_mov_b32_e32 v30, v2
	;; [unrolled: 1-line block ×5, first 2 shown]
	global_load_dword v28, v1, s[4:5]
	v_mov_b32_e32 v34, v2
	v_mov_b32_e32 v35, v2
	;; [unrolled: 1-line block ×5, first 2 shown]
	s_waitcnt vmcnt(0)
	v_mov_b32_e32 v2, v28
	v_mov_b32_e32 v3, v29
	;; [unrolled: 1-line block ×11, first 2 shown]
.LBB213_9:
	s_or_b64 exec, exec, s[0:1]
	v_or_b32_e32 v1, 0x200, v0
	v_cmp_gt_u32_e32 vcc, s60, v1
	s_and_saveexec_b64 s[0:1], vcc
	s_cbranch_execz .LBB213_11
; %bb.10:
	v_lshlrev_b32_e32 v1, 2, v0
	v_readfirstlane_b32 s4, v26
	v_readfirstlane_b32 s5, v27
	s_nop 4
	global_load_dword v3, v1, s[4:5] offset:2048
.LBB213_11:
	s_or_b64 exec, exec, s[0:1]
	v_or_b32_e32 v1, 0x400, v0
	v_cmp_gt_u32_e32 vcc, s60, v1
	s_and_saveexec_b64 s[0:1], vcc
	s_cbranch_execz .LBB213_13
; %bb.12:
	v_lshlrev_b32_e32 v1, 2, v1
	v_readfirstlane_b32 s4, v26
	v_readfirstlane_b32 s5, v27
	s_nop 4
	global_load_dword v4, v1, s[4:5]
.LBB213_13:
	s_or_b64 exec, exec, s[0:1]
	v_or_b32_e32 v1, 0x600, v0
	v_cmp_gt_u32_e32 vcc, s60, v1
	s_and_saveexec_b64 s[0:1], vcc
	s_cbranch_execz .LBB213_15
; %bb.14:
	v_lshlrev_b32_e32 v1, 2, v1
	v_readfirstlane_b32 s4, v26
	v_readfirstlane_b32 s5, v27
	s_nop 4
	global_load_dword v5, v1, s[4:5]
.LBB213_15:
	;; [unrolled: 12-line block ×9, first 2 shown]
	s_or_b64 exec, exec, s[0:1]
	v_lshlrev_b32_e32 v1, 2, v0
	s_waitcnt vmcnt(0)
	ds_write2st64_b32 v1, v2, v3 offset1:8
	ds_write2st64_b32 v1, v4, v5 offset0:16 offset1:24
	ds_write2st64_b32 v1, v6, v7 offset0:32 offset1:40
	;; [unrolled: 1-line block ×4, first 2 shown]
	ds_write_b32 v1, v12 offset:20480
	s_waitcnt lgkmcnt(0)
	s_barrier
.LBB213_30:
	v_mul_u32_u24_e32 v6, 11, v0
	v_lshlrev_b32_e32 v1, 2, v6
	ds_read2_b32 v[22:23], v1 offset0:2 offset1:3
	ds_read2_b32 v[24:25], v1 offset1:1
	ds_read2_b32 v[12:13], v1 offset0:3 offset1:4
	ds_read2_b32 v[2:3], v1 offset0:1 offset1:2
	;; [unrolled: 1-line block ×5, first 2 shown]
	s_cmp_lg_u32 s33, 0
	s_cselect_b64 s[56:57], -1, 0
	s_cmp_lg_u64 s[6:7], 0
	s_cselect_b64 s[0:1], -1, 0
	s_or_b64 s[0:1], s[0:1], s[56:57]
	s_mov_b64 s[58:59], 0
	s_and_b64 vcc, exec, s[0:1]
	s_waitcnt lgkmcnt(0)
	s_barrier
	s_cbranch_vccz .LBB213_35
; %bb.31:
	global_load_dword v10, v[26:27], off offset:-4
	v_lshlrev_b32_e32 v11, 2, v0
	s_and_b64 vcc, exec, s[50:51]
	ds_write_b32 v11, v17
	s_cbranch_vccz .LBB213_37
; %bb.32:
	s_waitcnt vmcnt(0)
	v_mov_b32_e32 v4, v10
	s_waitcnt lgkmcnt(0)
	s_barrier
	s_and_saveexec_b64 s[0:1], s[2:3]
; %bb.33:
	v_add_u32_e32 v4, -4, v11
	ds_read_b32 v4, v4
; %bb.34:
	s_or_b64 exec, exec, s[0:1]
	v_cmp_ne_u32_e32 vcc, v25, v24
	v_mov_b32_e32 v28, 8
	s_waitcnt lgkmcnt(0)
	v_cmp_ne_u32_e64 s[0:1], v4, v24
	v_cndmask_b32_e64 v5, 0, 1, vcc
	v_cmp_ne_u32_e32 vcc, v23, v22
	v_lshlrev_b16_e32 v5, 8, v5
	s_nop 0
	v_cndmask_b32_e64 v7, 0, 1, vcc
	v_cmp_ne_u32_e32 vcc, v20, v13
	v_lshlrev_b16_e32 v26, 8, v7
	v_lshrrev_b32_sdwa v4, v28, v26 dst_sel:BYTE_1 dst_unused:UNUSED_PAD src0_sel:DWORD src1_sel:DWORD
	v_cndmask_b32_e64 v7, 0, 1, vcc
	v_cmp_ne_u32_e32 vcc, v18, v19
	v_lshlrev_b16_e32 v8, 8, v7
	v_lshrrev_b32_sdwa v29, v28, v8 dst_sel:BYTE_1 dst_unused:UNUSED_PAD src0_sel:DWORD src1_sel:DWORD
	v_cndmask_b32_e64 v7, 0, 1, vcc
	v_cmp_ne_u32_e32 vcc, v18, v21
	s_nop 1
	v_cndmask_b32_e64 v9, 0, 1, vcc
	v_cmp_ne_u32_e32 vcc, v16, v17
	v_lshlrev_b16_e32 v27, 8, v9
	s_nop 0
	v_cndmask_b32_e64 v8, 0, 1, vcc
	v_cmp_ne_u32_e32 vcc, v16, v19
	v_lshlrev_b16_e32 v9, 8, v8
	s_nop 0
	v_cndmask_b32_e64 v30, 0, 1, vcc
	v_cmp_ne_u32_e32 vcc, v25, v22
	v_or_b32_e32 v9, v30, v9
	s_nop 0
	v_cndmask_b32_e64 v26, 0, 1, vcc
	v_or_b32_sdwa v4, v26, v4 dst_sel:WORD_1 dst_unused:UNUSED_PAD src0_sel:DWORD src1_sel:DWORD
	v_cmp_ne_u32_e32 vcc, v23, v13
	v_lshrrev_b32_sdwa v4, v28, v5 dst_sel:BYTE_1 dst_unused:UNUSED_PRESERVE src0_sel:DWORD src1_sel:DWORD
	s_nop 0
	v_cndmask_b32_e64 v5, 0, 1, vcc
	v_cmp_ne_u32_e32 vcc, v20, v21
	v_or_b32_e32 v5, v5, v29
	s_nop 0
	v_cndmask_b32_e64 v26, 0, 1, vcc
	v_or_b32_sdwa v26, v26, v27 dst_sel:WORD_1 dst_unused:UNUSED_PAD src0_sel:DWORD src1_sel:DWORD
	s_nop 0
	v_or_b32_sdwa v5, v5, v26 dst_sel:DWORD dst_unused:UNUSED_PAD src0_sel:WORD_0 src1_sel:DWORD
	s_branch .LBB213_41
.LBB213_35:
                                        ; implicit-def: $sgpr0_sgpr1
                                        ; implicit-def: $vgpr8
                                        ; implicit-def: $vgpr9
                                        ; implicit-def: $vgpr7
                                        ; implicit-def: $vgpr5
	s_branch .LBB213_42
.LBB213_36:
                                        ; implicit-def: $vgpr26
                                        ; implicit-def: $vgpr42
                                        ; implicit-def: $vgpr40
                                        ; implicit-def: $vgpr28
                                        ; implicit-def: $vgpr41
                                        ; implicit-def: $vgpr39
                                        ; implicit-def: $vgpr33
                                        ; implicit-def: $vgpr38
                                        ; implicit-def: $vgpr29
                                        ; implicit-def: $vgpr1
	s_branch .LBB213_50
.LBB213_37:
                                        ; implicit-def: $sgpr0_sgpr1
                                        ; implicit-def: $vgpr8
                                        ; implicit-def: $vgpr9
                                        ; implicit-def: $vgpr7
                                        ; implicit-def: $vgpr5
	s_cbranch_execz .LBB213_41
; %bb.38:
	s_waitcnt lgkmcnt(0)
	s_barrier
	s_and_saveexec_b64 s[0:1], s[2:3]
	s_cbranch_execz .LBB213_40
; %bb.39:
	v_add_u32_e32 v4, -4, v11
	s_waitcnt vmcnt(0)
	ds_read_b32 v10, v4
.LBB213_40:
	s_or_b64 exec, exec, s[0:1]
	v_add_u32_e32 v5, 10, v6
	v_cmp_gt_u32_e32 vcc, s60, v5
	v_add_u32_e32 v5, 8, v6
	v_add_u32_e32 v4, 9, v6
	v_cmp_gt_u32_e64 s[8:9], s60, v5
	v_add_u32_e32 v5, 5, v6
	v_cmp_gt_u32_e64 s[0:1], s60, v4
	;; [unrolled: 2-line block ×6, first 2 shown]
	v_cmp_ne_u32_e64 s[22:23], v20, v13
	v_add_u32_e32 v4, 4, v6
	v_cmp_gt_u32_e64 s[36:37], s60, v5
	v_cmp_ne_u32_e64 s[40:41], v25, v24
	v_cmp_gt_u32_e64 s[28:29], s60, v4
	v_cmp_ne_u32_e64 s[30:31], v23, v22
	v_add_u32_e32 v4, 2, v6
	s_and_b64 s[36:37], s[36:37], s[40:41]
	s_and_b64 s[16:17], s[16:17], s[22:23]
	v_cmp_ne_u32_e64 s[4:5], v16, v17
	v_cmp_gt_u32_e64 s[38:39], s60, v4
	v_cndmask_b32_e64 v4, 0, 1, s[36:37]
	s_and_b64 s[26:27], s[26:27], s[30:31]
	v_cndmask_b32_e64 v7, 0, 1, s[16:17]
	v_cmp_ne_u32_e64 s[6:7], v16, v19
	v_cmp_ne_u32_e64 s[42:43], v25, v22
	v_lshlrev_b16_e32 v5, 8, v4
	v_cndmask_b32_e64 v4, 0, 1, s[26:27]
	v_lshlrev_b16_e32 v8, 8, v7
	v_mov_b32_e32 v26, 8
	s_and_b64 s[4:5], vcc, s[4:5]
	v_cmp_ne_u32_e64 s[12:13], v18, v19
	v_lshlrev_b16_e32 v4, 8, v4
	v_lshrrev_b32_sdwa v27, v26, v8 dst_sel:BYTE_1 dst_unused:UNUSED_PAD src0_sel:DWORD src1_sel:DWORD
	v_cndmask_b32_e64 v8, 0, 1, s[4:5]
	s_and_b64 s[0:1], s[0:1], s[6:7]
	s_and_b64 s[4:5], s[38:39], s[42:43]
	v_cmp_ne_u32_e64 s[14:15], v18, v21
	v_cmp_ne_u32_e64 s[34:35], v23, v13
	s_and_b64 s[8:9], s[8:9], s[12:13]
	v_cndmask_b32_e64 v28, 0, 1, s[0:1]
	s_waitcnt vmcnt(0) lgkmcnt(0)
	v_cmp_ne_u32_e64 s[0:1], v10, v24
	v_lshrrev_b32_sdwa v4, v26, v4 dst_sel:BYTE_1 dst_unused:UNUSED_PAD src0_sel:DWORD src1_sel:DWORD
	v_cndmask_b32_e64 v10, 0, 1, s[4:5]
	v_cmp_ne_u32_e64 s[24:25], v20, v21
	v_cndmask_b32_e64 v7, 0, 1, s[8:9]
	s_and_b64 s[8:9], s[10:11], s[14:15]
	v_or_b32_sdwa v4, v10, v4 dst_sel:WORD_1 dst_unused:UNUSED_PAD src0_sel:DWORD src1_sel:DWORD
	s_and_b64 s[4:5], s[28:29], s[34:35]
	v_cndmask_b32_e64 v9, 0, 1, s[8:9]
	v_lshrrev_b32_sdwa v4, v26, v5 dst_sel:BYTE_1 dst_unused:UNUSED_PRESERVE src0_sel:DWORD src1_sel:DWORD
	v_cndmask_b32_e64 v5, 0, 1, s[4:5]
	s_and_b64 s[4:5], s[20:21], s[24:25]
	v_lshlrev_b16_e32 v11, 8, v9
	v_cndmask_b32_e64 v10, 0, 1, s[4:5]
	v_lshlrev_b16_e32 v9, 8, v8
	v_cmp_gt_u32_e32 vcc, s60, v6
	v_or_b32_e32 v5, v5, v27
	v_or_b32_sdwa v10, v10, v11 dst_sel:WORD_1 dst_unused:UNUSED_PAD src0_sel:DWORD src1_sel:DWORD
	v_or_b32_e32 v9, v28, v9
	s_and_b64 s[0:1], vcc, s[0:1]
	v_or_b32_sdwa v5, v5, v10 dst_sel:DWORD dst_unused:UNUSED_PAD src0_sel:WORD_0 src1_sel:DWORD
.LBB213_41:
	s_mov_b64 s[58:59], -1
	s_cbranch_execnz .LBB213_36
.LBB213_42:
	s_movk_i32 s0, 0xffd8
	s_waitcnt vmcnt(0)
	v_mad_i32_i24 v10, v0, s0, v1
	s_and_b64 vcc, exec, s[50:51]
	v_cmp_ne_u32_e64 s[0:1], v16, v17
	v_cmp_ne_u32_e64 s[4:5], v23, v13
	ds_write_b32 v10, v17
	s_cbranch_vccz .LBB213_46
; %bb.43:
	v_cmp_ne_u32_e32 vcc, v25, v22
	v_cndmask_b32_e64 v27, 0, 1, s[4:5]
	v_cndmask_b32_e64 v1, 0, 1, s[0:1]
	v_cndmask_b32_e64 v40, 0, 1, vcc
	v_cmp_ne_u32_e32 vcc, v25, v24
	v_lshlrev_b16_e32 v11, 8, v40
	v_lshlrev_b16_e32 v29, 8, v27
	v_cndmask_b32_e64 v28, 0, 1, vcc
	v_cmp_ne_u32_e32 vcc, v23, v22
	v_lshlrev_b16_e32 v35, 8, v1
	v_mov_b32_e32 v26, 1
	v_cndmask_b32_e64 v30, 0, 1, vcc
	v_cmp_ne_u32_e32 vcc, v20, v21
	s_waitcnt lgkmcnt(0)
	s_barrier
	v_cndmask_b32_e64 v39, 0, 1, vcc
	v_cmp_ne_u32_e32 vcc, v20, v13
	v_lshlrev_b16_e32 v31, 8, v39
	s_nop 0
	v_cndmask_b32_e64 v32, 0, 1, vcc
	v_cmp_ne_u32_e32 vcc, v18, v19
                                        ; implicit-def: $sgpr0_sgpr1
                                        ; implicit-def: $vgpr8
                                        ; implicit-def: $vgpr9
                                        ; implicit-def: $vgpr7
                                        ; implicit-def: $vgpr5
	s_nop 1
	v_cndmask_b32_e64 v38, 0, 1, vcc
	v_cmp_ne_u32_e32 vcc, v18, v21
	v_lshlrev_b16_e32 v33, 8, v38
	s_nop 0
	v_cndmask_b32_e64 v34, 0, 1, vcc
	v_cmp_ne_u32_e32 vcc, v16, v19
	s_nop 1
	v_cndmask_b32_e64 v36, 0, 1, vcc
	s_and_saveexec_b64 s[4:5], s[2:3]
	s_xor_b64 s[4:5], exec, s[4:5]
	s_cbranch_execz .LBB213_45
; %bb.44:
	v_lshlrev_b16_e32 v5, 8, v32
	v_mov_b32_e32 v9, 8
	v_lshlrev_b16_e32 v7, 8, v34
	v_lshrrev_b32_sdwa v5, v9, v5 dst_sel:BYTE_1 dst_unused:UNUSED_PAD src0_sel:DWORD src1_sel:DWORD
	v_lshlrev_b16_e32 v37, 8, v36
	v_or_b32_e32 v5, v27, v5
	v_or_b32_sdwa v7, v39, v7 dst_sel:WORD_1 dst_unused:UNUSED_PAD src0_sel:DWORD src1_sel:DWORD
	v_lshlrev_b16_e32 v4, 8, v28
	v_or_b32_sdwa v5, v5, v7 dst_sel:DWORD dst_unused:UNUSED_PAD src0_sel:WORD_0 src1_sel:DWORD
	v_lshrrev_b32_sdwa v7, v9, v37 dst_sel:BYTE_1 dst_unused:UNUSED_PAD src0_sel:DWORD src1_sel:DWORD
	v_add_u32_e32 v37, -4, v10
	ds_read_b32 v37, v37
	v_lshlrev_b16_e32 v8, 8, v30
	v_or_b32_e32 v7, v38, v7
	v_and_b32_e32 v7, 0xffff, v7
	v_lshrrev_b32_sdwa v8, v9, v8 dst_sel:BYTE_1 dst_unused:UNUSED_PAD src0_sel:DWORD src1_sel:DWORD
	v_lshrrev_b32_sdwa v4, v9, v4 dst_sel:BYTE_1 dst_unused:UNUSED_PAD src0_sel:DWORD src1_sel:DWORD
	v_lshl_or_b32 v7, v1, 16, v7
	v_or_b32_sdwa v8, v40, v8 dst_sel:WORD_1 dst_unused:UNUSED_PAD src0_sel:DWORD src1_sel:DWORD
	v_or_b32_e32 v4, 1, v4
	v_or_b32_sdwa v4, v4, v8 dst_sel:DWORD dst_unused:UNUSED_PAD src0_sel:WORD_0 src1_sel:DWORD
	s_waitcnt lgkmcnt(0)
	v_cmp_ne_u32_e64 s[0:1], v37, v24
	v_lshrrev_b32_e32 v9, 8, v7
	v_lshrrev_b32_e32 v8, 16, v7
	s_or_b64 s[58:59], s[58:59], exec
.LBB213_45:
	s_or_b64 exec, exec, s[4:5]
	v_or_b32_e32 v42, v28, v11
	v_or_b32_e32 v28, v30, v29
	;; [unrolled: 1-line block ×5, first 2 shown]
	s_branch .LBB213_50
.LBB213_46:
                                        ; implicit-def: $sgpr0_sgpr1
                                        ; implicit-def: $vgpr8
                                        ; implicit-def: $vgpr9
                                        ; implicit-def: $vgpr7
                                        ; implicit-def: $vgpr5
                                        ; implicit-def: $vgpr26
                                        ; implicit-def: $vgpr42
                                        ; implicit-def: $vgpr40
                                        ; implicit-def: $vgpr28
                                        ; implicit-def: $vgpr41
                                        ; implicit-def: $vgpr39
                                        ; implicit-def: $vgpr33
                                        ; implicit-def: $vgpr38
                                        ; implicit-def: $vgpr29
                                        ; implicit-def: $vgpr1
	s_cbranch_execz .LBB213_50
; %bb.47:
	v_add_u32_e32 v4, 10, v6
	v_cmp_gt_u32_e32 vcc, s60, v4
	v_add_u32_e32 v4, 8, v6
	v_add_u32_e32 v5, 5, v6
	;; [unrolled: 1-line block ×3, first 2 shown]
	v_cmp_gt_u32_e64 s[8:9], s60, v7
	v_cmp_gt_u32_e64 s[10:11], s60, v5
	;; [unrolled: 1-line block ×3, first 2 shown]
	v_pk_mov_b32 v[4:5], v[20:21], v[18:19] op_sel:[1,0]
	v_add_u32_e32 v7, 2, v6
	v_add_u32_e32 v1, 9, v6
	v_pk_mov_b32 v[8:9], v[12:13], v[20:21] op_sel:[1,0]
	v_cmp_ne_u32_e64 s[22:23], v5, v19
	v_add_u32_e32 v5, 1, v6
	v_cmp_ne_u32_e64 s[26:27], v25, v3
	v_cmp_gt_u32_e64 s[36:37], s60, v7
	v_cmp_gt_u32_e64 s[0:1], s60, v1
	v_add_u32_e32 v1, 7, v6
	v_cmp_ne_u32_e64 s[16:17], v9, v21
	v_cmp_ne_u32_e64 s[24:25], v4, v18
	v_add_u32_e32 v4, 4, v6
	v_cmp_ne_u32_e64 s[28:29], v24, v2
	v_cmp_gt_u32_e64 s[38:39], s60, v5
	s_and_b64 s[26:27], s[36:37], s[26:27]
	v_cmp_gt_u32_e64 s[14:15], s60, v1
	v_cmp_ne_u32_e64 s[20:21], v8, v20
	v_add_u32_e32 v1, 3, v6
	v_cmp_ne_u32_e64 s[30:31], v23, v13
	v_cmp_gt_u32_e64 s[40:41], s60, v4
	v_cndmask_b32_e64 v4, 0, 1, s[26:27]
	s_and_b64 s[26:27], s[38:39], s[28:29]
	s_and_b64 s[8:9], s[8:9], s[16:17]
	v_cmp_ne_u32_e64 s[34:35], v22, v12
	v_cmp_gt_u32_e64 s[42:43], s60, v1
	v_cndmask_b32_e64 v3, 0, 1, s[26:27]
	s_and_b64 s[26:27], s[40:41], s[30:31]
	v_cndmask_b32_e64 v36, 0, 1, s[8:9]
	s_and_b64 s[8:9], s[10:11], s[20:21]
	;; [unrolled: 2-line block ×4, first 2 shown]
	v_lshlrev_b16_e32 v1, 8, v35
	v_cndmask_b32_e64 v38, 0, 1, s[26:27]
	v_cndmask_b32_e64 v37, 0, 1, s[8:9]
	s_and_b64 s[8:9], s[14:15], s[24:25]
	v_cmp_ne_u32_e64 s[4:5], v16, v17
	v_or_b32_e32 v28, v38, v1
	v_lshlrev_b16_e32 v1, 8, v37
	v_cndmask_b32_e64 v39, 0, 1, s[8:9]
	v_cmp_ne_u32_e64 s[6:7], v19, v16
	v_or_b32_e32 v33, v39, v1
	s_and_b64 s[4:5], vcc, s[4:5]
	v_lshlrev_b16_e32 v2, 8, v4
	v_lshlrev_b32_e32 v11, 16, v28
	v_lshlrev_b16_e32 v27, 8, v36
	v_lshlrev_b32_e32 v30, 16, v33
	v_cndmask_b32_e64 v1, 0, 1, s[4:5]
	s_and_b64 s[0:1], s[0:1], s[6:7]
	v_or_b32_e32 v12, v2, v11
	v_or_b32_e32 v31, v27, v30
	v_lshlrev_b16_e32 v32, 8, v1
	v_cndmask_b32_e64 v34, 0, 1, s[0:1]
	v_mov_b32_e32 v26, 1
	s_waitcnt lgkmcnt(0)
	s_barrier
                                        ; implicit-def: $sgpr0_sgpr1
                                        ; implicit-def: $vgpr8
                                        ; implicit-def: $vgpr9
                                        ; implicit-def: $vgpr7
                                        ; implicit-def: $vgpr5
	s_and_saveexec_b64 s[4:5], s[2:3]
	s_cbranch_execz .LBB213_49
; %bb.48:
	v_lshlrev_b16_e32 v8, 8, v38
	v_mov_b32_e32 v38, 8
	v_lshrrev_b32_sdwa v8, v38, v8 dst_sel:BYTE_1 dst_unused:UNUSED_PAD src0_sel:DWORD src1_sel:DWORD
	v_lshlrev_b16_e32 v7, 8, v29
	v_or_b32_sdwa v4, v4, v8 dst_sel:WORD_1 dst_unused:UNUSED_PAD src0_sel:DWORD src1_sel:DWORD
	v_add_u32_e32 v8, -4, v10
	v_lshlrev_b16_e32 v5, 8, v39
	v_lshrrev_b32_sdwa v7, v38, v7 dst_sel:BYTE_1 dst_unused:UNUSED_PAD src0_sel:DWORD src1_sel:DWORD
	ds_read_b32 v8, v8
	v_lshlrev_b16_e32 v39, 8, v34
	v_or_b32_e32 v7, v35, v7
	v_or_b32_sdwa v5, v36, v5 dst_sel:WORD_1 dst_unused:UNUSED_PAD src0_sel:DWORD src1_sel:DWORD
	v_lshlrev_b16_e32 v9, 8, v3
	v_or_b32_sdwa v5, v7, v5 dst_sel:DWORD dst_unused:UNUSED_PAD src0_sel:WORD_0 src1_sel:DWORD
	v_lshrrev_b32_sdwa v7, v38, v39 dst_sel:BYTE_1 dst_unused:UNUSED_PAD src0_sel:DWORD src1_sel:DWORD
	v_lshrrev_b32_sdwa v9, v38, v9 dst_sel:BYTE_1 dst_unused:UNUSED_PAD src0_sel:DWORD src1_sel:DWORD
	v_or_b32_e32 v7, v37, v7
	v_and_b32_e32 v7, 0xffff, v7
	v_lshl_or_b32 v7, v1, 16, v7
	v_or_b32_e32 v9, 1, v9
	v_cmp_gt_u32_e32 vcc, s60, v6
	s_waitcnt lgkmcnt(0)
	v_cmp_ne_u32_e64 s[0:1], v8, v24
	v_or_b32_sdwa v4, v9, v4 dst_sel:DWORD dst_unused:UNUSED_PAD src0_sel:WORD_0 src1_sel:DWORD
	s_and_b64 s[0:1], vcc, s[0:1]
	v_lshrrev_b32_e32 v9, 8, v7
	v_lshrrev_b32_e32 v8, 16, v7
	s_or_b64 s[58:59], s[58:59], exec
.LBB213_49:
	s_or_b64 exec, exec, s[4:5]
	v_or_b32_e32 v42, v3, v2
	v_or_b32_e32 v41, v29, v27
	;; [unrolled: 1-line block ×3, first 2 shown]
	v_lshrrev_b32_e32 v27, 24, v11
	v_lshrrev_b32_e32 v40, 8, v12
	;; [unrolled: 1-line block ×4, first 2 shown]
.LBB213_50:
	s_and_saveexec_b64 s[2:3], s[58:59]
	s_cbranch_execz .LBB213_52
; %bb.51:
	v_lshrrev_b64 v[28:29], 24, v[4:5]
	v_lshrrev_b32_e32 v41, 8, v5
	v_lshrrev_b32_e32 v39, 16, v5
	;; [unrolled: 1-line block ×5, first 2 shown]
	v_cndmask_b32_e64 v26, 0, 1, s[0:1]
	v_mov_b32_e32 v27, v5
	v_mov_b32_e32 v38, v7
	;; [unrolled: 1-line block ×4, first 2 shown]
.LBB213_52:
	s_or_b64 exec, exec, s[2:3]
	s_andn2_b64 vcc, exec, s[54:55]
	s_cbranch_vccnz .LBB213_56
; %bb.53:
	s_mov_b32 s0, 0xc0c0004
	v_perm_b32 v7, v40, v28, s0
	v_perm_b32 v5, v26, v42, s0
	v_lshlrev_b32_e32 v7, 16, v7
	v_and_b32_e32 v1, 0xff, v1
	v_or_b32_e32 v5, v5, v7
	v_perm_b32 v8, v38, v29, s0
	v_lshlrev_b32_e32 v1, 16, v1
	v_lshlrev_b16_e32 v9, 8, v29
	v_cmp_gt_u32_e32 vcc, s60, v6
	v_or_b32_e32 v8, v8, v1
	v_or_b32_e32 v1, v9, v1
	v_cndmask_b32_e32 v7, v7, v5, vcc
	v_add_u32_e32 v9, 1, v6
	v_and_b32_e32 v7, 0xffff00ff, v7
	v_cmp_gt_u32_e32 vcc, s60, v9
	v_perm_b32 v2, v27, v41, s0
	v_perm_b32 v3, v39, v33, s0
	v_cndmask_b32_e32 v7, v7, v5, vcc
	v_add_u32_e32 v9, 2, v6
	s_waitcnt vmcnt(0)
	v_lshrrev_b32_e32 v10, 24, v7
	s_mov_b32 s0, 0x40c0100
	v_perm_b32 v7, v10, v7, s0
	v_cmp_gt_u32_e32 vcc, s60, v9
	v_lshlrev_b32_e32 v3, 16, v3
	v_add_u32_e32 v9, 3, v6
	v_cndmask_b32_e32 v7, v7, v5, vcc
	s_movk_i32 s1, 0xff00
	v_or_b32_e32 v4, v2, v3
	v_and_b32_e32 v7, 0xffffff, v7
	v_cmp_gt_u32_e32 vcc, s60, v9
	v_bitop3_b32 v2, v2, s1, v3 bitop3:0xc8
	v_add_u32_e32 v3, 4, v6
	v_cndmask_b32_e32 v7, v7, v5, vcc
	v_cmp_gt_u32_e32 vcc, s60, v3
	s_nop 1
	v_cndmask_b32_e32 v2, v2, v4, vcc
	v_cndmask_b32_e32 v3, v7, v5, vcc
	v_add_u32_e32 v7, 5, v6
	v_and_b32_e32 v2, 0xffff00ff, v2
	v_cmp_gt_u32_e32 vcc, s60, v7
	v_add_u32_e32 v7, 6, v6
	s_nop 0
	v_cndmask_b32_e32 v2, v2, v4, vcc
	v_cndmask_b32_e32 v3, v3, v5, vcc
	v_lshrrev_b32_e32 v9, 24, v2
	v_cmp_gt_u32_e32 vcc, s60, v7
	v_add_u32_e32 v7, 7, v6
	v_perm_b32 v2, v9, v2, s0
	v_cmp_gt_u32_e64 s[0:1], s60, v7
	v_add_u32_e32 v7, 8, v6
	v_cmp_gt_u32_e64 s[2:3], s60, v7
	v_add_u32_e32 v7, 9, v6
	v_cmp_gt_u32_e64 s[4:5], s60, v7
	v_cndmask_b32_e64 v1, v1, v8, s[2:3]
	s_or_b64 s[2:3], s[4:5], s[2:3]
	v_cndmask_b32_e32 v2, v2, v4, vcc
	s_or_b64 s[0:1], s[2:3], s[0:1]
	v_and_b32_e32 v2, 0xffffff, v2
	s_or_b64 vcc, s[0:1], vcc
	v_and_b32_e32 v1, 0xffff00ff, v1
	v_cndmask_b32_e64 v27, v2, v4, s[0:1]
	v_cndmask_b32_e32 v26, v3, v5, vcc
	v_cndmask_b32_e64 v38, v1, v8, s[4:5]
	v_lshrrev_b64 v[28:29], 24, v[26:27]
	v_add_u32_e32 v2, 10, v6
	v_lshrrev_b32_e32 v33, 24, v27
	v_lshrrev_b32_e32 v39, 16, v27
	;; [unrolled: 1-line block ×7, first 2 shown]
	v_cmp_le_u32_e32 vcc, s60, v2
	s_and_saveexec_b64 s[0:1], vcc
; %bb.54:
	v_mov_b32_e32 v1, 0
; %bb.55:
	s_or_b64 exec, exec, s[0:1]
.LBB213_56:
	v_and_b32_e32 v34, 0xff, v26
	v_and_b32_e32 v35, 0xff, v42
	;; [unrolled: 1-line block ×5, first 2 shown]
	v_add3_u32 v3, v35, v34, v36
	v_and_b32_e32 v44, 0xff, v41
	v_and_b32_e32 v45, 0xff, v39
	v_add3_u32 v3, v3, v37, v43
	v_and_b32_e32 v46, 0xff, v33
	v_and_b32_e32 v47, 0xff, v38
	;; [unrolled: 3-line block ×3, first 2 shown]
	v_add3_u32 v3, v3, v46, v47
	v_add3_u32 v51, v3, v48, v2
	v_mbcnt_lo_u32_b32 v2, -1, 0
	v_mbcnt_hi_u32_b32 v49, -1, v2
	v_and_b32_e32 v2, 15, v49
	v_cmp_eq_u32_e64 s[14:15], 0, v2
	v_cmp_lt_u32_e64 s[12:13], 1, v2
	v_cmp_lt_u32_e64 s[10:11], 3, v2
	;; [unrolled: 1-line block ×3, first 2 shown]
	v_and_b32_e32 v2, 16, v49
	v_cmp_eq_u32_e64 s[6:7], 0, v2
	v_or_b32_e32 v2, 63, v0
	v_cmp_lt_u32_e64 s[2:3], 31, v49
	v_lshrrev_b32_e32 v50, 6, v0
	v_cmp_eq_u32_e64 s[4:5], v0, v2
	s_and_b64 vcc, exec, s[56:57]
	s_waitcnt lgkmcnt(0)
	s_barrier
	s_cbranch_vccz .LBB213_78
; %bb.57:
	v_mov_b32_dpp v2, v51 row_shr:1 row_mask:0xf bank_mask:0xf
	v_cndmask_b32_e64 v2, v2, 0, s[14:15]
	v_add_u32_e32 v2, v2, v51
	s_nop 1
	v_mov_b32_dpp v3, v2 row_shr:2 row_mask:0xf bank_mask:0xf
	v_cndmask_b32_e64 v3, 0, v3, s[12:13]
	v_add_u32_e32 v2, v2, v3
	s_nop 1
	;; [unrolled: 4-line block ×4, first 2 shown]
	v_mov_b32_dpp v3, v2 row_bcast:15 row_mask:0xf bank_mask:0xf
	v_cndmask_b32_e64 v3, v3, 0, s[6:7]
	v_add_u32_e32 v2, v2, v3
	s_nop 1
	v_mov_b32_dpp v3, v2 row_bcast:31 row_mask:0xf bank_mask:0xf
	v_cndmask_b32_e64 v3, 0, v3, s[2:3]
	v_add_u32_e32 v2, v2, v3
	s_and_saveexec_b64 s[0:1], s[4:5]
; %bb.58:
	v_lshlrev_b32_e32 v3, 2, v50
	ds_write_b32 v3, v2
; %bb.59:
	s_or_b64 exec, exec, s[0:1]
	v_cmp_gt_u32_e32 vcc, 8, v0
	s_waitcnt lgkmcnt(0)
	s_barrier
	s_and_saveexec_b64 s[0:1], vcc
	s_cbranch_execz .LBB213_61
; %bb.60:
	v_lshlrev_b32_e32 v3, 2, v0
	ds_read_b32 v4, v3
	v_and_b32_e32 v5, 7, v49
	v_cmp_ne_u32_e32 vcc, 0, v5
	s_waitcnt lgkmcnt(0)
	v_mov_b32_dpp v6, v4 row_shr:1 row_mask:0xf bank_mask:0xf
	v_cndmask_b32_e32 v6, 0, v6, vcc
	v_add_u32_e32 v4, v6, v4
	v_cmp_lt_u32_e32 vcc, 1, v5
	s_nop 0
	v_mov_b32_dpp v6, v4 row_shr:2 row_mask:0xf bank_mask:0xf
	v_cndmask_b32_e32 v6, 0, v6, vcc
	v_add_u32_e32 v4, v4, v6
	v_cmp_lt_u32_e32 vcc, 3, v5
	s_nop 0
	v_mov_b32_dpp v6, v4 row_shr:4 row_mask:0xf bank_mask:0xf
	v_cndmask_b32_e32 v5, 0, v6, vcc
	v_add_u32_e32 v4, v4, v5
	ds_write_b32 v3, v4
.LBB213_61:
	s_or_b64 exec, exec, s[0:1]
	v_cmp_gt_u32_e32 vcc, 64, v0
	v_cmp_lt_u32_e64 s[0:1], 63, v0
	s_waitcnt lgkmcnt(0)
	s_barrier
                                        ; implicit-def: $vgpr12
	s_and_saveexec_b64 s[16:17], s[0:1]
	s_cbranch_execz .LBB213_63
; %bb.62:
	v_lshl_add_u32 v3, v50, 2, -4
	ds_read_b32 v12, v3
	s_waitcnt lgkmcnt(0)
	v_add_u32_e32 v2, v12, v2
.LBB213_63:
	s_or_b64 exec, exec, s[16:17]
	v_subrev_co_u32_e64 v3, s[16:17], 1, v49
	v_and_b32_e32 v4, 64, v49
	v_cmp_lt_i32_e64 s[0:1], v3, v4
	s_nop 1
	v_cndmask_b32_e64 v3, v3, v49, s[0:1]
	v_lshlrev_b32_e32 v3, 2, v3
	ds_bpermute_b32 v30, v3, v2
	s_and_saveexec_b64 s[0:1], vcc
	s_cbranch_execz .LBB213_83
; %bb.64:
	v_mov_b32_e32 v9, 0
	ds_read_b32 v2, v9 offset:28
	s_and_saveexec_b64 s[20:21], s[16:17]
	s_cbranch_execz .LBB213_66
; %bb.65:
	s_add_i32 s22, s33, 64
	s_mov_b32 s23, 0
	s_lshl_b64 s[22:23], s[22:23], 3
	s_add_u32 s22, s52, s22
	v_mov_b32_e32 v3, 1
	s_addc_u32 s23, s53, s23
	s_waitcnt lgkmcnt(0)
	global_store_dwordx2 v9, v[2:3], s[22:23] sc1
.LBB213_66:
	s_or_b64 exec, exec, s[20:21]
	v_xad_u32 v4, v49, -1, s33
	v_add_u32_e32 v8, 64, v4
	s_waitcnt vmcnt(0)
	v_lshl_add_u64 v[10:11], v[8:9], 3, s[52:53]
	global_load_dwordx2 v[6:7], v[10:11], off sc1
	s_waitcnt vmcnt(0)
	v_cmp_eq_u16_sdwa s[22:23], v7, v9 src0_sel:BYTE_0 src1_sel:DWORD
	s_and_saveexec_b64 s[20:21], s[22:23]
	s_cbranch_execz .LBB213_70
; %bb.67:
	s_mov_b64 s[22:23], 0
	v_mov_b32_e32 v3, 0
.LBB213_68:                             ; =>This Inner Loop Header: Depth=1
	global_load_dwordx2 v[6:7], v[10:11], off sc1
	s_waitcnt vmcnt(0)
	v_cmp_ne_u16_sdwa s[24:25], v7, v3 src0_sel:BYTE_0 src1_sel:DWORD
	s_or_b64 s[22:23], s[24:25], s[22:23]
	s_andn2_b64 exec, exec, s[22:23]
	s_cbranch_execnz .LBB213_68
; %bb.69:
	s_or_b64 exec, exec, s[22:23]
.LBB213_70:
	s_or_b64 exec, exec, s[20:21]
	v_and_b32_e32 v32, 63, v49
	v_mov_b32_e32 v31, 2
	v_cmp_ne_u32_e32 vcc, 63, v32
	v_cmp_eq_u16_sdwa s[20:21], v7, v31 src0_sel:BYTE_0 src1_sel:DWORD
	v_lshlrev_b64 v[8:9], v49, -1
	v_addc_co_u32_e32 v10, vcc, 0, v49, vcc
	v_and_b32_e32 v3, s21, v9
	v_lshlrev_b32_e32 v52, 2, v10
	v_or_b32_e32 v3, 0x80000000, v3
	ds_bpermute_b32 v10, v52, v6
	v_and_b32_e32 v5, s20, v8
	v_ffbl_b32_e32 v3, v3
	v_add_u32_e32 v3, 32, v3
	v_ffbl_b32_e32 v5, v5
	v_min_u32_e32 v3, v5, v3
	v_cmp_lt_u32_e32 vcc, v32, v3
	v_add_u32_e32 v54, 2, v32
	v_add_u32_e32 v56, 4, v32
	s_waitcnt lgkmcnt(0)
	v_cndmask_b32_e32 v5, 0, v10, vcc
	v_cmp_gt_u32_e32 vcc, 62, v32
	v_add_u32_e32 v5, v5, v6
	v_add_u32_e32 v58, 8, v32
	v_cndmask_b32_e64 v6, 0, 2, vcc
	v_add_lshl_u32 v53, v6, v49, 2
	ds_bpermute_b32 v6, v53, v5
	v_cmp_le_u32_e32 vcc, v54, v3
	v_add_u32_e32 v60, 16, v32
	v_add_u32_e32 v62, 32, v32
	s_waitcnt lgkmcnt(0)
	v_cndmask_b32_e32 v6, 0, v6, vcc
	v_cmp_gt_u32_e32 vcc, 60, v32
	v_add_u32_e32 v5, v5, v6
	s_nop 0
	v_cndmask_b32_e64 v6, 0, 4, vcc
	v_add_lshl_u32 v55, v6, v49, 2
	ds_bpermute_b32 v6, v55, v5
	v_cmp_le_u32_e32 vcc, v56, v3
	s_waitcnt lgkmcnt(0)
	s_nop 0
	v_cndmask_b32_e32 v6, 0, v6, vcc
	v_cmp_gt_u32_e32 vcc, 56, v32
	v_add_u32_e32 v5, v5, v6
	s_nop 0
	v_cndmask_b32_e64 v6, 0, 8, vcc
	v_add_lshl_u32 v57, v6, v49, 2
	ds_bpermute_b32 v6, v57, v5
	v_cmp_le_u32_e32 vcc, v58, v3
	s_waitcnt lgkmcnt(0)
	s_nop 0
	;; [unrolled: 10-line block ×3, first 2 shown]
	v_cndmask_b32_e32 v6, 0, v6, vcc
	v_add_u32_e32 v5, v5, v6
	v_mov_b32_e32 v6, 0x80
	v_lshl_or_b32 v61, v49, 2, v6
	ds_bpermute_b32 v6, v61, v5
	v_cmp_le_u32_e32 vcc, v62, v3
	s_waitcnt lgkmcnt(0)
	s_nop 0
	v_cndmask_b32_e32 v3, 0, v6, vcc
	v_add_u32_e32 v6, v5, v3
	v_mov_b32_e32 v5, 0
	s_branch .LBB213_73
.LBB213_71:                             ;   in Loop: Header=BB213_73 Depth=1
	s_or_b64 exec, exec, s[20:21]
	v_cmp_eq_u16_sdwa s[20:21], v7, v31 src0_sel:BYTE_0 src1_sel:DWORD
	ds_bpermute_b32 v63, v52, v6
	v_subrev_u32_e32 v4, 64, v4
	v_and_b32_e32 v10, s21, v9
	v_or_b32_e32 v10, 0x80000000, v10
	v_and_b32_e32 v11, s20, v8
	v_ffbl_b32_e32 v10, v10
	v_add_u32_e32 v10, 32, v10
	v_ffbl_b32_e32 v11, v11
	v_min_u32_e32 v10, v11, v10
	v_cmp_lt_u32_e32 vcc, v32, v10
	s_mov_b64 s[20:21], 0
	s_waitcnt lgkmcnt(0)
	v_cndmask_b32_e32 v11, 0, v63, vcc
	v_add_u32_e32 v6, v11, v6
	ds_bpermute_b32 v11, v53, v6
	v_cmp_le_u32_e32 vcc, v54, v10
	s_waitcnt lgkmcnt(0)
	s_nop 0
	v_cndmask_b32_e32 v11, 0, v11, vcc
	v_add_u32_e32 v6, v6, v11
	ds_bpermute_b32 v11, v55, v6
	v_cmp_le_u32_e32 vcc, v56, v10
	s_waitcnt lgkmcnt(0)
	s_nop 0
	;; [unrolled: 6-line block ×5, first 2 shown]
	v_cndmask_b32_e32 v10, 0, v11, vcc
	v_add3_u32 v6, v10, v3, v6
.LBB213_72:                             ;   in Loop: Header=BB213_73 Depth=1
	s_and_b64 vcc, exec, s[20:21]
	s_cbranch_vccnz .LBB213_79
.LBB213_73:                             ; =>This Loop Header: Depth=1
                                        ;     Child Loop BB213_76 Depth 2
	v_cmp_ne_u16_sdwa s[20:21], v7, v31 src0_sel:BYTE_0 src1_sel:DWORD
	v_mov_b32_e32 v3, v6
	s_cmp_lg_u64 s[20:21], exec
	s_mov_b64 s[20:21], -1
                                        ; implicit-def: $vgpr6
                                        ; implicit-def: $vgpr7
	s_cbranch_scc1 .LBB213_72
; %bb.74:                               ;   in Loop: Header=BB213_73 Depth=1
	v_lshl_add_u64 v[10:11], v[4:5], 3, s[52:53]
	global_load_dwordx2 v[6:7], v[10:11], off sc1
	s_waitcnt vmcnt(0)
	v_cmp_eq_u16_sdwa s[22:23], v7, v5 src0_sel:BYTE_0 src1_sel:DWORD
	s_and_saveexec_b64 s[20:21], s[22:23]
	s_cbranch_execz .LBB213_71
; %bb.75:                               ;   in Loop: Header=BB213_73 Depth=1
	s_mov_b64 s[22:23], 0
.LBB213_76:                             ;   Parent Loop BB213_73 Depth=1
                                        ; =>  This Inner Loop Header: Depth=2
	global_load_dwordx2 v[6:7], v[10:11], off sc1
	s_waitcnt vmcnt(0)
	v_cmp_ne_u16_sdwa s[24:25], v7, v5 src0_sel:BYTE_0 src1_sel:DWORD
	s_or_b64 s[22:23], s[24:25], s[22:23]
	s_andn2_b64 exec, exec, s[22:23]
	s_cbranch_execnz .LBB213_76
; %bb.77:                               ;   in Loop: Header=BB213_73 Depth=1
	s_or_b64 exec, exec, s[22:23]
	s_branch .LBB213_71
.LBB213_78:
                                        ; implicit-def: $vgpr32
                                        ; implicit-def: $vgpr30
                                        ; implicit-def: $vgpr2_vgpr3_vgpr4_vgpr5_vgpr6_vgpr7_vgpr8_vgpr9_vgpr10_vgpr11_vgpr12
	s_cbranch_execnz .LBB213_84
	s_branch .LBB213_93
.LBB213_79:
	s_and_saveexec_b64 s[20:21], s[16:17]
	s_cbranch_execz .LBB213_81
; %bb.80:
	s_add_i32 s22, s33, 64
	s_mov_b32 s23, 0
	s_lshl_b64 s[22:23], s[22:23], 3
	s_add_u32 s22, s52, s22
	v_add_u32_e32 v4, v3, v2
	v_mov_b32_e32 v5, 2
	s_addc_u32 s23, s53, s23
	v_mov_b32_e32 v6, 0
	global_store_dwordx2 v6, v[4:5], s[22:23] sc1
	ds_write_b64 v6, v[2:3] offset:22528
.LBB213_81:
	s_or_b64 exec, exec, s[20:21]
	s_and_b64 exec, exec, s[18:19]
; %bb.82:
	v_mov_b32_e32 v2, 0
	ds_write_b32 v2, v3 offset:28
.LBB213_83:
	s_or_b64 exec, exec, s[0:1]
	s_waitcnt vmcnt(0)
	v_mov_b32_e32 v10, 0
	s_waitcnt lgkmcnt(0)
	s_barrier
	ds_read_b32 v2, v10 offset:28
	v_cndmask_b32_e64 v3, v30, v12, s[16:17]
	v_cndmask_b32_e64 v3, v3, 0, s[18:19]
	s_waitcnt lgkmcnt(0)
	s_barrier
	v_add_u32_e32 v2, v2, v3
	v_add_u32_e32 v3, v2, v34
	;; [unrolled: 1-line block ×6, first 2 shown]
	ds_read_b64 v[30:31], v10 offset:22528
	v_add_u32_e32 v8, v7, v44
	v_add_u32_e32 v9, v8, v45
	;; [unrolled: 1-line block ×5, first 2 shown]
	s_waitcnt lgkmcnt(0)
	v_mov_b32_e32 v32, v31
	s_branch .LBB213_93
.LBB213_84:
	v_mov_b32_dpp v2, v51 row_shr:1 row_mask:0xf bank_mask:0xf
	v_cndmask_b32_e64 v2, v2, 0, s[14:15]
	v_add_u32_e32 v2, v2, v51
	s_nop 1
	v_mov_b32_dpp v3, v2 row_shr:2 row_mask:0xf bank_mask:0xf
	v_cndmask_b32_e64 v3, 0, v3, s[12:13]
	v_add_u32_e32 v2, v2, v3
	s_nop 1
	;; [unrolled: 4-line block ×4, first 2 shown]
	v_mov_b32_dpp v3, v2 row_bcast:15 row_mask:0xf bank_mask:0xf
	v_cndmask_b32_e64 v3, v3, 0, s[6:7]
	v_add_u32_e32 v2, v2, v3
	s_nop 1
	v_mov_b32_dpp v3, v2 row_bcast:31 row_mask:0xf bank_mask:0xf
	v_cndmask_b32_e64 v3, 0, v3, s[2:3]
	v_add_u32_e32 v2, v2, v3
	s_and_saveexec_b64 s[0:1], s[4:5]
; %bb.85:
	v_lshlrev_b32_e32 v3, 2, v50
	ds_write_b32 v3, v2
; %bb.86:
	s_or_b64 exec, exec, s[0:1]
	v_cmp_gt_u32_e32 vcc, 8, v0
	s_waitcnt lgkmcnt(0)
	s_barrier
	s_and_saveexec_b64 s[0:1], vcc
	s_cbranch_execz .LBB213_88
; %bb.87:
	v_lshlrev_b32_e32 v3, 2, v0
	ds_read_b32 v4, v3
	v_and_b32_e32 v5, 7, v49
	v_cmp_ne_u32_e32 vcc, 0, v5
	s_waitcnt lgkmcnt(0)
	v_mov_b32_dpp v6, v4 row_shr:1 row_mask:0xf bank_mask:0xf
	v_cndmask_b32_e32 v6, 0, v6, vcc
	v_add_u32_e32 v4, v6, v4
	v_cmp_lt_u32_e32 vcc, 1, v5
	s_nop 0
	v_mov_b32_dpp v6, v4 row_shr:2 row_mask:0xf bank_mask:0xf
	v_cndmask_b32_e32 v6, 0, v6, vcc
	v_add_u32_e32 v4, v4, v6
	v_cmp_lt_u32_e32 vcc, 3, v5
	s_nop 0
	v_mov_b32_dpp v6, v4 row_shr:4 row_mask:0xf bank_mask:0xf
	v_cndmask_b32_e32 v5, 0, v6, vcc
	v_add_u32_e32 v4, v4, v5
	ds_write_b32 v3, v4
.LBB213_88:
	s_or_b64 exec, exec, s[0:1]
	v_cmp_lt_u32_e32 vcc, 63, v0
	v_mov_b32_e32 v4, 0
	v_mov_b32_e32 v3, 0
	s_waitcnt lgkmcnt(0)
	s_barrier
	s_and_saveexec_b64 s[0:1], vcc
; %bb.89:
	v_lshl_add_u32 v3, v50, 2, -4
	ds_read_b32 v3, v3
; %bb.90:
	s_or_b64 exec, exec, s[0:1]
	v_subrev_co_u32_e32 v5, vcc, 1, v49
	v_and_b32_e32 v6, 64, v49
	v_cmp_lt_i32_e64 s[0:1], v5, v6
	s_waitcnt lgkmcnt(0)
	v_add_u32_e32 v2, v3, v2
	ds_read_b32 v30, v4 offset:28
	v_cndmask_b32_e64 v5, v5, v49, s[0:1]
	v_lshlrev_b32_e32 v5, 2, v5
	ds_bpermute_b32 v2, v5, v2
	s_and_saveexec_b64 s[0:1], s[18:19]
	s_cbranch_execz .LBB213_92
; %bb.91:
	v_mov_b32_e32 v4, 0
	v_mov_b32_e32 v31, 2
	s_waitcnt lgkmcnt(1)
	global_store_dwordx2 v4, v[30:31], s[52:53] offset:512 sc1
.LBB213_92:
	s_or_b64 exec, exec, s[0:1]
	s_waitcnt lgkmcnt(0)
	v_cndmask_b32_e32 v2, v2, v3, vcc
	v_cndmask_b32_e64 v2, v2, 0, s[18:19]
	v_add_u32_e32 v3, v2, v34
	v_add_u32_e32 v4, v3, v35
	;; [unrolled: 1-line block ×7, first 2 shown]
	s_waitcnt vmcnt(0)
	v_add_u32_e32 v10, v9, v46
	v_add_u32_e32 v11, v10, v47
	;; [unrolled: 1-line block ×3, first 2 shown]
	s_barrier
	v_mov_b32_e32 v32, 0
.LBB213_93:
	s_movk_i32 s0, 0x201
	v_cmp_gt_u32_e32 vcc, s0, v30
	v_and_b32_e32 v26, 1, v26
	s_mov_b64 s[2:3], -1
	s_waitcnt vmcnt(0)
	v_lshlrev_b64 v[34:35], 2, v[14:15]
	v_cmp_eq_u32_e64 s[0:1], 1, v26
	s_cbranch_vccnz .LBB213_97
; %bb.94:
	s_and_b64 vcc, exec, s[2:3]
	s_cbranch_vccnz .LBB213_120
.LBB213_95:
	s_and_b64 s[0:1], s[18:19], s[46:47]
	s_and_saveexec_b64 s[2:3], s[0:1]
	s_cbranch_execnz .LBB213_155
.LBB213_96:
	s_endpgm
.LBB213_97:
	v_add_u32_e32 v31, v32, v30
	v_cmp_lt_u32_e32 vcc, v2, v31
	s_or_b64 s[2:3], s[50:51], vcc
	v_lshl_add_u64 v[36:37], s[48:49], 0, v[34:35]
	s_and_b64 s[2:3], s[2:3], s[0:1]
	s_and_saveexec_b64 s[0:1], s[2:3]
	s_cbranch_execz .LBB213_99
; %bb.98:
	v_mov_b32_e32 v45, 0
	v_mov_b32_e32 v44, v2
	v_lshl_add_u64 v[44:45], v[44:45], 2, v[36:37]
	global_store_dword v[44:45], v24, off
.LBB213_99:
	s_or_b64 exec, exec, s[0:1]
	v_cmp_lt_u32_e32 vcc, v3, v31
	v_and_b32_e32 v43, 1, v42
	s_or_b64 s[0:1], s[50:51], vcc
	v_cmp_eq_u32_e32 vcc, 1, v43
	s_and_b64 s[2:3], s[0:1], vcc
	s_and_saveexec_b64 s[0:1], s[2:3]
	s_cbranch_execz .LBB213_101
; %bb.100:
	v_mov_b32_e32 v45, 0
	v_mov_b32_e32 v44, v3
	v_lshl_add_u64 v[44:45], v[44:45], 2, v[36:37]
	global_store_dword v[44:45], v25, off
.LBB213_101:
	s_or_b64 exec, exec, s[0:1]
	v_cmp_lt_u32_e32 vcc, v4, v31
	v_and_b32_e32 v43, 1, v40
	s_or_b64 s[0:1], s[50:51], vcc
	v_cmp_eq_u32_e32 vcc, 1, v43
	s_and_b64 s[2:3], s[0:1], vcc
	;; [unrolled: 14-line block ×10, first 2 shown]
	s_and_saveexec_b64 s[0:1], s[2:3]
	s_cbranch_execz .LBB213_119
; %bb.118:
	v_mov_b32_e32 v45, 0
	v_mov_b32_e32 v44, v12
	v_lshl_add_u64 v[36:37], v[44:45], 2, v[36:37]
	global_store_dword v[36:37], v17, off
.LBB213_119:
	s_or_b64 exec, exec, s[0:1]
	s_branch .LBB213_95
.LBB213_120:
	v_cmp_eq_u32_e32 vcc, 1, v26
	s_and_saveexec_b64 s[0:1], vcc
; %bb.121:
	v_sub_u32_e32 v2, v2, v32
	v_lshlrev_b32_e32 v2, 2, v2
	ds_write_b32 v2, v24
; %bb.122:
	s_or_b64 exec, exec, s[0:1]
	v_and_b32_e32 v2, 1, v42
	v_cmp_eq_u32_e32 vcc, 1, v2
	s_and_saveexec_b64 s[0:1], vcc
; %bb.123:
	v_sub_u32_e32 v2, v3, v32
	v_lshlrev_b32_e32 v2, 2, v2
	ds_write_b32 v2, v25
; %bb.124:
	s_or_b64 exec, exec, s[0:1]
	v_and_b32_e32 v2, 1, v40
	;; [unrolled: 9-line block ×10, first 2 shown]
	v_cmp_eq_u32_e32 vcc, 1, v1
	s_and_saveexec_b64 s[0:1], vcc
; %bb.141:
	v_sub_u32_e32 v1, v12, v32
	v_lshlrev_b32_e32 v1, 2, v1
	ds_write_b32 v1, v17
; %bb.142:
	s_or_b64 exec, exec, s[0:1]
	v_or_b32_e32 v1, 0x200, v0
	v_max_u32_e32 v2, v30, v1
	v_mov_b32_e32 v33, 0
	v_xad_u32 v6, v0, -1, v2
	s_movk_i32 s0, 0x1ff
	v_cmp_lt_u32_e32 vcc, s0, v6
	s_mov_b64 s[2:3], -1
	v_lshlrev_b64 v[2:3], 2, v[32:33]
	s_waitcnt lgkmcnt(0)
	s_barrier
	s_and_saveexec_b64 s[0:1], vcc
	s_cbranch_execz .LBB213_151
; %bb.143:
	v_lshrrev_b32_e32 v10, 9, v6
	v_add_u32_e32 v6, -1, v10
	v_lshl_add_u64 v[4:5], s[48:49], 0, v[34:35]
	v_lshrrev_b32_e32 v7, 1, v6
	v_lshl_add_u64 v[4:5], v[4:5], 0, v[2:3]
	s_mov_b32 s6, 0
	v_add_u32_e32 v12, 1, v7
	v_cmp_lt_u32_e32 vcc, 13, v6
	v_lshlrev_b32_e32 v11, 2, v0
	v_mov_b64_e32 v[6:7], v[0:1]
	s_and_saveexec_b64 s[2:3], vcc
	s_cbranch_execz .LBB213_147
; %bb.144:
	v_and_b32_e32 v13, -8, v12
	s_mov_b64 s[4:5], 0
	v_mov_b32_e32 v9, 0
	v_mov_b32_e32 v16, v11
	v_mov_b64_e32 v[6:7], v[0:1]
.LBB213_145:                            ; =>This Inner Loop Header: Depth=1
	ds_read2st64_b32 v[18:19], v16 offset1:8
	v_mov_b32_e32 v8, v6
	ds_read2st64_b32 v[36:37], v16 offset0:48 offset1:56
	v_lshl_add_u64 v[54:55], v[8:9], 2, v[4:5]
	v_mov_b32_e32 v8, v7
	ds_read2st64_b32 v[22:23], v16 offset0:16 offset1:24
	ds_read2st64_b32 v[40:41], v16 offset0:64 offset1:72
	v_lshl_add_u64 v[56:57], v[8:9], 2, v[4:5]
	v_add_u32_e32 v8, 0x400, v6
	ds_read2st64_b32 v[44:45], v16 offset0:80 offset1:88
	v_lshl_add_u64 v[58:59], v[8:9], 2, v[4:5]
	v_add_u32_e32 v8, 0x800, v6
	v_add_u32_e32 v20, 0x400, v7
	v_mov_b32_e32 v21, v9
	v_add_u32_e32 v24, 0x800, v7
	ds_read2st64_b32 v[26:27], v16 offset0:32 offset1:40
	v_mov_b32_e32 v25, v9
	ds_read2st64_b32 v[48:49], v16 offset0:96 offset1:104
	v_lshl_add_u64 v[60:61], v[8:9], 2, v[4:5]
	v_add_u32_e32 v8, 0xc00, v6
	v_add_u32_e32 v28, 0xc00, v7
	v_mov_b32_e32 v29, v9
	ds_read2st64_b32 v[52:53], v16 offset0:112 offset1:120
	v_lshl_add_u64 v[20:21], v[20:21], 2, v[4:5]
	v_lshl_add_u64 v[24:25], v[24:25], 2, v[4:5]
	s_waitcnt lgkmcnt(7)
	global_store_dword v[54:55], v18, off
	global_store_dword v[56:57], v19, off
	s_waitcnt lgkmcnt(5)
	global_store_dword v[58:59], v22, off
	global_store_dword v[20:21], v23, off
	;; [unrolled: 3-line block ×3, first 2 shown]
	v_lshl_add_u64 v[18:19], v[8:9], 2, v[4:5]
	v_add_u32_e32 v8, 0x1000, v6
	v_add_u32_e32 v38, 0x1000, v7
	v_mov_b32_e32 v39, v9
	v_lshl_add_u64 v[28:29], v[28:29], 2, v[4:5]
	global_store_dword v[18:19], v36, off
	global_store_dword v[28:29], v37, off
	v_lshl_add_u64 v[18:19], v[8:9], 2, v[4:5]
	v_add_u32_e32 v8, 0x1400, v6
	v_add_u32_e32 v42, 0x1400, v7
	v_mov_b32_e32 v43, v9
	v_add_u32_e32 v13, -8, v13
	v_lshl_add_u64 v[38:39], v[38:39], 2, v[4:5]
	global_store_dword v[18:19], v40, off
	global_store_dword v[38:39], v41, off
	v_lshl_add_u64 v[18:19], v[8:9], 2, v[4:5]
	v_add_u32_e32 v8, 0x1800, v6
	v_add_u32_e32 v46, 0x1800, v7
	v_mov_b32_e32 v47, v9
	s_add_i32 s6, s6, 16
	v_lshl_add_u64 v[42:43], v[42:43], 2, v[4:5]
	v_cmp_eq_u32_e32 vcc, 0, v13
	global_store_dword v[18:19], v44, off
	global_store_dword v[42:43], v45, off
	v_lshl_add_u64 v[18:19], v[8:9], 2, v[4:5]
	v_add_u32_e32 v8, 0x1c00, v6
	v_add_u32_e32 v50, 0x1c00, v7
	v_mov_b32_e32 v51, v9
	v_add_u32_e32 v16, 0x8000, v16
	v_lshl_add_u64 v[46:47], v[46:47], 2, v[4:5]
	v_add_u32_e32 v7, 0x2000, v7
	v_mov_b32_e32 v33, s6
	s_or_b64 s[4:5], vcc, s[4:5]
	v_add_u32_e32 v6, 0x2000, v6
	s_waitcnt lgkmcnt(1)
	global_store_dword v[18:19], v48, off
	global_store_dword v[46:47], v49, off
	v_lshl_add_u64 v[18:19], v[8:9], 2, v[4:5]
	v_lshl_add_u64 v[50:51], v[50:51], 2, v[4:5]
	s_waitcnt lgkmcnt(0)
	global_store_dword v[18:19], v52, off
	global_store_dword v[50:51], v53, off
	s_andn2_b64 exec, exec, s[4:5]
	s_cbranch_execnz .LBB213_145
; %bb.146:
	s_or_b64 exec, exec, s[4:5]
.LBB213_147:
	s_or_b64 exec, exec, s[2:3]
	v_and_b32_e32 v1, 7, v12
	v_cmp_ne_u32_e32 vcc, 0, v1
	s_and_saveexec_b64 s[2:3], vcc
	s_cbranch_execz .LBB213_150
; %bb.148:
	v_lshl_or_b32 v11, v33, 11, v11
	s_mov_b64 s[4:5], 0
	v_mov_b32_e32 v9, 0
.LBB213_149:                            ; =>This Inner Loop Header: Depth=1
	ds_read2st64_b32 v[12:13], v11 offset1:8
	v_add_u32_e32 v1, -1, v1
	v_mov_b32_e32 v8, v6
	v_cmp_eq_u32_e32 vcc, 0, v1
	v_add_u32_e32 v6, 0x400, v6
	v_add_u32_e32 v11, 0x1000, v11
	v_lshl_add_u64 v[16:17], v[8:9], 2, v[4:5]
	v_mov_b32_e32 v8, v7
	v_add_u32_e32 v7, 0x400, v7
	s_or_b64 s[4:5], vcc, s[4:5]
	v_lshl_add_u64 v[18:19], v[8:9], 2, v[4:5]
	s_waitcnt lgkmcnt(0)
	global_store_dword v[16:17], v12, off
	global_store_dword v[18:19], v13, off
	s_andn2_b64 exec, exec, s[4:5]
	s_cbranch_execnz .LBB213_149
.LBB213_150:
	s_or_b64 exec, exec, s[2:3]
	v_add_u32_e32 v1, 1, v10
	v_and_b32_e32 v4, 0xfffffe, v1
	v_cmp_ne_u32_e32 vcc, v1, v4
	v_lshl_or_b32 v0, v4, 9, v0
	s_orn2_b64 s[2:3], vcc, exec
.LBB213_151:
	s_or_b64 exec, exec, s[0:1]
	s_and_saveexec_b64 s[0:1], s[2:3]
	s_cbranch_execz .LBB213_154
; %bb.152:
	v_lshl_add_u64 v[2:3], v[34:35], 0, v[2:3]
	v_mov_b32_e32 v1, 0
	v_lshl_add_u64 v[2:3], s[48:49], 0, v[2:3]
	v_lshlrev_b32_e32 v4, 2, v0
	v_lshl_add_u64 v[2:3], v[0:1], 2, v[2:3]
	s_mov_b64 s[2:3], 0
	s_mov_b64 s[4:5], 0x800
.LBB213_153:                            ; =>This Inner Loop Header: Depth=1
	ds_read_b32 v1, v4
	v_add_u32_e32 v0, 0x200, v0
	v_cmp_ge_u32_e32 vcc, v0, v30
	v_add_u32_e32 v4, 0x800, v4
	s_or_b64 s[2:3], vcc, s[2:3]
	s_waitcnt lgkmcnt(0)
	global_store_dword v[2:3], v1, off
	v_lshl_add_u64 v[2:3], v[2:3], 0, s[4:5]
	s_andn2_b64 exec, exec, s[2:3]
	s_cbranch_execnz .LBB213_153
.LBB213_154:
	s_or_b64 exec, exec, s[0:1]
	s_and_b64 s[0:1], s[18:19], s[46:47]
	s_and_saveexec_b64 s[2:3], s[0:1]
	s_cbranch_execz .LBB213_96
.LBB213_155:
	v_mov_b32_e32 v31, 0
	v_lshl_add_u64 v[0:1], v[14:15], 0, v[30:31]
	v_mov_b32_e32 v33, v31
	v_lshl_add_u64 v[0:1], v[0:1], 0, v[32:33]
	global_store_dwordx2 v31, v[0:1], s[44:45]
	s_endpgm
	.section	.rodata,"a",@progbits
	.p2align	6, 0x0
	.amdhsa_kernel _ZN7rocprim17ROCPRIM_400000_NS6detail17trampoline_kernelINS0_14default_configENS1_25partition_config_selectorILNS1_17partition_subalgoE8EiNS0_10empty_typeEbEEZZNS1_14partition_implILS5_8ELb0ES3_jPKiPS6_PKS6_NS0_5tupleIJPiS6_EEENSE_IJSB_SB_EEENS0_18inequality_wrapperIN6hipcub16HIPCUB_304000_NS8EqualityEEEPlJS6_EEE10hipError_tPvRmT3_T4_T5_T6_T7_T9_mT8_P12ihipStream_tbDpT10_ENKUlT_T0_E_clISt17integral_constantIbLb0EES16_IbLb1EEEEDaS12_S13_EUlS12_E_NS1_11comp_targetILNS1_3genE0ELNS1_11target_archE4294967295ELNS1_3gpuE0ELNS1_3repE0EEENS1_30default_config_static_selectorELNS0_4arch9wavefront6targetE1EEEvT1_
		.amdhsa_group_segment_fixed_size 22536
		.amdhsa_private_segment_fixed_size 0
		.amdhsa_kernarg_size 128
		.amdhsa_user_sgpr_count 2
		.amdhsa_user_sgpr_dispatch_ptr 0
		.amdhsa_user_sgpr_queue_ptr 0
		.amdhsa_user_sgpr_kernarg_segment_ptr 1
		.amdhsa_user_sgpr_dispatch_id 0
		.amdhsa_user_sgpr_kernarg_preload_length 0
		.amdhsa_user_sgpr_kernarg_preload_offset 0
		.amdhsa_user_sgpr_private_segment_size 0
		.amdhsa_uses_dynamic_stack 0
		.amdhsa_enable_private_segment 0
		.amdhsa_system_sgpr_workgroup_id_x 1
		.amdhsa_system_sgpr_workgroup_id_y 0
		.amdhsa_system_sgpr_workgroup_id_z 0
		.amdhsa_system_sgpr_workgroup_info 0
		.amdhsa_system_vgpr_workitem_id 0
		.amdhsa_next_free_vgpr 64
		.amdhsa_next_free_sgpr 61
		.amdhsa_accum_offset 64
		.amdhsa_reserve_vcc 1
		.amdhsa_float_round_mode_32 0
		.amdhsa_float_round_mode_16_64 0
		.amdhsa_float_denorm_mode_32 3
		.amdhsa_float_denorm_mode_16_64 3
		.amdhsa_dx10_clamp 1
		.amdhsa_ieee_mode 1
		.amdhsa_fp16_overflow 0
		.amdhsa_tg_split 0
		.amdhsa_exception_fp_ieee_invalid_op 0
		.amdhsa_exception_fp_denorm_src 0
		.amdhsa_exception_fp_ieee_div_zero 0
		.amdhsa_exception_fp_ieee_overflow 0
		.amdhsa_exception_fp_ieee_underflow 0
		.amdhsa_exception_fp_ieee_inexact 0
		.amdhsa_exception_int_div_zero 0
	.end_amdhsa_kernel
	.section	.text._ZN7rocprim17ROCPRIM_400000_NS6detail17trampoline_kernelINS0_14default_configENS1_25partition_config_selectorILNS1_17partition_subalgoE8EiNS0_10empty_typeEbEEZZNS1_14partition_implILS5_8ELb0ES3_jPKiPS6_PKS6_NS0_5tupleIJPiS6_EEENSE_IJSB_SB_EEENS0_18inequality_wrapperIN6hipcub16HIPCUB_304000_NS8EqualityEEEPlJS6_EEE10hipError_tPvRmT3_T4_T5_T6_T7_T9_mT8_P12ihipStream_tbDpT10_ENKUlT_T0_E_clISt17integral_constantIbLb0EES16_IbLb1EEEEDaS12_S13_EUlS12_E_NS1_11comp_targetILNS1_3genE0ELNS1_11target_archE4294967295ELNS1_3gpuE0ELNS1_3repE0EEENS1_30default_config_static_selectorELNS0_4arch9wavefront6targetE1EEEvT1_,"axG",@progbits,_ZN7rocprim17ROCPRIM_400000_NS6detail17trampoline_kernelINS0_14default_configENS1_25partition_config_selectorILNS1_17partition_subalgoE8EiNS0_10empty_typeEbEEZZNS1_14partition_implILS5_8ELb0ES3_jPKiPS6_PKS6_NS0_5tupleIJPiS6_EEENSE_IJSB_SB_EEENS0_18inequality_wrapperIN6hipcub16HIPCUB_304000_NS8EqualityEEEPlJS6_EEE10hipError_tPvRmT3_T4_T5_T6_T7_T9_mT8_P12ihipStream_tbDpT10_ENKUlT_T0_E_clISt17integral_constantIbLb0EES16_IbLb1EEEEDaS12_S13_EUlS12_E_NS1_11comp_targetILNS1_3genE0ELNS1_11target_archE4294967295ELNS1_3gpuE0ELNS1_3repE0EEENS1_30default_config_static_selectorELNS0_4arch9wavefront6targetE1EEEvT1_,comdat
.Lfunc_end213:
	.size	_ZN7rocprim17ROCPRIM_400000_NS6detail17trampoline_kernelINS0_14default_configENS1_25partition_config_selectorILNS1_17partition_subalgoE8EiNS0_10empty_typeEbEEZZNS1_14partition_implILS5_8ELb0ES3_jPKiPS6_PKS6_NS0_5tupleIJPiS6_EEENSE_IJSB_SB_EEENS0_18inequality_wrapperIN6hipcub16HIPCUB_304000_NS8EqualityEEEPlJS6_EEE10hipError_tPvRmT3_T4_T5_T6_T7_T9_mT8_P12ihipStream_tbDpT10_ENKUlT_T0_E_clISt17integral_constantIbLb0EES16_IbLb1EEEEDaS12_S13_EUlS12_E_NS1_11comp_targetILNS1_3genE0ELNS1_11target_archE4294967295ELNS1_3gpuE0ELNS1_3repE0EEENS1_30default_config_static_selectorELNS0_4arch9wavefront6targetE1EEEvT1_, .Lfunc_end213-_ZN7rocprim17ROCPRIM_400000_NS6detail17trampoline_kernelINS0_14default_configENS1_25partition_config_selectorILNS1_17partition_subalgoE8EiNS0_10empty_typeEbEEZZNS1_14partition_implILS5_8ELb0ES3_jPKiPS6_PKS6_NS0_5tupleIJPiS6_EEENSE_IJSB_SB_EEENS0_18inequality_wrapperIN6hipcub16HIPCUB_304000_NS8EqualityEEEPlJS6_EEE10hipError_tPvRmT3_T4_T5_T6_T7_T9_mT8_P12ihipStream_tbDpT10_ENKUlT_T0_E_clISt17integral_constantIbLb0EES16_IbLb1EEEEDaS12_S13_EUlS12_E_NS1_11comp_targetILNS1_3genE0ELNS1_11target_archE4294967295ELNS1_3gpuE0ELNS1_3repE0EEENS1_30default_config_static_selectorELNS0_4arch9wavefront6targetE1EEEvT1_
                                        ; -- End function
	.set _ZN7rocprim17ROCPRIM_400000_NS6detail17trampoline_kernelINS0_14default_configENS1_25partition_config_selectorILNS1_17partition_subalgoE8EiNS0_10empty_typeEbEEZZNS1_14partition_implILS5_8ELb0ES3_jPKiPS6_PKS6_NS0_5tupleIJPiS6_EEENSE_IJSB_SB_EEENS0_18inequality_wrapperIN6hipcub16HIPCUB_304000_NS8EqualityEEEPlJS6_EEE10hipError_tPvRmT3_T4_T5_T6_T7_T9_mT8_P12ihipStream_tbDpT10_ENKUlT_T0_E_clISt17integral_constantIbLb0EES16_IbLb1EEEEDaS12_S13_EUlS12_E_NS1_11comp_targetILNS1_3genE0ELNS1_11target_archE4294967295ELNS1_3gpuE0ELNS1_3repE0EEENS1_30default_config_static_selectorELNS0_4arch9wavefront6targetE1EEEvT1_.num_vgpr, 64
	.set _ZN7rocprim17ROCPRIM_400000_NS6detail17trampoline_kernelINS0_14default_configENS1_25partition_config_selectorILNS1_17partition_subalgoE8EiNS0_10empty_typeEbEEZZNS1_14partition_implILS5_8ELb0ES3_jPKiPS6_PKS6_NS0_5tupleIJPiS6_EEENSE_IJSB_SB_EEENS0_18inequality_wrapperIN6hipcub16HIPCUB_304000_NS8EqualityEEEPlJS6_EEE10hipError_tPvRmT3_T4_T5_T6_T7_T9_mT8_P12ihipStream_tbDpT10_ENKUlT_T0_E_clISt17integral_constantIbLb0EES16_IbLb1EEEEDaS12_S13_EUlS12_E_NS1_11comp_targetILNS1_3genE0ELNS1_11target_archE4294967295ELNS1_3gpuE0ELNS1_3repE0EEENS1_30default_config_static_selectorELNS0_4arch9wavefront6targetE1EEEvT1_.num_agpr, 0
	.set _ZN7rocprim17ROCPRIM_400000_NS6detail17trampoline_kernelINS0_14default_configENS1_25partition_config_selectorILNS1_17partition_subalgoE8EiNS0_10empty_typeEbEEZZNS1_14partition_implILS5_8ELb0ES3_jPKiPS6_PKS6_NS0_5tupleIJPiS6_EEENSE_IJSB_SB_EEENS0_18inequality_wrapperIN6hipcub16HIPCUB_304000_NS8EqualityEEEPlJS6_EEE10hipError_tPvRmT3_T4_T5_T6_T7_T9_mT8_P12ihipStream_tbDpT10_ENKUlT_T0_E_clISt17integral_constantIbLb0EES16_IbLb1EEEEDaS12_S13_EUlS12_E_NS1_11comp_targetILNS1_3genE0ELNS1_11target_archE4294967295ELNS1_3gpuE0ELNS1_3repE0EEENS1_30default_config_static_selectorELNS0_4arch9wavefront6targetE1EEEvT1_.numbered_sgpr, 61
	.set _ZN7rocprim17ROCPRIM_400000_NS6detail17trampoline_kernelINS0_14default_configENS1_25partition_config_selectorILNS1_17partition_subalgoE8EiNS0_10empty_typeEbEEZZNS1_14partition_implILS5_8ELb0ES3_jPKiPS6_PKS6_NS0_5tupleIJPiS6_EEENSE_IJSB_SB_EEENS0_18inequality_wrapperIN6hipcub16HIPCUB_304000_NS8EqualityEEEPlJS6_EEE10hipError_tPvRmT3_T4_T5_T6_T7_T9_mT8_P12ihipStream_tbDpT10_ENKUlT_T0_E_clISt17integral_constantIbLb0EES16_IbLb1EEEEDaS12_S13_EUlS12_E_NS1_11comp_targetILNS1_3genE0ELNS1_11target_archE4294967295ELNS1_3gpuE0ELNS1_3repE0EEENS1_30default_config_static_selectorELNS0_4arch9wavefront6targetE1EEEvT1_.num_named_barrier, 0
	.set _ZN7rocprim17ROCPRIM_400000_NS6detail17trampoline_kernelINS0_14default_configENS1_25partition_config_selectorILNS1_17partition_subalgoE8EiNS0_10empty_typeEbEEZZNS1_14partition_implILS5_8ELb0ES3_jPKiPS6_PKS6_NS0_5tupleIJPiS6_EEENSE_IJSB_SB_EEENS0_18inequality_wrapperIN6hipcub16HIPCUB_304000_NS8EqualityEEEPlJS6_EEE10hipError_tPvRmT3_T4_T5_T6_T7_T9_mT8_P12ihipStream_tbDpT10_ENKUlT_T0_E_clISt17integral_constantIbLb0EES16_IbLb1EEEEDaS12_S13_EUlS12_E_NS1_11comp_targetILNS1_3genE0ELNS1_11target_archE4294967295ELNS1_3gpuE0ELNS1_3repE0EEENS1_30default_config_static_selectorELNS0_4arch9wavefront6targetE1EEEvT1_.private_seg_size, 0
	.set _ZN7rocprim17ROCPRIM_400000_NS6detail17trampoline_kernelINS0_14default_configENS1_25partition_config_selectorILNS1_17partition_subalgoE8EiNS0_10empty_typeEbEEZZNS1_14partition_implILS5_8ELb0ES3_jPKiPS6_PKS6_NS0_5tupleIJPiS6_EEENSE_IJSB_SB_EEENS0_18inequality_wrapperIN6hipcub16HIPCUB_304000_NS8EqualityEEEPlJS6_EEE10hipError_tPvRmT3_T4_T5_T6_T7_T9_mT8_P12ihipStream_tbDpT10_ENKUlT_T0_E_clISt17integral_constantIbLb0EES16_IbLb1EEEEDaS12_S13_EUlS12_E_NS1_11comp_targetILNS1_3genE0ELNS1_11target_archE4294967295ELNS1_3gpuE0ELNS1_3repE0EEENS1_30default_config_static_selectorELNS0_4arch9wavefront6targetE1EEEvT1_.uses_vcc, 1
	.set _ZN7rocprim17ROCPRIM_400000_NS6detail17trampoline_kernelINS0_14default_configENS1_25partition_config_selectorILNS1_17partition_subalgoE8EiNS0_10empty_typeEbEEZZNS1_14partition_implILS5_8ELb0ES3_jPKiPS6_PKS6_NS0_5tupleIJPiS6_EEENSE_IJSB_SB_EEENS0_18inequality_wrapperIN6hipcub16HIPCUB_304000_NS8EqualityEEEPlJS6_EEE10hipError_tPvRmT3_T4_T5_T6_T7_T9_mT8_P12ihipStream_tbDpT10_ENKUlT_T0_E_clISt17integral_constantIbLb0EES16_IbLb1EEEEDaS12_S13_EUlS12_E_NS1_11comp_targetILNS1_3genE0ELNS1_11target_archE4294967295ELNS1_3gpuE0ELNS1_3repE0EEENS1_30default_config_static_selectorELNS0_4arch9wavefront6targetE1EEEvT1_.uses_flat_scratch, 0
	.set _ZN7rocprim17ROCPRIM_400000_NS6detail17trampoline_kernelINS0_14default_configENS1_25partition_config_selectorILNS1_17partition_subalgoE8EiNS0_10empty_typeEbEEZZNS1_14partition_implILS5_8ELb0ES3_jPKiPS6_PKS6_NS0_5tupleIJPiS6_EEENSE_IJSB_SB_EEENS0_18inequality_wrapperIN6hipcub16HIPCUB_304000_NS8EqualityEEEPlJS6_EEE10hipError_tPvRmT3_T4_T5_T6_T7_T9_mT8_P12ihipStream_tbDpT10_ENKUlT_T0_E_clISt17integral_constantIbLb0EES16_IbLb1EEEEDaS12_S13_EUlS12_E_NS1_11comp_targetILNS1_3genE0ELNS1_11target_archE4294967295ELNS1_3gpuE0ELNS1_3repE0EEENS1_30default_config_static_selectorELNS0_4arch9wavefront6targetE1EEEvT1_.has_dyn_sized_stack, 0
	.set _ZN7rocprim17ROCPRIM_400000_NS6detail17trampoline_kernelINS0_14default_configENS1_25partition_config_selectorILNS1_17partition_subalgoE8EiNS0_10empty_typeEbEEZZNS1_14partition_implILS5_8ELb0ES3_jPKiPS6_PKS6_NS0_5tupleIJPiS6_EEENSE_IJSB_SB_EEENS0_18inequality_wrapperIN6hipcub16HIPCUB_304000_NS8EqualityEEEPlJS6_EEE10hipError_tPvRmT3_T4_T5_T6_T7_T9_mT8_P12ihipStream_tbDpT10_ENKUlT_T0_E_clISt17integral_constantIbLb0EES16_IbLb1EEEEDaS12_S13_EUlS12_E_NS1_11comp_targetILNS1_3genE0ELNS1_11target_archE4294967295ELNS1_3gpuE0ELNS1_3repE0EEENS1_30default_config_static_selectorELNS0_4arch9wavefront6targetE1EEEvT1_.has_recursion, 0
	.set _ZN7rocprim17ROCPRIM_400000_NS6detail17trampoline_kernelINS0_14default_configENS1_25partition_config_selectorILNS1_17partition_subalgoE8EiNS0_10empty_typeEbEEZZNS1_14partition_implILS5_8ELb0ES3_jPKiPS6_PKS6_NS0_5tupleIJPiS6_EEENSE_IJSB_SB_EEENS0_18inequality_wrapperIN6hipcub16HIPCUB_304000_NS8EqualityEEEPlJS6_EEE10hipError_tPvRmT3_T4_T5_T6_T7_T9_mT8_P12ihipStream_tbDpT10_ENKUlT_T0_E_clISt17integral_constantIbLb0EES16_IbLb1EEEEDaS12_S13_EUlS12_E_NS1_11comp_targetILNS1_3genE0ELNS1_11target_archE4294967295ELNS1_3gpuE0ELNS1_3repE0EEENS1_30default_config_static_selectorELNS0_4arch9wavefront6targetE1EEEvT1_.has_indirect_call, 0
	.section	.AMDGPU.csdata,"",@progbits
; Kernel info:
; codeLenInByte = 7868
; TotalNumSgprs: 67
; NumVgprs: 64
; NumAgprs: 0
; TotalNumVgprs: 64
; ScratchSize: 0
; MemoryBound: 0
; FloatMode: 240
; IeeeMode: 1
; LDSByteSize: 22536 bytes/workgroup (compile time only)
; SGPRBlocks: 8
; VGPRBlocks: 7
; NumSGPRsForWavesPerEU: 67
; NumVGPRsForWavesPerEU: 64
; AccumOffset: 64
; Occupancy: 8
; WaveLimiterHint : 1
; COMPUTE_PGM_RSRC2:SCRATCH_EN: 0
; COMPUTE_PGM_RSRC2:USER_SGPR: 2
; COMPUTE_PGM_RSRC2:TRAP_HANDLER: 0
; COMPUTE_PGM_RSRC2:TGID_X_EN: 1
; COMPUTE_PGM_RSRC2:TGID_Y_EN: 0
; COMPUTE_PGM_RSRC2:TGID_Z_EN: 0
; COMPUTE_PGM_RSRC2:TIDIG_COMP_CNT: 0
; COMPUTE_PGM_RSRC3_GFX90A:ACCUM_OFFSET: 15
; COMPUTE_PGM_RSRC3_GFX90A:TG_SPLIT: 0
	.section	.text._ZN7rocprim17ROCPRIM_400000_NS6detail17trampoline_kernelINS0_14default_configENS1_25partition_config_selectorILNS1_17partition_subalgoE8EiNS0_10empty_typeEbEEZZNS1_14partition_implILS5_8ELb0ES3_jPKiPS6_PKS6_NS0_5tupleIJPiS6_EEENSE_IJSB_SB_EEENS0_18inequality_wrapperIN6hipcub16HIPCUB_304000_NS8EqualityEEEPlJS6_EEE10hipError_tPvRmT3_T4_T5_T6_T7_T9_mT8_P12ihipStream_tbDpT10_ENKUlT_T0_E_clISt17integral_constantIbLb0EES16_IbLb1EEEEDaS12_S13_EUlS12_E_NS1_11comp_targetILNS1_3genE5ELNS1_11target_archE942ELNS1_3gpuE9ELNS1_3repE0EEENS1_30default_config_static_selectorELNS0_4arch9wavefront6targetE1EEEvT1_,"axG",@progbits,_ZN7rocprim17ROCPRIM_400000_NS6detail17trampoline_kernelINS0_14default_configENS1_25partition_config_selectorILNS1_17partition_subalgoE8EiNS0_10empty_typeEbEEZZNS1_14partition_implILS5_8ELb0ES3_jPKiPS6_PKS6_NS0_5tupleIJPiS6_EEENSE_IJSB_SB_EEENS0_18inequality_wrapperIN6hipcub16HIPCUB_304000_NS8EqualityEEEPlJS6_EEE10hipError_tPvRmT3_T4_T5_T6_T7_T9_mT8_P12ihipStream_tbDpT10_ENKUlT_T0_E_clISt17integral_constantIbLb0EES16_IbLb1EEEEDaS12_S13_EUlS12_E_NS1_11comp_targetILNS1_3genE5ELNS1_11target_archE942ELNS1_3gpuE9ELNS1_3repE0EEENS1_30default_config_static_selectorELNS0_4arch9wavefront6targetE1EEEvT1_,comdat
	.protected	_ZN7rocprim17ROCPRIM_400000_NS6detail17trampoline_kernelINS0_14default_configENS1_25partition_config_selectorILNS1_17partition_subalgoE8EiNS0_10empty_typeEbEEZZNS1_14partition_implILS5_8ELb0ES3_jPKiPS6_PKS6_NS0_5tupleIJPiS6_EEENSE_IJSB_SB_EEENS0_18inequality_wrapperIN6hipcub16HIPCUB_304000_NS8EqualityEEEPlJS6_EEE10hipError_tPvRmT3_T4_T5_T6_T7_T9_mT8_P12ihipStream_tbDpT10_ENKUlT_T0_E_clISt17integral_constantIbLb0EES16_IbLb1EEEEDaS12_S13_EUlS12_E_NS1_11comp_targetILNS1_3genE5ELNS1_11target_archE942ELNS1_3gpuE9ELNS1_3repE0EEENS1_30default_config_static_selectorELNS0_4arch9wavefront6targetE1EEEvT1_ ; -- Begin function _ZN7rocprim17ROCPRIM_400000_NS6detail17trampoline_kernelINS0_14default_configENS1_25partition_config_selectorILNS1_17partition_subalgoE8EiNS0_10empty_typeEbEEZZNS1_14partition_implILS5_8ELb0ES3_jPKiPS6_PKS6_NS0_5tupleIJPiS6_EEENSE_IJSB_SB_EEENS0_18inequality_wrapperIN6hipcub16HIPCUB_304000_NS8EqualityEEEPlJS6_EEE10hipError_tPvRmT3_T4_T5_T6_T7_T9_mT8_P12ihipStream_tbDpT10_ENKUlT_T0_E_clISt17integral_constantIbLb0EES16_IbLb1EEEEDaS12_S13_EUlS12_E_NS1_11comp_targetILNS1_3genE5ELNS1_11target_archE942ELNS1_3gpuE9ELNS1_3repE0EEENS1_30default_config_static_selectorELNS0_4arch9wavefront6targetE1EEEvT1_
	.globl	_ZN7rocprim17ROCPRIM_400000_NS6detail17trampoline_kernelINS0_14default_configENS1_25partition_config_selectorILNS1_17partition_subalgoE8EiNS0_10empty_typeEbEEZZNS1_14partition_implILS5_8ELb0ES3_jPKiPS6_PKS6_NS0_5tupleIJPiS6_EEENSE_IJSB_SB_EEENS0_18inequality_wrapperIN6hipcub16HIPCUB_304000_NS8EqualityEEEPlJS6_EEE10hipError_tPvRmT3_T4_T5_T6_T7_T9_mT8_P12ihipStream_tbDpT10_ENKUlT_T0_E_clISt17integral_constantIbLb0EES16_IbLb1EEEEDaS12_S13_EUlS12_E_NS1_11comp_targetILNS1_3genE5ELNS1_11target_archE942ELNS1_3gpuE9ELNS1_3repE0EEENS1_30default_config_static_selectorELNS0_4arch9wavefront6targetE1EEEvT1_
	.p2align	8
	.type	_ZN7rocprim17ROCPRIM_400000_NS6detail17trampoline_kernelINS0_14default_configENS1_25partition_config_selectorILNS1_17partition_subalgoE8EiNS0_10empty_typeEbEEZZNS1_14partition_implILS5_8ELb0ES3_jPKiPS6_PKS6_NS0_5tupleIJPiS6_EEENSE_IJSB_SB_EEENS0_18inequality_wrapperIN6hipcub16HIPCUB_304000_NS8EqualityEEEPlJS6_EEE10hipError_tPvRmT3_T4_T5_T6_T7_T9_mT8_P12ihipStream_tbDpT10_ENKUlT_T0_E_clISt17integral_constantIbLb0EES16_IbLb1EEEEDaS12_S13_EUlS12_E_NS1_11comp_targetILNS1_3genE5ELNS1_11target_archE942ELNS1_3gpuE9ELNS1_3repE0EEENS1_30default_config_static_selectorELNS0_4arch9wavefront6targetE1EEEvT1_,@function
_ZN7rocprim17ROCPRIM_400000_NS6detail17trampoline_kernelINS0_14default_configENS1_25partition_config_selectorILNS1_17partition_subalgoE8EiNS0_10empty_typeEbEEZZNS1_14partition_implILS5_8ELb0ES3_jPKiPS6_PKS6_NS0_5tupleIJPiS6_EEENSE_IJSB_SB_EEENS0_18inequality_wrapperIN6hipcub16HIPCUB_304000_NS8EqualityEEEPlJS6_EEE10hipError_tPvRmT3_T4_T5_T6_T7_T9_mT8_P12ihipStream_tbDpT10_ENKUlT_T0_E_clISt17integral_constantIbLb0EES16_IbLb1EEEEDaS12_S13_EUlS12_E_NS1_11comp_targetILNS1_3genE5ELNS1_11target_archE942ELNS1_3gpuE9ELNS1_3repE0EEENS1_30default_config_static_selectorELNS0_4arch9wavefront6targetE1EEEvT1_: ; @_ZN7rocprim17ROCPRIM_400000_NS6detail17trampoline_kernelINS0_14default_configENS1_25partition_config_selectorILNS1_17partition_subalgoE8EiNS0_10empty_typeEbEEZZNS1_14partition_implILS5_8ELb0ES3_jPKiPS6_PKS6_NS0_5tupleIJPiS6_EEENSE_IJSB_SB_EEENS0_18inequality_wrapperIN6hipcub16HIPCUB_304000_NS8EqualityEEEPlJS6_EEE10hipError_tPvRmT3_T4_T5_T6_T7_T9_mT8_P12ihipStream_tbDpT10_ENKUlT_T0_E_clISt17integral_constantIbLb0EES16_IbLb1EEEEDaS12_S13_EUlS12_E_NS1_11comp_targetILNS1_3genE5ELNS1_11target_archE942ELNS1_3gpuE9ELNS1_3repE0EEENS1_30default_config_static_selectorELNS0_4arch9wavefront6targetE1EEEvT1_
; %bb.0:
	.section	.rodata,"a",@progbits
	.p2align	6, 0x0
	.amdhsa_kernel _ZN7rocprim17ROCPRIM_400000_NS6detail17trampoline_kernelINS0_14default_configENS1_25partition_config_selectorILNS1_17partition_subalgoE8EiNS0_10empty_typeEbEEZZNS1_14partition_implILS5_8ELb0ES3_jPKiPS6_PKS6_NS0_5tupleIJPiS6_EEENSE_IJSB_SB_EEENS0_18inequality_wrapperIN6hipcub16HIPCUB_304000_NS8EqualityEEEPlJS6_EEE10hipError_tPvRmT3_T4_T5_T6_T7_T9_mT8_P12ihipStream_tbDpT10_ENKUlT_T0_E_clISt17integral_constantIbLb0EES16_IbLb1EEEEDaS12_S13_EUlS12_E_NS1_11comp_targetILNS1_3genE5ELNS1_11target_archE942ELNS1_3gpuE9ELNS1_3repE0EEENS1_30default_config_static_selectorELNS0_4arch9wavefront6targetE1EEEvT1_
		.amdhsa_group_segment_fixed_size 0
		.amdhsa_private_segment_fixed_size 0
		.amdhsa_kernarg_size 128
		.amdhsa_user_sgpr_count 2
		.amdhsa_user_sgpr_dispatch_ptr 0
		.amdhsa_user_sgpr_queue_ptr 0
		.amdhsa_user_sgpr_kernarg_segment_ptr 1
		.amdhsa_user_sgpr_dispatch_id 0
		.amdhsa_user_sgpr_kernarg_preload_length 0
		.amdhsa_user_sgpr_kernarg_preload_offset 0
		.amdhsa_user_sgpr_private_segment_size 0
		.amdhsa_uses_dynamic_stack 0
		.amdhsa_enable_private_segment 0
		.amdhsa_system_sgpr_workgroup_id_x 1
		.amdhsa_system_sgpr_workgroup_id_y 0
		.amdhsa_system_sgpr_workgroup_id_z 0
		.amdhsa_system_sgpr_workgroup_info 0
		.amdhsa_system_vgpr_workitem_id 0
		.amdhsa_next_free_vgpr 1
		.amdhsa_next_free_sgpr 0
		.amdhsa_accum_offset 4
		.amdhsa_reserve_vcc 0
		.amdhsa_float_round_mode_32 0
		.amdhsa_float_round_mode_16_64 0
		.amdhsa_float_denorm_mode_32 3
		.amdhsa_float_denorm_mode_16_64 3
		.amdhsa_dx10_clamp 1
		.amdhsa_ieee_mode 1
		.amdhsa_fp16_overflow 0
		.amdhsa_tg_split 0
		.amdhsa_exception_fp_ieee_invalid_op 0
		.amdhsa_exception_fp_denorm_src 0
		.amdhsa_exception_fp_ieee_div_zero 0
		.amdhsa_exception_fp_ieee_overflow 0
		.amdhsa_exception_fp_ieee_underflow 0
		.amdhsa_exception_fp_ieee_inexact 0
		.amdhsa_exception_int_div_zero 0
	.end_amdhsa_kernel
	.section	.text._ZN7rocprim17ROCPRIM_400000_NS6detail17trampoline_kernelINS0_14default_configENS1_25partition_config_selectorILNS1_17partition_subalgoE8EiNS0_10empty_typeEbEEZZNS1_14partition_implILS5_8ELb0ES3_jPKiPS6_PKS6_NS0_5tupleIJPiS6_EEENSE_IJSB_SB_EEENS0_18inequality_wrapperIN6hipcub16HIPCUB_304000_NS8EqualityEEEPlJS6_EEE10hipError_tPvRmT3_T4_T5_T6_T7_T9_mT8_P12ihipStream_tbDpT10_ENKUlT_T0_E_clISt17integral_constantIbLb0EES16_IbLb1EEEEDaS12_S13_EUlS12_E_NS1_11comp_targetILNS1_3genE5ELNS1_11target_archE942ELNS1_3gpuE9ELNS1_3repE0EEENS1_30default_config_static_selectorELNS0_4arch9wavefront6targetE1EEEvT1_,"axG",@progbits,_ZN7rocprim17ROCPRIM_400000_NS6detail17trampoline_kernelINS0_14default_configENS1_25partition_config_selectorILNS1_17partition_subalgoE8EiNS0_10empty_typeEbEEZZNS1_14partition_implILS5_8ELb0ES3_jPKiPS6_PKS6_NS0_5tupleIJPiS6_EEENSE_IJSB_SB_EEENS0_18inequality_wrapperIN6hipcub16HIPCUB_304000_NS8EqualityEEEPlJS6_EEE10hipError_tPvRmT3_T4_T5_T6_T7_T9_mT8_P12ihipStream_tbDpT10_ENKUlT_T0_E_clISt17integral_constantIbLb0EES16_IbLb1EEEEDaS12_S13_EUlS12_E_NS1_11comp_targetILNS1_3genE5ELNS1_11target_archE942ELNS1_3gpuE9ELNS1_3repE0EEENS1_30default_config_static_selectorELNS0_4arch9wavefront6targetE1EEEvT1_,comdat
.Lfunc_end214:
	.size	_ZN7rocprim17ROCPRIM_400000_NS6detail17trampoline_kernelINS0_14default_configENS1_25partition_config_selectorILNS1_17partition_subalgoE8EiNS0_10empty_typeEbEEZZNS1_14partition_implILS5_8ELb0ES3_jPKiPS6_PKS6_NS0_5tupleIJPiS6_EEENSE_IJSB_SB_EEENS0_18inequality_wrapperIN6hipcub16HIPCUB_304000_NS8EqualityEEEPlJS6_EEE10hipError_tPvRmT3_T4_T5_T6_T7_T9_mT8_P12ihipStream_tbDpT10_ENKUlT_T0_E_clISt17integral_constantIbLb0EES16_IbLb1EEEEDaS12_S13_EUlS12_E_NS1_11comp_targetILNS1_3genE5ELNS1_11target_archE942ELNS1_3gpuE9ELNS1_3repE0EEENS1_30default_config_static_selectorELNS0_4arch9wavefront6targetE1EEEvT1_, .Lfunc_end214-_ZN7rocprim17ROCPRIM_400000_NS6detail17trampoline_kernelINS0_14default_configENS1_25partition_config_selectorILNS1_17partition_subalgoE8EiNS0_10empty_typeEbEEZZNS1_14partition_implILS5_8ELb0ES3_jPKiPS6_PKS6_NS0_5tupleIJPiS6_EEENSE_IJSB_SB_EEENS0_18inequality_wrapperIN6hipcub16HIPCUB_304000_NS8EqualityEEEPlJS6_EEE10hipError_tPvRmT3_T4_T5_T6_T7_T9_mT8_P12ihipStream_tbDpT10_ENKUlT_T0_E_clISt17integral_constantIbLb0EES16_IbLb1EEEEDaS12_S13_EUlS12_E_NS1_11comp_targetILNS1_3genE5ELNS1_11target_archE942ELNS1_3gpuE9ELNS1_3repE0EEENS1_30default_config_static_selectorELNS0_4arch9wavefront6targetE1EEEvT1_
                                        ; -- End function
	.set _ZN7rocprim17ROCPRIM_400000_NS6detail17trampoline_kernelINS0_14default_configENS1_25partition_config_selectorILNS1_17partition_subalgoE8EiNS0_10empty_typeEbEEZZNS1_14partition_implILS5_8ELb0ES3_jPKiPS6_PKS6_NS0_5tupleIJPiS6_EEENSE_IJSB_SB_EEENS0_18inequality_wrapperIN6hipcub16HIPCUB_304000_NS8EqualityEEEPlJS6_EEE10hipError_tPvRmT3_T4_T5_T6_T7_T9_mT8_P12ihipStream_tbDpT10_ENKUlT_T0_E_clISt17integral_constantIbLb0EES16_IbLb1EEEEDaS12_S13_EUlS12_E_NS1_11comp_targetILNS1_3genE5ELNS1_11target_archE942ELNS1_3gpuE9ELNS1_3repE0EEENS1_30default_config_static_selectorELNS0_4arch9wavefront6targetE1EEEvT1_.num_vgpr, 0
	.set _ZN7rocprim17ROCPRIM_400000_NS6detail17trampoline_kernelINS0_14default_configENS1_25partition_config_selectorILNS1_17partition_subalgoE8EiNS0_10empty_typeEbEEZZNS1_14partition_implILS5_8ELb0ES3_jPKiPS6_PKS6_NS0_5tupleIJPiS6_EEENSE_IJSB_SB_EEENS0_18inequality_wrapperIN6hipcub16HIPCUB_304000_NS8EqualityEEEPlJS6_EEE10hipError_tPvRmT3_T4_T5_T6_T7_T9_mT8_P12ihipStream_tbDpT10_ENKUlT_T0_E_clISt17integral_constantIbLb0EES16_IbLb1EEEEDaS12_S13_EUlS12_E_NS1_11comp_targetILNS1_3genE5ELNS1_11target_archE942ELNS1_3gpuE9ELNS1_3repE0EEENS1_30default_config_static_selectorELNS0_4arch9wavefront6targetE1EEEvT1_.num_agpr, 0
	.set _ZN7rocprim17ROCPRIM_400000_NS6detail17trampoline_kernelINS0_14default_configENS1_25partition_config_selectorILNS1_17partition_subalgoE8EiNS0_10empty_typeEbEEZZNS1_14partition_implILS5_8ELb0ES3_jPKiPS6_PKS6_NS0_5tupleIJPiS6_EEENSE_IJSB_SB_EEENS0_18inequality_wrapperIN6hipcub16HIPCUB_304000_NS8EqualityEEEPlJS6_EEE10hipError_tPvRmT3_T4_T5_T6_T7_T9_mT8_P12ihipStream_tbDpT10_ENKUlT_T0_E_clISt17integral_constantIbLb0EES16_IbLb1EEEEDaS12_S13_EUlS12_E_NS1_11comp_targetILNS1_3genE5ELNS1_11target_archE942ELNS1_3gpuE9ELNS1_3repE0EEENS1_30default_config_static_selectorELNS0_4arch9wavefront6targetE1EEEvT1_.numbered_sgpr, 0
	.set _ZN7rocprim17ROCPRIM_400000_NS6detail17trampoline_kernelINS0_14default_configENS1_25partition_config_selectorILNS1_17partition_subalgoE8EiNS0_10empty_typeEbEEZZNS1_14partition_implILS5_8ELb0ES3_jPKiPS6_PKS6_NS0_5tupleIJPiS6_EEENSE_IJSB_SB_EEENS0_18inequality_wrapperIN6hipcub16HIPCUB_304000_NS8EqualityEEEPlJS6_EEE10hipError_tPvRmT3_T4_T5_T6_T7_T9_mT8_P12ihipStream_tbDpT10_ENKUlT_T0_E_clISt17integral_constantIbLb0EES16_IbLb1EEEEDaS12_S13_EUlS12_E_NS1_11comp_targetILNS1_3genE5ELNS1_11target_archE942ELNS1_3gpuE9ELNS1_3repE0EEENS1_30default_config_static_selectorELNS0_4arch9wavefront6targetE1EEEvT1_.num_named_barrier, 0
	.set _ZN7rocprim17ROCPRIM_400000_NS6detail17trampoline_kernelINS0_14default_configENS1_25partition_config_selectorILNS1_17partition_subalgoE8EiNS0_10empty_typeEbEEZZNS1_14partition_implILS5_8ELb0ES3_jPKiPS6_PKS6_NS0_5tupleIJPiS6_EEENSE_IJSB_SB_EEENS0_18inequality_wrapperIN6hipcub16HIPCUB_304000_NS8EqualityEEEPlJS6_EEE10hipError_tPvRmT3_T4_T5_T6_T7_T9_mT8_P12ihipStream_tbDpT10_ENKUlT_T0_E_clISt17integral_constantIbLb0EES16_IbLb1EEEEDaS12_S13_EUlS12_E_NS1_11comp_targetILNS1_3genE5ELNS1_11target_archE942ELNS1_3gpuE9ELNS1_3repE0EEENS1_30default_config_static_selectorELNS0_4arch9wavefront6targetE1EEEvT1_.private_seg_size, 0
	.set _ZN7rocprim17ROCPRIM_400000_NS6detail17trampoline_kernelINS0_14default_configENS1_25partition_config_selectorILNS1_17partition_subalgoE8EiNS0_10empty_typeEbEEZZNS1_14partition_implILS5_8ELb0ES3_jPKiPS6_PKS6_NS0_5tupleIJPiS6_EEENSE_IJSB_SB_EEENS0_18inequality_wrapperIN6hipcub16HIPCUB_304000_NS8EqualityEEEPlJS6_EEE10hipError_tPvRmT3_T4_T5_T6_T7_T9_mT8_P12ihipStream_tbDpT10_ENKUlT_T0_E_clISt17integral_constantIbLb0EES16_IbLb1EEEEDaS12_S13_EUlS12_E_NS1_11comp_targetILNS1_3genE5ELNS1_11target_archE942ELNS1_3gpuE9ELNS1_3repE0EEENS1_30default_config_static_selectorELNS0_4arch9wavefront6targetE1EEEvT1_.uses_vcc, 0
	.set _ZN7rocprim17ROCPRIM_400000_NS6detail17trampoline_kernelINS0_14default_configENS1_25partition_config_selectorILNS1_17partition_subalgoE8EiNS0_10empty_typeEbEEZZNS1_14partition_implILS5_8ELb0ES3_jPKiPS6_PKS6_NS0_5tupleIJPiS6_EEENSE_IJSB_SB_EEENS0_18inequality_wrapperIN6hipcub16HIPCUB_304000_NS8EqualityEEEPlJS6_EEE10hipError_tPvRmT3_T4_T5_T6_T7_T9_mT8_P12ihipStream_tbDpT10_ENKUlT_T0_E_clISt17integral_constantIbLb0EES16_IbLb1EEEEDaS12_S13_EUlS12_E_NS1_11comp_targetILNS1_3genE5ELNS1_11target_archE942ELNS1_3gpuE9ELNS1_3repE0EEENS1_30default_config_static_selectorELNS0_4arch9wavefront6targetE1EEEvT1_.uses_flat_scratch, 0
	.set _ZN7rocprim17ROCPRIM_400000_NS6detail17trampoline_kernelINS0_14default_configENS1_25partition_config_selectorILNS1_17partition_subalgoE8EiNS0_10empty_typeEbEEZZNS1_14partition_implILS5_8ELb0ES3_jPKiPS6_PKS6_NS0_5tupleIJPiS6_EEENSE_IJSB_SB_EEENS0_18inequality_wrapperIN6hipcub16HIPCUB_304000_NS8EqualityEEEPlJS6_EEE10hipError_tPvRmT3_T4_T5_T6_T7_T9_mT8_P12ihipStream_tbDpT10_ENKUlT_T0_E_clISt17integral_constantIbLb0EES16_IbLb1EEEEDaS12_S13_EUlS12_E_NS1_11comp_targetILNS1_3genE5ELNS1_11target_archE942ELNS1_3gpuE9ELNS1_3repE0EEENS1_30default_config_static_selectorELNS0_4arch9wavefront6targetE1EEEvT1_.has_dyn_sized_stack, 0
	.set _ZN7rocprim17ROCPRIM_400000_NS6detail17trampoline_kernelINS0_14default_configENS1_25partition_config_selectorILNS1_17partition_subalgoE8EiNS0_10empty_typeEbEEZZNS1_14partition_implILS5_8ELb0ES3_jPKiPS6_PKS6_NS0_5tupleIJPiS6_EEENSE_IJSB_SB_EEENS0_18inequality_wrapperIN6hipcub16HIPCUB_304000_NS8EqualityEEEPlJS6_EEE10hipError_tPvRmT3_T4_T5_T6_T7_T9_mT8_P12ihipStream_tbDpT10_ENKUlT_T0_E_clISt17integral_constantIbLb0EES16_IbLb1EEEEDaS12_S13_EUlS12_E_NS1_11comp_targetILNS1_3genE5ELNS1_11target_archE942ELNS1_3gpuE9ELNS1_3repE0EEENS1_30default_config_static_selectorELNS0_4arch9wavefront6targetE1EEEvT1_.has_recursion, 0
	.set _ZN7rocprim17ROCPRIM_400000_NS6detail17trampoline_kernelINS0_14default_configENS1_25partition_config_selectorILNS1_17partition_subalgoE8EiNS0_10empty_typeEbEEZZNS1_14partition_implILS5_8ELb0ES3_jPKiPS6_PKS6_NS0_5tupleIJPiS6_EEENSE_IJSB_SB_EEENS0_18inequality_wrapperIN6hipcub16HIPCUB_304000_NS8EqualityEEEPlJS6_EEE10hipError_tPvRmT3_T4_T5_T6_T7_T9_mT8_P12ihipStream_tbDpT10_ENKUlT_T0_E_clISt17integral_constantIbLb0EES16_IbLb1EEEEDaS12_S13_EUlS12_E_NS1_11comp_targetILNS1_3genE5ELNS1_11target_archE942ELNS1_3gpuE9ELNS1_3repE0EEENS1_30default_config_static_selectorELNS0_4arch9wavefront6targetE1EEEvT1_.has_indirect_call, 0
	.section	.AMDGPU.csdata,"",@progbits
; Kernel info:
; codeLenInByte = 0
; TotalNumSgprs: 6
; NumVgprs: 0
; NumAgprs: 0
; TotalNumVgprs: 0
; ScratchSize: 0
; MemoryBound: 0
; FloatMode: 240
; IeeeMode: 1
; LDSByteSize: 0 bytes/workgroup (compile time only)
; SGPRBlocks: 0
; VGPRBlocks: 0
; NumSGPRsForWavesPerEU: 6
; NumVGPRsForWavesPerEU: 1
; AccumOffset: 4
; Occupancy: 8
; WaveLimiterHint : 0
; COMPUTE_PGM_RSRC2:SCRATCH_EN: 0
; COMPUTE_PGM_RSRC2:USER_SGPR: 2
; COMPUTE_PGM_RSRC2:TRAP_HANDLER: 0
; COMPUTE_PGM_RSRC2:TGID_X_EN: 1
; COMPUTE_PGM_RSRC2:TGID_Y_EN: 0
; COMPUTE_PGM_RSRC2:TGID_Z_EN: 0
; COMPUTE_PGM_RSRC2:TIDIG_COMP_CNT: 0
; COMPUTE_PGM_RSRC3_GFX90A:ACCUM_OFFSET: 0
; COMPUTE_PGM_RSRC3_GFX90A:TG_SPLIT: 0
	.section	.text._ZN7rocprim17ROCPRIM_400000_NS6detail17trampoline_kernelINS0_14default_configENS1_25partition_config_selectorILNS1_17partition_subalgoE8EiNS0_10empty_typeEbEEZZNS1_14partition_implILS5_8ELb0ES3_jPKiPS6_PKS6_NS0_5tupleIJPiS6_EEENSE_IJSB_SB_EEENS0_18inequality_wrapperIN6hipcub16HIPCUB_304000_NS8EqualityEEEPlJS6_EEE10hipError_tPvRmT3_T4_T5_T6_T7_T9_mT8_P12ihipStream_tbDpT10_ENKUlT_T0_E_clISt17integral_constantIbLb0EES16_IbLb1EEEEDaS12_S13_EUlS12_E_NS1_11comp_targetILNS1_3genE4ELNS1_11target_archE910ELNS1_3gpuE8ELNS1_3repE0EEENS1_30default_config_static_selectorELNS0_4arch9wavefront6targetE1EEEvT1_,"axG",@progbits,_ZN7rocprim17ROCPRIM_400000_NS6detail17trampoline_kernelINS0_14default_configENS1_25partition_config_selectorILNS1_17partition_subalgoE8EiNS0_10empty_typeEbEEZZNS1_14partition_implILS5_8ELb0ES3_jPKiPS6_PKS6_NS0_5tupleIJPiS6_EEENSE_IJSB_SB_EEENS0_18inequality_wrapperIN6hipcub16HIPCUB_304000_NS8EqualityEEEPlJS6_EEE10hipError_tPvRmT3_T4_T5_T6_T7_T9_mT8_P12ihipStream_tbDpT10_ENKUlT_T0_E_clISt17integral_constantIbLb0EES16_IbLb1EEEEDaS12_S13_EUlS12_E_NS1_11comp_targetILNS1_3genE4ELNS1_11target_archE910ELNS1_3gpuE8ELNS1_3repE0EEENS1_30default_config_static_selectorELNS0_4arch9wavefront6targetE1EEEvT1_,comdat
	.protected	_ZN7rocprim17ROCPRIM_400000_NS6detail17trampoline_kernelINS0_14default_configENS1_25partition_config_selectorILNS1_17partition_subalgoE8EiNS0_10empty_typeEbEEZZNS1_14partition_implILS5_8ELb0ES3_jPKiPS6_PKS6_NS0_5tupleIJPiS6_EEENSE_IJSB_SB_EEENS0_18inequality_wrapperIN6hipcub16HIPCUB_304000_NS8EqualityEEEPlJS6_EEE10hipError_tPvRmT3_T4_T5_T6_T7_T9_mT8_P12ihipStream_tbDpT10_ENKUlT_T0_E_clISt17integral_constantIbLb0EES16_IbLb1EEEEDaS12_S13_EUlS12_E_NS1_11comp_targetILNS1_3genE4ELNS1_11target_archE910ELNS1_3gpuE8ELNS1_3repE0EEENS1_30default_config_static_selectorELNS0_4arch9wavefront6targetE1EEEvT1_ ; -- Begin function _ZN7rocprim17ROCPRIM_400000_NS6detail17trampoline_kernelINS0_14default_configENS1_25partition_config_selectorILNS1_17partition_subalgoE8EiNS0_10empty_typeEbEEZZNS1_14partition_implILS5_8ELb0ES3_jPKiPS6_PKS6_NS0_5tupleIJPiS6_EEENSE_IJSB_SB_EEENS0_18inequality_wrapperIN6hipcub16HIPCUB_304000_NS8EqualityEEEPlJS6_EEE10hipError_tPvRmT3_T4_T5_T6_T7_T9_mT8_P12ihipStream_tbDpT10_ENKUlT_T0_E_clISt17integral_constantIbLb0EES16_IbLb1EEEEDaS12_S13_EUlS12_E_NS1_11comp_targetILNS1_3genE4ELNS1_11target_archE910ELNS1_3gpuE8ELNS1_3repE0EEENS1_30default_config_static_selectorELNS0_4arch9wavefront6targetE1EEEvT1_
	.globl	_ZN7rocprim17ROCPRIM_400000_NS6detail17trampoline_kernelINS0_14default_configENS1_25partition_config_selectorILNS1_17partition_subalgoE8EiNS0_10empty_typeEbEEZZNS1_14partition_implILS5_8ELb0ES3_jPKiPS6_PKS6_NS0_5tupleIJPiS6_EEENSE_IJSB_SB_EEENS0_18inequality_wrapperIN6hipcub16HIPCUB_304000_NS8EqualityEEEPlJS6_EEE10hipError_tPvRmT3_T4_T5_T6_T7_T9_mT8_P12ihipStream_tbDpT10_ENKUlT_T0_E_clISt17integral_constantIbLb0EES16_IbLb1EEEEDaS12_S13_EUlS12_E_NS1_11comp_targetILNS1_3genE4ELNS1_11target_archE910ELNS1_3gpuE8ELNS1_3repE0EEENS1_30default_config_static_selectorELNS0_4arch9wavefront6targetE1EEEvT1_
	.p2align	8
	.type	_ZN7rocprim17ROCPRIM_400000_NS6detail17trampoline_kernelINS0_14default_configENS1_25partition_config_selectorILNS1_17partition_subalgoE8EiNS0_10empty_typeEbEEZZNS1_14partition_implILS5_8ELb0ES3_jPKiPS6_PKS6_NS0_5tupleIJPiS6_EEENSE_IJSB_SB_EEENS0_18inequality_wrapperIN6hipcub16HIPCUB_304000_NS8EqualityEEEPlJS6_EEE10hipError_tPvRmT3_T4_T5_T6_T7_T9_mT8_P12ihipStream_tbDpT10_ENKUlT_T0_E_clISt17integral_constantIbLb0EES16_IbLb1EEEEDaS12_S13_EUlS12_E_NS1_11comp_targetILNS1_3genE4ELNS1_11target_archE910ELNS1_3gpuE8ELNS1_3repE0EEENS1_30default_config_static_selectorELNS0_4arch9wavefront6targetE1EEEvT1_,@function
_ZN7rocprim17ROCPRIM_400000_NS6detail17trampoline_kernelINS0_14default_configENS1_25partition_config_selectorILNS1_17partition_subalgoE8EiNS0_10empty_typeEbEEZZNS1_14partition_implILS5_8ELb0ES3_jPKiPS6_PKS6_NS0_5tupleIJPiS6_EEENSE_IJSB_SB_EEENS0_18inequality_wrapperIN6hipcub16HIPCUB_304000_NS8EqualityEEEPlJS6_EEE10hipError_tPvRmT3_T4_T5_T6_T7_T9_mT8_P12ihipStream_tbDpT10_ENKUlT_T0_E_clISt17integral_constantIbLb0EES16_IbLb1EEEEDaS12_S13_EUlS12_E_NS1_11comp_targetILNS1_3genE4ELNS1_11target_archE910ELNS1_3gpuE8ELNS1_3repE0EEENS1_30default_config_static_selectorELNS0_4arch9wavefront6targetE1EEEvT1_: ; @_ZN7rocprim17ROCPRIM_400000_NS6detail17trampoline_kernelINS0_14default_configENS1_25partition_config_selectorILNS1_17partition_subalgoE8EiNS0_10empty_typeEbEEZZNS1_14partition_implILS5_8ELb0ES3_jPKiPS6_PKS6_NS0_5tupleIJPiS6_EEENSE_IJSB_SB_EEENS0_18inequality_wrapperIN6hipcub16HIPCUB_304000_NS8EqualityEEEPlJS6_EEE10hipError_tPvRmT3_T4_T5_T6_T7_T9_mT8_P12ihipStream_tbDpT10_ENKUlT_T0_E_clISt17integral_constantIbLb0EES16_IbLb1EEEEDaS12_S13_EUlS12_E_NS1_11comp_targetILNS1_3genE4ELNS1_11target_archE910ELNS1_3gpuE8ELNS1_3repE0EEENS1_30default_config_static_selectorELNS0_4arch9wavefront6targetE1EEEvT1_
; %bb.0:
	.section	.rodata,"a",@progbits
	.p2align	6, 0x0
	.amdhsa_kernel _ZN7rocprim17ROCPRIM_400000_NS6detail17trampoline_kernelINS0_14default_configENS1_25partition_config_selectorILNS1_17partition_subalgoE8EiNS0_10empty_typeEbEEZZNS1_14partition_implILS5_8ELb0ES3_jPKiPS6_PKS6_NS0_5tupleIJPiS6_EEENSE_IJSB_SB_EEENS0_18inequality_wrapperIN6hipcub16HIPCUB_304000_NS8EqualityEEEPlJS6_EEE10hipError_tPvRmT3_T4_T5_T6_T7_T9_mT8_P12ihipStream_tbDpT10_ENKUlT_T0_E_clISt17integral_constantIbLb0EES16_IbLb1EEEEDaS12_S13_EUlS12_E_NS1_11comp_targetILNS1_3genE4ELNS1_11target_archE910ELNS1_3gpuE8ELNS1_3repE0EEENS1_30default_config_static_selectorELNS0_4arch9wavefront6targetE1EEEvT1_
		.amdhsa_group_segment_fixed_size 0
		.amdhsa_private_segment_fixed_size 0
		.amdhsa_kernarg_size 128
		.amdhsa_user_sgpr_count 2
		.amdhsa_user_sgpr_dispatch_ptr 0
		.amdhsa_user_sgpr_queue_ptr 0
		.amdhsa_user_sgpr_kernarg_segment_ptr 1
		.amdhsa_user_sgpr_dispatch_id 0
		.amdhsa_user_sgpr_kernarg_preload_length 0
		.amdhsa_user_sgpr_kernarg_preload_offset 0
		.amdhsa_user_sgpr_private_segment_size 0
		.amdhsa_uses_dynamic_stack 0
		.amdhsa_enable_private_segment 0
		.amdhsa_system_sgpr_workgroup_id_x 1
		.amdhsa_system_sgpr_workgroup_id_y 0
		.amdhsa_system_sgpr_workgroup_id_z 0
		.amdhsa_system_sgpr_workgroup_info 0
		.amdhsa_system_vgpr_workitem_id 0
		.amdhsa_next_free_vgpr 1
		.amdhsa_next_free_sgpr 0
		.amdhsa_accum_offset 4
		.amdhsa_reserve_vcc 0
		.amdhsa_float_round_mode_32 0
		.amdhsa_float_round_mode_16_64 0
		.amdhsa_float_denorm_mode_32 3
		.amdhsa_float_denorm_mode_16_64 3
		.amdhsa_dx10_clamp 1
		.amdhsa_ieee_mode 1
		.amdhsa_fp16_overflow 0
		.amdhsa_tg_split 0
		.amdhsa_exception_fp_ieee_invalid_op 0
		.amdhsa_exception_fp_denorm_src 0
		.amdhsa_exception_fp_ieee_div_zero 0
		.amdhsa_exception_fp_ieee_overflow 0
		.amdhsa_exception_fp_ieee_underflow 0
		.amdhsa_exception_fp_ieee_inexact 0
		.amdhsa_exception_int_div_zero 0
	.end_amdhsa_kernel
	.section	.text._ZN7rocprim17ROCPRIM_400000_NS6detail17trampoline_kernelINS0_14default_configENS1_25partition_config_selectorILNS1_17partition_subalgoE8EiNS0_10empty_typeEbEEZZNS1_14partition_implILS5_8ELb0ES3_jPKiPS6_PKS6_NS0_5tupleIJPiS6_EEENSE_IJSB_SB_EEENS0_18inequality_wrapperIN6hipcub16HIPCUB_304000_NS8EqualityEEEPlJS6_EEE10hipError_tPvRmT3_T4_T5_T6_T7_T9_mT8_P12ihipStream_tbDpT10_ENKUlT_T0_E_clISt17integral_constantIbLb0EES16_IbLb1EEEEDaS12_S13_EUlS12_E_NS1_11comp_targetILNS1_3genE4ELNS1_11target_archE910ELNS1_3gpuE8ELNS1_3repE0EEENS1_30default_config_static_selectorELNS0_4arch9wavefront6targetE1EEEvT1_,"axG",@progbits,_ZN7rocprim17ROCPRIM_400000_NS6detail17trampoline_kernelINS0_14default_configENS1_25partition_config_selectorILNS1_17partition_subalgoE8EiNS0_10empty_typeEbEEZZNS1_14partition_implILS5_8ELb0ES3_jPKiPS6_PKS6_NS0_5tupleIJPiS6_EEENSE_IJSB_SB_EEENS0_18inequality_wrapperIN6hipcub16HIPCUB_304000_NS8EqualityEEEPlJS6_EEE10hipError_tPvRmT3_T4_T5_T6_T7_T9_mT8_P12ihipStream_tbDpT10_ENKUlT_T0_E_clISt17integral_constantIbLb0EES16_IbLb1EEEEDaS12_S13_EUlS12_E_NS1_11comp_targetILNS1_3genE4ELNS1_11target_archE910ELNS1_3gpuE8ELNS1_3repE0EEENS1_30default_config_static_selectorELNS0_4arch9wavefront6targetE1EEEvT1_,comdat
.Lfunc_end215:
	.size	_ZN7rocprim17ROCPRIM_400000_NS6detail17trampoline_kernelINS0_14default_configENS1_25partition_config_selectorILNS1_17partition_subalgoE8EiNS0_10empty_typeEbEEZZNS1_14partition_implILS5_8ELb0ES3_jPKiPS6_PKS6_NS0_5tupleIJPiS6_EEENSE_IJSB_SB_EEENS0_18inequality_wrapperIN6hipcub16HIPCUB_304000_NS8EqualityEEEPlJS6_EEE10hipError_tPvRmT3_T4_T5_T6_T7_T9_mT8_P12ihipStream_tbDpT10_ENKUlT_T0_E_clISt17integral_constantIbLb0EES16_IbLb1EEEEDaS12_S13_EUlS12_E_NS1_11comp_targetILNS1_3genE4ELNS1_11target_archE910ELNS1_3gpuE8ELNS1_3repE0EEENS1_30default_config_static_selectorELNS0_4arch9wavefront6targetE1EEEvT1_, .Lfunc_end215-_ZN7rocprim17ROCPRIM_400000_NS6detail17trampoline_kernelINS0_14default_configENS1_25partition_config_selectorILNS1_17partition_subalgoE8EiNS0_10empty_typeEbEEZZNS1_14partition_implILS5_8ELb0ES3_jPKiPS6_PKS6_NS0_5tupleIJPiS6_EEENSE_IJSB_SB_EEENS0_18inequality_wrapperIN6hipcub16HIPCUB_304000_NS8EqualityEEEPlJS6_EEE10hipError_tPvRmT3_T4_T5_T6_T7_T9_mT8_P12ihipStream_tbDpT10_ENKUlT_T0_E_clISt17integral_constantIbLb0EES16_IbLb1EEEEDaS12_S13_EUlS12_E_NS1_11comp_targetILNS1_3genE4ELNS1_11target_archE910ELNS1_3gpuE8ELNS1_3repE0EEENS1_30default_config_static_selectorELNS0_4arch9wavefront6targetE1EEEvT1_
                                        ; -- End function
	.set _ZN7rocprim17ROCPRIM_400000_NS6detail17trampoline_kernelINS0_14default_configENS1_25partition_config_selectorILNS1_17partition_subalgoE8EiNS0_10empty_typeEbEEZZNS1_14partition_implILS5_8ELb0ES3_jPKiPS6_PKS6_NS0_5tupleIJPiS6_EEENSE_IJSB_SB_EEENS0_18inequality_wrapperIN6hipcub16HIPCUB_304000_NS8EqualityEEEPlJS6_EEE10hipError_tPvRmT3_T4_T5_T6_T7_T9_mT8_P12ihipStream_tbDpT10_ENKUlT_T0_E_clISt17integral_constantIbLb0EES16_IbLb1EEEEDaS12_S13_EUlS12_E_NS1_11comp_targetILNS1_3genE4ELNS1_11target_archE910ELNS1_3gpuE8ELNS1_3repE0EEENS1_30default_config_static_selectorELNS0_4arch9wavefront6targetE1EEEvT1_.num_vgpr, 0
	.set _ZN7rocprim17ROCPRIM_400000_NS6detail17trampoline_kernelINS0_14default_configENS1_25partition_config_selectorILNS1_17partition_subalgoE8EiNS0_10empty_typeEbEEZZNS1_14partition_implILS5_8ELb0ES3_jPKiPS6_PKS6_NS0_5tupleIJPiS6_EEENSE_IJSB_SB_EEENS0_18inequality_wrapperIN6hipcub16HIPCUB_304000_NS8EqualityEEEPlJS6_EEE10hipError_tPvRmT3_T4_T5_T6_T7_T9_mT8_P12ihipStream_tbDpT10_ENKUlT_T0_E_clISt17integral_constantIbLb0EES16_IbLb1EEEEDaS12_S13_EUlS12_E_NS1_11comp_targetILNS1_3genE4ELNS1_11target_archE910ELNS1_3gpuE8ELNS1_3repE0EEENS1_30default_config_static_selectorELNS0_4arch9wavefront6targetE1EEEvT1_.num_agpr, 0
	.set _ZN7rocprim17ROCPRIM_400000_NS6detail17trampoline_kernelINS0_14default_configENS1_25partition_config_selectorILNS1_17partition_subalgoE8EiNS0_10empty_typeEbEEZZNS1_14partition_implILS5_8ELb0ES3_jPKiPS6_PKS6_NS0_5tupleIJPiS6_EEENSE_IJSB_SB_EEENS0_18inequality_wrapperIN6hipcub16HIPCUB_304000_NS8EqualityEEEPlJS6_EEE10hipError_tPvRmT3_T4_T5_T6_T7_T9_mT8_P12ihipStream_tbDpT10_ENKUlT_T0_E_clISt17integral_constantIbLb0EES16_IbLb1EEEEDaS12_S13_EUlS12_E_NS1_11comp_targetILNS1_3genE4ELNS1_11target_archE910ELNS1_3gpuE8ELNS1_3repE0EEENS1_30default_config_static_selectorELNS0_4arch9wavefront6targetE1EEEvT1_.numbered_sgpr, 0
	.set _ZN7rocprim17ROCPRIM_400000_NS6detail17trampoline_kernelINS0_14default_configENS1_25partition_config_selectorILNS1_17partition_subalgoE8EiNS0_10empty_typeEbEEZZNS1_14partition_implILS5_8ELb0ES3_jPKiPS6_PKS6_NS0_5tupleIJPiS6_EEENSE_IJSB_SB_EEENS0_18inequality_wrapperIN6hipcub16HIPCUB_304000_NS8EqualityEEEPlJS6_EEE10hipError_tPvRmT3_T4_T5_T6_T7_T9_mT8_P12ihipStream_tbDpT10_ENKUlT_T0_E_clISt17integral_constantIbLb0EES16_IbLb1EEEEDaS12_S13_EUlS12_E_NS1_11comp_targetILNS1_3genE4ELNS1_11target_archE910ELNS1_3gpuE8ELNS1_3repE0EEENS1_30default_config_static_selectorELNS0_4arch9wavefront6targetE1EEEvT1_.num_named_barrier, 0
	.set _ZN7rocprim17ROCPRIM_400000_NS6detail17trampoline_kernelINS0_14default_configENS1_25partition_config_selectorILNS1_17partition_subalgoE8EiNS0_10empty_typeEbEEZZNS1_14partition_implILS5_8ELb0ES3_jPKiPS6_PKS6_NS0_5tupleIJPiS6_EEENSE_IJSB_SB_EEENS0_18inequality_wrapperIN6hipcub16HIPCUB_304000_NS8EqualityEEEPlJS6_EEE10hipError_tPvRmT3_T4_T5_T6_T7_T9_mT8_P12ihipStream_tbDpT10_ENKUlT_T0_E_clISt17integral_constantIbLb0EES16_IbLb1EEEEDaS12_S13_EUlS12_E_NS1_11comp_targetILNS1_3genE4ELNS1_11target_archE910ELNS1_3gpuE8ELNS1_3repE0EEENS1_30default_config_static_selectorELNS0_4arch9wavefront6targetE1EEEvT1_.private_seg_size, 0
	.set _ZN7rocprim17ROCPRIM_400000_NS6detail17trampoline_kernelINS0_14default_configENS1_25partition_config_selectorILNS1_17partition_subalgoE8EiNS0_10empty_typeEbEEZZNS1_14partition_implILS5_8ELb0ES3_jPKiPS6_PKS6_NS0_5tupleIJPiS6_EEENSE_IJSB_SB_EEENS0_18inequality_wrapperIN6hipcub16HIPCUB_304000_NS8EqualityEEEPlJS6_EEE10hipError_tPvRmT3_T4_T5_T6_T7_T9_mT8_P12ihipStream_tbDpT10_ENKUlT_T0_E_clISt17integral_constantIbLb0EES16_IbLb1EEEEDaS12_S13_EUlS12_E_NS1_11comp_targetILNS1_3genE4ELNS1_11target_archE910ELNS1_3gpuE8ELNS1_3repE0EEENS1_30default_config_static_selectorELNS0_4arch9wavefront6targetE1EEEvT1_.uses_vcc, 0
	.set _ZN7rocprim17ROCPRIM_400000_NS6detail17trampoline_kernelINS0_14default_configENS1_25partition_config_selectorILNS1_17partition_subalgoE8EiNS0_10empty_typeEbEEZZNS1_14partition_implILS5_8ELb0ES3_jPKiPS6_PKS6_NS0_5tupleIJPiS6_EEENSE_IJSB_SB_EEENS0_18inequality_wrapperIN6hipcub16HIPCUB_304000_NS8EqualityEEEPlJS6_EEE10hipError_tPvRmT3_T4_T5_T6_T7_T9_mT8_P12ihipStream_tbDpT10_ENKUlT_T0_E_clISt17integral_constantIbLb0EES16_IbLb1EEEEDaS12_S13_EUlS12_E_NS1_11comp_targetILNS1_3genE4ELNS1_11target_archE910ELNS1_3gpuE8ELNS1_3repE0EEENS1_30default_config_static_selectorELNS0_4arch9wavefront6targetE1EEEvT1_.uses_flat_scratch, 0
	.set _ZN7rocprim17ROCPRIM_400000_NS6detail17trampoline_kernelINS0_14default_configENS1_25partition_config_selectorILNS1_17partition_subalgoE8EiNS0_10empty_typeEbEEZZNS1_14partition_implILS5_8ELb0ES3_jPKiPS6_PKS6_NS0_5tupleIJPiS6_EEENSE_IJSB_SB_EEENS0_18inequality_wrapperIN6hipcub16HIPCUB_304000_NS8EqualityEEEPlJS6_EEE10hipError_tPvRmT3_T4_T5_T6_T7_T9_mT8_P12ihipStream_tbDpT10_ENKUlT_T0_E_clISt17integral_constantIbLb0EES16_IbLb1EEEEDaS12_S13_EUlS12_E_NS1_11comp_targetILNS1_3genE4ELNS1_11target_archE910ELNS1_3gpuE8ELNS1_3repE0EEENS1_30default_config_static_selectorELNS0_4arch9wavefront6targetE1EEEvT1_.has_dyn_sized_stack, 0
	.set _ZN7rocprim17ROCPRIM_400000_NS6detail17trampoline_kernelINS0_14default_configENS1_25partition_config_selectorILNS1_17partition_subalgoE8EiNS0_10empty_typeEbEEZZNS1_14partition_implILS5_8ELb0ES3_jPKiPS6_PKS6_NS0_5tupleIJPiS6_EEENSE_IJSB_SB_EEENS0_18inequality_wrapperIN6hipcub16HIPCUB_304000_NS8EqualityEEEPlJS6_EEE10hipError_tPvRmT3_T4_T5_T6_T7_T9_mT8_P12ihipStream_tbDpT10_ENKUlT_T0_E_clISt17integral_constantIbLb0EES16_IbLb1EEEEDaS12_S13_EUlS12_E_NS1_11comp_targetILNS1_3genE4ELNS1_11target_archE910ELNS1_3gpuE8ELNS1_3repE0EEENS1_30default_config_static_selectorELNS0_4arch9wavefront6targetE1EEEvT1_.has_recursion, 0
	.set _ZN7rocprim17ROCPRIM_400000_NS6detail17trampoline_kernelINS0_14default_configENS1_25partition_config_selectorILNS1_17partition_subalgoE8EiNS0_10empty_typeEbEEZZNS1_14partition_implILS5_8ELb0ES3_jPKiPS6_PKS6_NS0_5tupleIJPiS6_EEENSE_IJSB_SB_EEENS0_18inequality_wrapperIN6hipcub16HIPCUB_304000_NS8EqualityEEEPlJS6_EEE10hipError_tPvRmT3_T4_T5_T6_T7_T9_mT8_P12ihipStream_tbDpT10_ENKUlT_T0_E_clISt17integral_constantIbLb0EES16_IbLb1EEEEDaS12_S13_EUlS12_E_NS1_11comp_targetILNS1_3genE4ELNS1_11target_archE910ELNS1_3gpuE8ELNS1_3repE0EEENS1_30default_config_static_selectorELNS0_4arch9wavefront6targetE1EEEvT1_.has_indirect_call, 0
	.section	.AMDGPU.csdata,"",@progbits
; Kernel info:
; codeLenInByte = 0
; TotalNumSgprs: 6
; NumVgprs: 0
; NumAgprs: 0
; TotalNumVgprs: 0
; ScratchSize: 0
; MemoryBound: 0
; FloatMode: 240
; IeeeMode: 1
; LDSByteSize: 0 bytes/workgroup (compile time only)
; SGPRBlocks: 0
; VGPRBlocks: 0
; NumSGPRsForWavesPerEU: 6
; NumVGPRsForWavesPerEU: 1
; AccumOffset: 4
; Occupancy: 8
; WaveLimiterHint : 0
; COMPUTE_PGM_RSRC2:SCRATCH_EN: 0
; COMPUTE_PGM_RSRC2:USER_SGPR: 2
; COMPUTE_PGM_RSRC2:TRAP_HANDLER: 0
; COMPUTE_PGM_RSRC2:TGID_X_EN: 1
; COMPUTE_PGM_RSRC2:TGID_Y_EN: 0
; COMPUTE_PGM_RSRC2:TGID_Z_EN: 0
; COMPUTE_PGM_RSRC2:TIDIG_COMP_CNT: 0
; COMPUTE_PGM_RSRC3_GFX90A:ACCUM_OFFSET: 0
; COMPUTE_PGM_RSRC3_GFX90A:TG_SPLIT: 0
	.section	.text._ZN7rocprim17ROCPRIM_400000_NS6detail17trampoline_kernelINS0_14default_configENS1_25partition_config_selectorILNS1_17partition_subalgoE8EiNS0_10empty_typeEbEEZZNS1_14partition_implILS5_8ELb0ES3_jPKiPS6_PKS6_NS0_5tupleIJPiS6_EEENSE_IJSB_SB_EEENS0_18inequality_wrapperIN6hipcub16HIPCUB_304000_NS8EqualityEEEPlJS6_EEE10hipError_tPvRmT3_T4_T5_T6_T7_T9_mT8_P12ihipStream_tbDpT10_ENKUlT_T0_E_clISt17integral_constantIbLb0EES16_IbLb1EEEEDaS12_S13_EUlS12_E_NS1_11comp_targetILNS1_3genE3ELNS1_11target_archE908ELNS1_3gpuE7ELNS1_3repE0EEENS1_30default_config_static_selectorELNS0_4arch9wavefront6targetE1EEEvT1_,"axG",@progbits,_ZN7rocprim17ROCPRIM_400000_NS6detail17trampoline_kernelINS0_14default_configENS1_25partition_config_selectorILNS1_17partition_subalgoE8EiNS0_10empty_typeEbEEZZNS1_14partition_implILS5_8ELb0ES3_jPKiPS6_PKS6_NS0_5tupleIJPiS6_EEENSE_IJSB_SB_EEENS0_18inequality_wrapperIN6hipcub16HIPCUB_304000_NS8EqualityEEEPlJS6_EEE10hipError_tPvRmT3_T4_T5_T6_T7_T9_mT8_P12ihipStream_tbDpT10_ENKUlT_T0_E_clISt17integral_constantIbLb0EES16_IbLb1EEEEDaS12_S13_EUlS12_E_NS1_11comp_targetILNS1_3genE3ELNS1_11target_archE908ELNS1_3gpuE7ELNS1_3repE0EEENS1_30default_config_static_selectorELNS0_4arch9wavefront6targetE1EEEvT1_,comdat
	.protected	_ZN7rocprim17ROCPRIM_400000_NS6detail17trampoline_kernelINS0_14default_configENS1_25partition_config_selectorILNS1_17partition_subalgoE8EiNS0_10empty_typeEbEEZZNS1_14partition_implILS5_8ELb0ES3_jPKiPS6_PKS6_NS0_5tupleIJPiS6_EEENSE_IJSB_SB_EEENS0_18inequality_wrapperIN6hipcub16HIPCUB_304000_NS8EqualityEEEPlJS6_EEE10hipError_tPvRmT3_T4_T5_T6_T7_T9_mT8_P12ihipStream_tbDpT10_ENKUlT_T0_E_clISt17integral_constantIbLb0EES16_IbLb1EEEEDaS12_S13_EUlS12_E_NS1_11comp_targetILNS1_3genE3ELNS1_11target_archE908ELNS1_3gpuE7ELNS1_3repE0EEENS1_30default_config_static_selectorELNS0_4arch9wavefront6targetE1EEEvT1_ ; -- Begin function _ZN7rocprim17ROCPRIM_400000_NS6detail17trampoline_kernelINS0_14default_configENS1_25partition_config_selectorILNS1_17partition_subalgoE8EiNS0_10empty_typeEbEEZZNS1_14partition_implILS5_8ELb0ES3_jPKiPS6_PKS6_NS0_5tupleIJPiS6_EEENSE_IJSB_SB_EEENS0_18inequality_wrapperIN6hipcub16HIPCUB_304000_NS8EqualityEEEPlJS6_EEE10hipError_tPvRmT3_T4_T5_T6_T7_T9_mT8_P12ihipStream_tbDpT10_ENKUlT_T0_E_clISt17integral_constantIbLb0EES16_IbLb1EEEEDaS12_S13_EUlS12_E_NS1_11comp_targetILNS1_3genE3ELNS1_11target_archE908ELNS1_3gpuE7ELNS1_3repE0EEENS1_30default_config_static_selectorELNS0_4arch9wavefront6targetE1EEEvT1_
	.globl	_ZN7rocprim17ROCPRIM_400000_NS6detail17trampoline_kernelINS0_14default_configENS1_25partition_config_selectorILNS1_17partition_subalgoE8EiNS0_10empty_typeEbEEZZNS1_14partition_implILS5_8ELb0ES3_jPKiPS6_PKS6_NS0_5tupleIJPiS6_EEENSE_IJSB_SB_EEENS0_18inequality_wrapperIN6hipcub16HIPCUB_304000_NS8EqualityEEEPlJS6_EEE10hipError_tPvRmT3_T4_T5_T6_T7_T9_mT8_P12ihipStream_tbDpT10_ENKUlT_T0_E_clISt17integral_constantIbLb0EES16_IbLb1EEEEDaS12_S13_EUlS12_E_NS1_11comp_targetILNS1_3genE3ELNS1_11target_archE908ELNS1_3gpuE7ELNS1_3repE0EEENS1_30default_config_static_selectorELNS0_4arch9wavefront6targetE1EEEvT1_
	.p2align	8
	.type	_ZN7rocprim17ROCPRIM_400000_NS6detail17trampoline_kernelINS0_14default_configENS1_25partition_config_selectorILNS1_17partition_subalgoE8EiNS0_10empty_typeEbEEZZNS1_14partition_implILS5_8ELb0ES3_jPKiPS6_PKS6_NS0_5tupleIJPiS6_EEENSE_IJSB_SB_EEENS0_18inequality_wrapperIN6hipcub16HIPCUB_304000_NS8EqualityEEEPlJS6_EEE10hipError_tPvRmT3_T4_T5_T6_T7_T9_mT8_P12ihipStream_tbDpT10_ENKUlT_T0_E_clISt17integral_constantIbLb0EES16_IbLb1EEEEDaS12_S13_EUlS12_E_NS1_11comp_targetILNS1_3genE3ELNS1_11target_archE908ELNS1_3gpuE7ELNS1_3repE0EEENS1_30default_config_static_selectorELNS0_4arch9wavefront6targetE1EEEvT1_,@function
_ZN7rocprim17ROCPRIM_400000_NS6detail17trampoline_kernelINS0_14default_configENS1_25partition_config_selectorILNS1_17partition_subalgoE8EiNS0_10empty_typeEbEEZZNS1_14partition_implILS5_8ELb0ES3_jPKiPS6_PKS6_NS0_5tupleIJPiS6_EEENSE_IJSB_SB_EEENS0_18inequality_wrapperIN6hipcub16HIPCUB_304000_NS8EqualityEEEPlJS6_EEE10hipError_tPvRmT3_T4_T5_T6_T7_T9_mT8_P12ihipStream_tbDpT10_ENKUlT_T0_E_clISt17integral_constantIbLb0EES16_IbLb1EEEEDaS12_S13_EUlS12_E_NS1_11comp_targetILNS1_3genE3ELNS1_11target_archE908ELNS1_3gpuE7ELNS1_3repE0EEENS1_30default_config_static_selectorELNS0_4arch9wavefront6targetE1EEEvT1_: ; @_ZN7rocprim17ROCPRIM_400000_NS6detail17trampoline_kernelINS0_14default_configENS1_25partition_config_selectorILNS1_17partition_subalgoE8EiNS0_10empty_typeEbEEZZNS1_14partition_implILS5_8ELb0ES3_jPKiPS6_PKS6_NS0_5tupleIJPiS6_EEENSE_IJSB_SB_EEENS0_18inequality_wrapperIN6hipcub16HIPCUB_304000_NS8EqualityEEEPlJS6_EEE10hipError_tPvRmT3_T4_T5_T6_T7_T9_mT8_P12ihipStream_tbDpT10_ENKUlT_T0_E_clISt17integral_constantIbLb0EES16_IbLb1EEEEDaS12_S13_EUlS12_E_NS1_11comp_targetILNS1_3genE3ELNS1_11target_archE908ELNS1_3gpuE7ELNS1_3repE0EEENS1_30default_config_static_selectorELNS0_4arch9wavefront6targetE1EEEvT1_
; %bb.0:
	.section	.rodata,"a",@progbits
	.p2align	6, 0x0
	.amdhsa_kernel _ZN7rocprim17ROCPRIM_400000_NS6detail17trampoline_kernelINS0_14default_configENS1_25partition_config_selectorILNS1_17partition_subalgoE8EiNS0_10empty_typeEbEEZZNS1_14partition_implILS5_8ELb0ES3_jPKiPS6_PKS6_NS0_5tupleIJPiS6_EEENSE_IJSB_SB_EEENS0_18inequality_wrapperIN6hipcub16HIPCUB_304000_NS8EqualityEEEPlJS6_EEE10hipError_tPvRmT3_T4_T5_T6_T7_T9_mT8_P12ihipStream_tbDpT10_ENKUlT_T0_E_clISt17integral_constantIbLb0EES16_IbLb1EEEEDaS12_S13_EUlS12_E_NS1_11comp_targetILNS1_3genE3ELNS1_11target_archE908ELNS1_3gpuE7ELNS1_3repE0EEENS1_30default_config_static_selectorELNS0_4arch9wavefront6targetE1EEEvT1_
		.amdhsa_group_segment_fixed_size 0
		.amdhsa_private_segment_fixed_size 0
		.amdhsa_kernarg_size 128
		.amdhsa_user_sgpr_count 2
		.amdhsa_user_sgpr_dispatch_ptr 0
		.amdhsa_user_sgpr_queue_ptr 0
		.amdhsa_user_sgpr_kernarg_segment_ptr 1
		.amdhsa_user_sgpr_dispatch_id 0
		.amdhsa_user_sgpr_kernarg_preload_length 0
		.amdhsa_user_sgpr_kernarg_preload_offset 0
		.amdhsa_user_sgpr_private_segment_size 0
		.amdhsa_uses_dynamic_stack 0
		.amdhsa_enable_private_segment 0
		.amdhsa_system_sgpr_workgroup_id_x 1
		.amdhsa_system_sgpr_workgroup_id_y 0
		.amdhsa_system_sgpr_workgroup_id_z 0
		.amdhsa_system_sgpr_workgroup_info 0
		.amdhsa_system_vgpr_workitem_id 0
		.amdhsa_next_free_vgpr 1
		.amdhsa_next_free_sgpr 0
		.amdhsa_accum_offset 4
		.amdhsa_reserve_vcc 0
		.amdhsa_float_round_mode_32 0
		.amdhsa_float_round_mode_16_64 0
		.amdhsa_float_denorm_mode_32 3
		.amdhsa_float_denorm_mode_16_64 3
		.amdhsa_dx10_clamp 1
		.amdhsa_ieee_mode 1
		.amdhsa_fp16_overflow 0
		.amdhsa_tg_split 0
		.amdhsa_exception_fp_ieee_invalid_op 0
		.amdhsa_exception_fp_denorm_src 0
		.amdhsa_exception_fp_ieee_div_zero 0
		.amdhsa_exception_fp_ieee_overflow 0
		.amdhsa_exception_fp_ieee_underflow 0
		.amdhsa_exception_fp_ieee_inexact 0
		.amdhsa_exception_int_div_zero 0
	.end_amdhsa_kernel
	.section	.text._ZN7rocprim17ROCPRIM_400000_NS6detail17trampoline_kernelINS0_14default_configENS1_25partition_config_selectorILNS1_17partition_subalgoE8EiNS0_10empty_typeEbEEZZNS1_14partition_implILS5_8ELb0ES3_jPKiPS6_PKS6_NS0_5tupleIJPiS6_EEENSE_IJSB_SB_EEENS0_18inequality_wrapperIN6hipcub16HIPCUB_304000_NS8EqualityEEEPlJS6_EEE10hipError_tPvRmT3_T4_T5_T6_T7_T9_mT8_P12ihipStream_tbDpT10_ENKUlT_T0_E_clISt17integral_constantIbLb0EES16_IbLb1EEEEDaS12_S13_EUlS12_E_NS1_11comp_targetILNS1_3genE3ELNS1_11target_archE908ELNS1_3gpuE7ELNS1_3repE0EEENS1_30default_config_static_selectorELNS0_4arch9wavefront6targetE1EEEvT1_,"axG",@progbits,_ZN7rocprim17ROCPRIM_400000_NS6detail17trampoline_kernelINS0_14default_configENS1_25partition_config_selectorILNS1_17partition_subalgoE8EiNS0_10empty_typeEbEEZZNS1_14partition_implILS5_8ELb0ES3_jPKiPS6_PKS6_NS0_5tupleIJPiS6_EEENSE_IJSB_SB_EEENS0_18inequality_wrapperIN6hipcub16HIPCUB_304000_NS8EqualityEEEPlJS6_EEE10hipError_tPvRmT3_T4_T5_T6_T7_T9_mT8_P12ihipStream_tbDpT10_ENKUlT_T0_E_clISt17integral_constantIbLb0EES16_IbLb1EEEEDaS12_S13_EUlS12_E_NS1_11comp_targetILNS1_3genE3ELNS1_11target_archE908ELNS1_3gpuE7ELNS1_3repE0EEENS1_30default_config_static_selectorELNS0_4arch9wavefront6targetE1EEEvT1_,comdat
.Lfunc_end216:
	.size	_ZN7rocprim17ROCPRIM_400000_NS6detail17trampoline_kernelINS0_14default_configENS1_25partition_config_selectorILNS1_17partition_subalgoE8EiNS0_10empty_typeEbEEZZNS1_14partition_implILS5_8ELb0ES3_jPKiPS6_PKS6_NS0_5tupleIJPiS6_EEENSE_IJSB_SB_EEENS0_18inequality_wrapperIN6hipcub16HIPCUB_304000_NS8EqualityEEEPlJS6_EEE10hipError_tPvRmT3_T4_T5_T6_T7_T9_mT8_P12ihipStream_tbDpT10_ENKUlT_T0_E_clISt17integral_constantIbLb0EES16_IbLb1EEEEDaS12_S13_EUlS12_E_NS1_11comp_targetILNS1_3genE3ELNS1_11target_archE908ELNS1_3gpuE7ELNS1_3repE0EEENS1_30default_config_static_selectorELNS0_4arch9wavefront6targetE1EEEvT1_, .Lfunc_end216-_ZN7rocprim17ROCPRIM_400000_NS6detail17trampoline_kernelINS0_14default_configENS1_25partition_config_selectorILNS1_17partition_subalgoE8EiNS0_10empty_typeEbEEZZNS1_14partition_implILS5_8ELb0ES3_jPKiPS6_PKS6_NS0_5tupleIJPiS6_EEENSE_IJSB_SB_EEENS0_18inequality_wrapperIN6hipcub16HIPCUB_304000_NS8EqualityEEEPlJS6_EEE10hipError_tPvRmT3_T4_T5_T6_T7_T9_mT8_P12ihipStream_tbDpT10_ENKUlT_T0_E_clISt17integral_constantIbLb0EES16_IbLb1EEEEDaS12_S13_EUlS12_E_NS1_11comp_targetILNS1_3genE3ELNS1_11target_archE908ELNS1_3gpuE7ELNS1_3repE0EEENS1_30default_config_static_selectorELNS0_4arch9wavefront6targetE1EEEvT1_
                                        ; -- End function
	.set _ZN7rocprim17ROCPRIM_400000_NS6detail17trampoline_kernelINS0_14default_configENS1_25partition_config_selectorILNS1_17partition_subalgoE8EiNS0_10empty_typeEbEEZZNS1_14partition_implILS5_8ELb0ES3_jPKiPS6_PKS6_NS0_5tupleIJPiS6_EEENSE_IJSB_SB_EEENS0_18inequality_wrapperIN6hipcub16HIPCUB_304000_NS8EqualityEEEPlJS6_EEE10hipError_tPvRmT3_T4_T5_T6_T7_T9_mT8_P12ihipStream_tbDpT10_ENKUlT_T0_E_clISt17integral_constantIbLb0EES16_IbLb1EEEEDaS12_S13_EUlS12_E_NS1_11comp_targetILNS1_3genE3ELNS1_11target_archE908ELNS1_3gpuE7ELNS1_3repE0EEENS1_30default_config_static_selectorELNS0_4arch9wavefront6targetE1EEEvT1_.num_vgpr, 0
	.set _ZN7rocprim17ROCPRIM_400000_NS6detail17trampoline_kernelINS0_14default_configENS1_25partition_config_selectorILNS1_17partition_subalgoE8EiNS0_10empty_typeEbEEZZNS1_14partition_implILS5_8ELb0ES3_jPKiPS6_PKS6_NS0_5tupleIJPiS6_EEENSE_IJSB_SB_EEENS0_18inequality_wrapperIN6hipcub16HIPCUB_304000_NS8EqualityEEEPlJS6_EEE10hipError_tPvRmT3_T4_T5_T6_T7_T9_mT8_P12ihipStream_tbDpT10_ENKUlT_T0_E_clISt17integral_constantIbLb0EES16_IbLb1EEEEDaS12_S13_EUlS12_E_NS1_11comp_targetILNS1_3genE3ELNS1_11target_archE908ELNS1_3gpuE7ELNS1_3repE0EEENS1_30default_config_static_selectorELNS0_4arch9wavefront6targetE1EEEvT1_.num_agpr, 0
	.set _ZN7rocprim17ROCPRIM_400000_NS6detail17trampoline_kernelINS0_14default_configENS1_25partition_config_selectorILNS1_17partition_subalgoE8EiNS0_10empty_typeEbEEZZNS1_14partition_implILS5_8ELb0ES3_jPKiPS6_PKS6_NS0_5tupleIJPiS6_EEENSE_IJSB_SB_EEENS0_18inequality_wrapperIN6hipcub16HIPCUB_304000_NS8EqualityEEEPlJS6_EEE10hipError_tPvRmT3_T4_T5_T6_T7_T9_mT8_P12ihipStream_tbDpT10_ENKUlT_T0_E_clISt17integral_constantIbLb0EES16_IbLb1EEEEDaS12_S13_EUlS12_E_NS1_11comp_targetILNS1_3genE3ELNS1_11target_archE908ELNS1_3gpuE7ELNS1_3repE0EEENS1_30default_config_static_selectorELNS0_4arch9wavefront6targetE1EEEvT1_.numbered_sgpr, 0
	.set _ZN7rocprim17ROCPRIM_400000_NS6detail17trampoline_kernelINS0_14default_configENS1_25partition_config_selectorILNS1_17partition_subalgoE8EiNS0_10empty_typeEbEEZZNS1_14partition_implILS5_8ELb0ES3_jPKiPS6_PKS6_NS0_5tupleIJPiS6_EEENSE_IJSB_SB_EEENS0_18inequality_wrapperIN6hipcub16HIPCUB_304000_NS8EqualityEEEPlJS6_EEE10hipError_tPvRmT3_T4_T5_T6_T7_T9_mT8_P12ihipStream_tbDpT10_ENKUlT_T0_E_clISt17integral_constantIbLb0EES16_IbLb1EEEEDaS12_S13_EUlS12_E_NS1_11comp_targetILNS1_3genE3ELNS1_11target_archE908ELNS1_3gpuE7ELNS1_3repE0EEENS1_30default_config_static_selectorELNS0_4arch9wavefront6targetE1EEEvT1_.num_named_barrier, 0
	.set _ZN7rocprim17ROCPRIM_400000_NS6detail17trampoline_kernelINS0_14default_configENS1_25partition_config_selectorILNS1_17partition_subalgoE8EiNS0_10empty_typeEbEEZZNS1_14partition_implILS5_8ELb0ES3_jPKiPS6_PKS6_NS0_5tupleIJPiS6_EEENSE_IJSB_SB_EEENS0_18inequality_wrapperIN6hipcub16HIPCUB_304000_NS8EqualityEEEPlJS6_EEE10hipError_tPvRmT3_T4_T5_T6_T7_T9_mT8_P12ihipStream_tbDpT10_ENKUlT_T0_E_clISt17integral_constantIbLb0EES16_IbLb1EEEEDaS12_S13_EUlS12_E_NS1_11comp_targetILNS1_3genE3ELNS1_11target_archE908ELNS1_3gpuE7ELNS1_3repE0EEENS1_30default_config_static_selectorELNS0_4arch9wavefront6targetE1EEEvT1_.private_seg_size, 0
	.set _ZN7rocprim17ROCPRIM_400000_NS6detail17trampoline_kernelINS0_14default_configENS1_25partition_config_selectorILNS1_17partition_subalgoE8EiNS0_10empty_typeEbEEZZNS1_14partition_implILS5_8ELb0ES3_jPKiPS6_PKS6_NS0_5tupleIJPiS6_EEENSE_IJSB_SB_EEENS0_18inequality_wrapperIN6hipcub16HIPCUB_304000_NS8EqualityEEEPlJS6_EEE10hipError_tPvRmT3_T4_T5_T6_T7_T9_mT8_P12ihipStream_tbDpT10_ENKUlT_T0_E_clISt17integral_constantIbLb0EES16_IbLb1EEEEDaS12_S13_EUlS12_E_NS1_11comp_targetILNS1_3genE3ELNS1_11target_archE908ELNS1_3gpuE7ELNS1_3repE0EEENS1_30default_config_static_selectorELNS0_4arch9wavefront6targetE1EEEvT1_.uses_vcc, 0
	.set _ZN7rocprim17ROCPRIM_400000_NS6detail17trampoline_kernelINS0_14default_configENS1_25partition_config_selectorILNS1_17partition_subalgoE8EiNS0_10empty_typeEbEEZZNS1_14partition_implILS5_8ELb0ES3_jPKiPS6_PKS6_NS0_5tupleIJPiS6_EEENSE_IJSB_SB_EEENS0_18inequality_wrapperIN6hipcub16HIPCUB_304000_NS8EqualityEEEPlJS6_EEE10hipError_tPvRmT3_T4_T5_T6_T7_T9_mT8_P12ihipStream_tbDpT10_ENKUlT_T0_E_clISt17integral_constantIbLb0EES16_IbLb1EEEEDaS12_S13_EUlS12_E_NS1_11comp_targetILNS1_3genE3ELNS1_11target_archE908ELNS1_3gpuE7ELNS1_3repE0EEENS1_30default_config_static_selectorELNS0_4arch9wavefront6targetE1EEEvT1_.uses_flat_scratch, 0
	.set _ZN7rocprim17ROCPRIM_400000_NS6detail17trampoline_kernelINS0_14default_configENS1_25partition_config_selectorILNS1_17partition_subalgoE8EiNS0_10empty_typeEbEEZZNS1_14partition_implILS5_8ELb0ES3_jPKiPS6_PKS6_NS0_5tupleIJPiS6_EEENSE_IJSB_SB_EEENS0_18inequality_wrapperIN6hipcub16HIPCUB_304000_NS8EqualityEEEPlJS6_EEE10hipError_tPvRmT3_T4_T5_T6_T7_T9_mT8_P12ihipStream_tbDpT10_ENKUlT_T0_E_clISt17integral_constantIbLb0EES16_IbLb1EEEEDaS12_S13_EUlS12_E_NS1_11comp_targetILNS1_3genE3ELNS1_11target_archE908ELNS1_3gpuE7ELNS1_3repE0EEENS1_30default_config_static_selectorELNS0_4arch9wavefront6targetE1EEEvT1_.has_dyn_sized_stack, 0
	.set _ZN7rocprim17ROCPRIM_400000_NS6detail17trampoline_kernelINS0_14default_configENS1_25partition_config_selectorILNS1_17partition_subalgoE8EiNS0_10empty_typeEbEEZZNS1_14partition_implILS5_8ELb0ES3_jPKiPS6_PKS6_NS0_5tupleIJPiS6_EEENSE_IJSB_SB_EEENS0_18inequality_wrapperIN6hipcub16HIPCUB_304000_NS8EqualityEEEPlJS6_EEE10hipError_tPvRmT3_T4_T5_T6_T7_T9_mT8_P12ihipStream_tbDpT10_ENKUlT_T0_E_clISt17integral_constantIbLb0EES16_IbLb1EEEEDaS12_S13_EUlS12_E_NS1_11comp_targetILNS1_3genE3ELNS1_11target_archE908ELNS1_3gpuE7ELNS1_3repE0EEENS1_30default_config_static_selectorELNS0_4arch9wavefront6targetE1EEEvT1_.has_recursion, 0
	.set _ZN7rocprim17ROCPRIM_400000_NS6detail17trampoline_kernelINS0_14default_configENS1_25partition_config_selectorILNS1_17partition_subalgoE8EiNS0_10empty_typeEbEEZZNS1_14partition_implILS5_8ELb0ES3_jPKiPS6_PKS6_NS0_5tupleIJPiS6_EEENSE_IJSB_SB_EEENS0_18inequality_wrapperIN6hipcub16HIPCUB_304000_NS8EqualityEEEPlJS6_EEE10hipError_tPvRmT3_T4_T5_T6_T7_T9_mT8_P12ihipStream_tbDpT10_ENKUlT_T0_E_clISt17integral_constantIbLb0EES16_IbLb1EEEEDaS12_S13_EUlS12_E_NS1_11comp_targetILNS1_3genE3ELNS1_11target_archE908ELNS1_3gpuE7ELNS1_3repE0EEENS1_30default_config_static_selectorELNS0_4arch9wavefront6targetE1EEEvT1_.has_indirect_call, 0
	.section	.AMDGPU.csdata,"",@progbits
; Kernel info:
; codeLenInByte = 0
; TotalNumSgprs: 6
; NumVgprs: 0
; NumAgprs: 0
; TotalNumVgprs: 0
; ScratchSize: 0
; MemoryBound: 0
; FloatMode: 240
; IeeeMode: 1
; LDSByteSize: 0 bytes/workgroup (compile time only)
; SGPRBlocks: 0
; VGPRBlocks: 0
; NumSGPRsForWavesPerEU: 6
; NumVGPRsForWavesPerEU: 1
; AccumOffset: 4
; Occupancy: 8
; WaveLimiterHint : 0
; COMPUTE_PGM_RSRC2:SCRATCH_EN: 0
; COMPUTE_PGM_RSRC2:USER_SGPR: 2
; COMPUTE_PGM_RSRC2:TRAP_HANDLER: 0
; COMPUTE_PGM_RSRC2:TGID_X_EN: 1
; COMPUTE_PGM_RSRC2:TGID_Y_EN: 0
; COMPUTE_PGM_RSRC2:TGID_Z_EN: 0
; COMPUTE_PGM_RSRC2:TIDIG_COMP_CNT: 0
; COMPUTE_PGM_RSRC3_GFX90A:ACCUM_OFFSET: 0
; COMPUTE_PGM_RSRC3_GFX90A:TG_SPLIT: 0
	.section	.text._ZN7rocprim17ROCPRIM_400000_NS6detail17trampoline_kernelINS0_14default_configENS1_25partition_config_selectorILNS1_17partition_subalgoE8EiNS0_10empty_typeEbEEZZNS1_14partition_implILS5_8ELb0ES3_jPKiPS6_PKS6_NS0_5tupleIJPiS6_EEENSE_IJSB_SB_EEENS0_18inequality_wrapperIN6hipcub16HIPCUB_304000_NS8EqualityEEEPlJS6_EEE10hipError_tPvRmT3_T4_T5_T6_T7_T9_mT8_P12ihipStream_tbDpT10_ENKUlT_T0_E_clISt17integral_constantIbLb0EES16_IbLb1EEEEDaS12_S13_EUlS12_E_NS1_11comp_targetILNS1_3genE2ELNS1_11target_archE906ELNS1_3gpuE6ELNS1_3repE0EEENS1_30default_config_static_selectorELNS0_4arch9wavefront6targetE1EEEvT1_,"axG",@progbits,_ZN7rocprim17ROCPRIM_400000_NS6detail17trampoline_kernelINS0_14default_configENS1_25partition_config_selectorILNS1_17partition_subalgoE8EiNS0_10empty_typeEbEEZZNS1_14partition_implILS5_8ELb0ES3_jPKiPS6_PKS6_NS0_5tupleIJPiS6_EEENSE_IJSB_SB_EEENS0_18inequality_wrapperIN6hipcub16HIPCUB_304000_NS8EqualityEEEPlJS6_EEE10hipError_tPvRmT3_T4_T5_T6_T7_T9_mT8_P12ihipStream_tbDpT10_ENKUlT_T0_E_clISt17integral_constantIbLb0EES16_IbLb1EEEEDaS12_S13_EUlS12_E_NS1_11comp_targetILNS1_3genE2ELNS1_11target_archE906ELNS1_3gpuE6ELNS1_3repE0EEENS1_30default_config_static_selectorELNS0_4arch9wavefront6targetE1EEEvT1_,comdat
	.protected	_ZN7rocprim17ROCPRIM_400000_NS6detail17trampoline_kernelINS0_14default_configENS1_25partition_config_selectorILNS1_17partition_subalgoE8EiNS0_10empty_typeEbEEZZNS1_14partition_implILS5_8ELb0ES3_jPKiPS6_PKS6_NS0_5tupleIJPiS6_EEENSE_IJSB_SB_EEENS0_18inequality_wrapperIN6hipcub16HIPCUB_304000_NS8EqualityEEEPlJS6_EEE10hipError_tPvRmT3_T4_T5_T6_T7_T9_mT8_P12ihipStream_tbDpT10_ENKUlT_T0_E_clISt17integral_constantIbLb0EES16_IbLb1EEEEDaS12_S13_EUlS12_E_NS1_11comp_targetILNS1_3genE2ELNS1_11target_archE906ELNS1_3gpuE6ELNS1_3repE0EEENS1_30default_config_static_selectorELNS0_4arch9wavefront6targetE1EEEvT1_ ; -- Begin function _ZN7rocprim17ROCPRIM_400000_NS6detail17trampoline_kernelINS0_14default_configENS1_25partition_config_selectorILNS1_17partition_subalgoE8EiNS0_10empty_typeEbEEZZNS1_14partition_implILS5_8ELb0ES3_jPKiPS6_PKS6_NS0_5tupleIJPiS6_EEENSE_IJSB_SB_EEENS0_18inequality_wrapperIN6hipcub16HIPCUB_304000_NS8EqualityEEEPlJS6_EEE10hipError_tPvRmT3_T4_T5_T6_T7_T9_mT8_P12ihipStream_tbDpT10_ENKUlT_T0_E_clISt17integral_constantIbLb0EES16_IbLb1EEEEDaS12_S13_EUlS12_E_NS1_11comp_targetILNS1_3genE2ELNS1_11target_archE906ELNS1_3gpuE6ELNS1_3repE0EEENS1_30default_config_static_selectorELNS0_4arch9wavefront6targetE1EEEvT1_
	.globl	_ZN7rocprim17ROCPRIM_400000_NS6detail17trampoline_kernelINS0_14default_configENS1_25partition_config_selectorILNS1_17partition_subalgoE8EiNS0_10empty_typeEbEEZZNS1_14partition_implILS5_8ELb0ES3_jPKiPS6_PKS6_NS0_5tupleIJPiS6_EEENSE_IJSB_SB_EEENS0_18inequality_wrapperIN6hipcub16HIPCUB_304000_NS8EqualityEEEPlJS6_EEE10hipError_tPvRmT3_T4_T5_T6_T7_T9_mT8_P12ihipStream_tbDpT10_ENKUlT_T0_E_clISt17integral_constantIbLb0EES16_IbLb1EEEEDaS12_S13_EUlS12_E_NS1_11comp_targetILNS1_3genE2ELNS1_11target_archE906ELNS1_3gpuE6ELNS1_3repE0EEENS1_30default_config_static_selectorELNS0_4arch9wavefront6targetE1EEEvT1_
	.p2align	8
	.type	_ZN7rocprim17ROCPRIM_400000_NS6detail17trampoline_kernelINS0_14default_configENS1_25partition_config_selectorILNS1_17partition_subalgoE8EiNS0_10empty_typeEbEEZZNS1_14partition_implILS5_8ELb0ES3_jPKiPS6_PKS6_NS0_5tupleIJPiS6_EEENSE_IJSB_SB_EEENS0_18inequality_wrapperIN6hipcub16HIPCUB_304000_NS8EqualityEEEPlJS6_EEE10hipError_tPvRmT3_T4_T5_T6_T7_T9_mT8_P12ihipStream_tbDpT10_ENKUlT_T0_E_clISt17integral_constantIbLb0EES16_IbLb1EEEEDaS12_S13_EUlS12_E_NS1_11comp_targetILNS1_3genE2ELNS1_11target_archE906ELNS1_3gpuE6ELNS1_3repE0EEENS1_30default_config_static_selectorELNS0_4arch9wavefront6targetE1EEEvT1_,@function
_ZN7rocprim17ROCPRIM_400000_NS6detail17trampoline_kernelINS0_14default_configENS1_25partition_config_selectorILNS1_17partition_subalgoE8EiNS0_10empty_typeEbEEZZNS1_14partition_implILS5_8ELb0ES3_jPKiPS6_PKS6_NS0_5tupleIJPiS6_EEENSE_IJSB_SB_EEENS0_18inequality_wrapperIN6hipcub16HIPCUB_304000_NS8EqualityEEEPlJS6_EEE10hipError_tPvRmT3_T4_T5_T6_T7_T9_mT8_P12ihipStream_tbDpT10_ENKUlT_T0_E_clISt17integral_constantIbLb0EES16_IbLb1EEEEDaS12_S13_EUlS12_E_NS1_11comp_targetILNS1_3genE2ELNS1_11target_archE906ELNS1_3gpuE6ELNS1_3repE0EEENS1_30default_config_static_selectorELNS0_4arch9wavefront6targetE1EEEvT1_: ; @_ZN7rocprim17ROCPRIM_400000_NS6detail17trampoline_kernelINS0_14default_configENS1_25partition_config_selectorILNS1_17partition_subalgoE8EiNS0_10empty_typeEbEEZZNS1_14partition_implILS5_8ELb0ES3_jPKiPS6_PKS6_NS0_5tupleIJPiS6_EEENSE_IJSB_SB_EEENS0_18inequality_wrapperIN6hipcub16HIPCUB_304000_NS8EqualityEEEPlJS6_EEE10hipError_tPvRmT3_T4_T5_T6_T7_T9_mT8_P12ihipStream_tbDpT10_ENKUlT_T0_E_clISt17integral_constantIbLb0EES16_IbLb1EEEEDaS12_S13_EUlS12_E_NS1_11comp_targetILNS1_3genE2ELNS1_11target_archE906ELNS1_3gpuE6ELNS1_3repE0EEENS1_30default_config_static_selectorELNS0_4arch9wavefront6targetE1EEEvT1_
; %bb.0:
	.section	.rodata,"a",@progbits
	.p2align	6, 0x0
	.amdhsa_kernel _ZN7rocprim17ROCPRIM_400000_NS6detail17trampoline_kernelINS0_14default_configENS1_25partition_config_selectorILNS1_17partition_subalgoE8EiNS0_10empty_typeEbEEZZNS1_14partition_implILS5_8ELb0ES3_jPKiPS6_PKS6_NS0_5tupleIJPiS6_EEENSE_IJSB_SB_EEENS0_18inequality_wrapperIN6hipcub16HIPCUB_304000_NS8EqualityEEEPlJS6_EEE10hipError_tPvRmT3_T4_T5_T6_T7_T9_mT8_P12ihipStream_tbDpT10_ENKUlT_T0_E_clISt17integral_constantIbLb0EES16_IbLb1EEEEDaS12_S13_EUlS12_E_NS1_11comp_targetILNS1_3genE2ELNS1_11target_archE906ELNS1_3gpuE6ELNS1_3repE0EEENS1_30default_config_static_selectorELNS0_4arch9wavefront6targetE1EEEvT1_
		.amdhsa_group_segment_fixed_size 0
		.amdhsa_private_segment_fixed_size 0
		.amdhsa_kernarg_size 128
		.amdhsa_user_sgpr_count 2
		.amdhsa_user_sgpr_dispatch_ptr 0
		.amdhsa_user_sgpr_queue_ptr 0
		.amdhsa_user_sgpr_kernarg_segment_ptr 1
		.amdhsa_user_sgpr_dispatch_id 0
		.amdhsa_user_sgpr_kernarg_preload_length 0
		.amdhsa_user_sgpr_kernarg_preload_offset 0
		.amdhsa_user_sgpr_private_segment_size 0
		.amdhsa_uses_dynamic_stack 0
		.amdhsa_enable_private_segment 0
		.amdhsa_system_sgpr_workgroup_id_x 1
		.amdhsa_system_sgpr_workgroup_id_y 0
		.amdhsa_system_sgpr_workgroup_id_z 0
		.amdhsa_system_sgpr_workgroup_info 0
		.amdhsa_system_vgpr_workitem_id 0
		.amdhsa_next_free_vgpr 1
		.amdhsa_next_free_sgpr 0
		.amdhsa_accum_offset 4
		.amdhsa_reserve_vcc 0
		.amdhsa_float_round_mode_32 0
		.amdhsa_float_round_mode_16_64 0
		.amdhsa_float_denorm_mode_32 3
		.amdhsa_float_denorm_mode_16_64 3
		.amdhsa_dx10_clamp 1
		.amdhsa_ieee_mode 1
		.amdhsa_fp16_overflow 0
		.amdhsa_tg_split 0
		.amdhsa_exception_fp_ieee_invalid_op 0
		.amdhsa_exception_fp_denorm_src 0
		.amdhsa_exception_fp_ieee_div_zero 0
		.amdhsa_exception_fp_ieee_overflow 0
		.amdhsa_exception_fp_ieee_underflow 0
		.amdhsa_exception_fp_ieee_inexact 0
		.amdhsa_exception_int_div_zero 0
	.end_amdhsa_kernel
	.section	.text._ZN7rocprim17ROCPRIM_400000_NS6detail17trampoline_kernelINS0_14default_configENS1_25partition_config_selectorILNS1_17partition_subalgoE8EiNS0_10empty_typeEbEEZZNS1_14partition_implILS5_8ELb0ES3_jPKiPS6_PKS6_NS0_5tupleIJPiS6_EEENSE_IJSB_SB_EEENS0_18inequality_wrapperIN6hipcub16HIPCUB_304000_NS8EqualityEEEPlJS6_EEE10hipError_tPvRmT3_T4_T5_T6_T7_T9_mT8_P12ihipStream_tbDpT10_ENKUlT_T0_E_clISt17integral_constantIbLb0EES16_IbLb1EEEEDaS12_S13_EUlS12_E_NS1_11comp_targetILNS1_3genE2ELNS1_11target_archE906ELNS1_3gpuE6ELNS1_3repE0EEENS1_30default_config_static_selectorELNS0_4arch9wavefront6targetE1EEEvT1_,"axG",@progbits,_ZN7rocprim17ROCPRIM_400000_NS6detail17trampoline_kernelINS0_14default_configENS1_25partition_config_selectorILNS1_17partition_subalgoE8EiNS0_10empty_typeEbEEZZNS1_14partition_implILS5_8ELb0ES3_jPKiPS6_PKS6_NS0_5tupleIJPiS6_EEENSE_IJSB_SB_EEENS0_18inequality_wrapperIN6hipcub16HIPCUB_304000_NS8EqualityEEEPlJS6_EEE10hipError_tPvRmT3_T4_T5_T6_T7_T9_mT8_P12ihipStream_tbDpT10_ENKUlT_T0_E_clISt17integral_constantIbLb0EES16_IbLb1EEEEDaS12_S13_EUlS12_E_NS1_11comp_targetILNS1_3genE2ELNS1_11target_archE906ELNS1_3gpuE6ELNS1_3repE0EEENS1_30default_config_static_selectorELNS0_4arch9wavefront6targetE1EEEvT1_,comdat
.Lfunc_end217:
	.size	_ZN7rocprim17ROCPRIM_400000_NS6detail17trampoline_kernelINS0_14default_configENS1_25partition_config_selectorILNS1_17partition_subalgoE8EiNS0_10empty_typeEbEEZZNS1_14partition_implILS5_8ELb0ES3_jPKiPS6_PKS6_NS0_5tupleIJPiS6_EEENSE_IJSB_SB_EEENS0_18inequality_wrapperIN6hipcub16HIPCUB_304000_NS8EqualityEEEPlJS6_EEE10hipError_tPvRmT3_T4_T5_T6_T7_T9_mT8_P12ihipStream_tbDpT10_ENKUlT_T0_E_clISt17integral_constantIbLb0EES16_IbLb1EEEEDaS12_S13_EUlS12_E_NS1_11comp_targetILNS1_3genE2ELNS1_11target_archE906ELNS1_3gpuE6ELNS1_3repE0EEENS1_30default_config_static_selectorELNS0_4arch9wavefront6targetE1EEEvT1_, .Lfunc_end217-_ZN7rocprim17ROCPRIM_400000_NS6detail17trampoline_kernelINS0_14default_configENS1_25partition_config_selectorILNS1_17partition_subalgoE8EiNS0_10empty_typeEbEEZZNS1_14partition_implILS5_8ELb0ES3_jPKiPS6_PKS6_NS0_5tupleIJPiS6_EEENSE_IJSB_SB_EEENS0_18inequality_wrapperIN6hipcub16HIPCUB_304000_NS8EqualityEEEPlJS6_EEE10hipError_tPvRmT3_T4_T5_T6_T7_T9_mT8_P12ihipStream_tbDpT10_ENKUlT_T0_E_clISt17integral_constantIbLb0EES16_IbLb1EEEEDaS12_S13_EUlS12_E_NS1_11comp_targetILNS1_3genE2ELNS1_11target_archE906ELNS1_3gpuE6ELNS1_3repE0EEENS1_30default_config_static_selectorELNS0_4arch9wavefront6targetE1EEEvT1_
                                        ; -- End function
	.set _ZN7rocprim17ROCPRIM_400000_NS6detail17trampoline_kernelINS0_14default_configENS1_25partition_config_selectorILNS1_17partition_subalgoE8EiNS0_10empty_typeEbEEZZNS1_14partition_implILS5_8ELb0ES3_jPKiPS6_PKS6_NS0_5tupleIJPiS6_EEENSE_IJSB_SB_EEENS0_18inequality_wrapperIN6hipcub16HIPCUB_304000_NS8EqualityEEEPlJS6_EEE10hipError_tPvRmT3_T4_T5_T6_T7_T9_mT8_P12ihipStream_tbDpT10_ENKUlT_T0_E_clISt17integral_constantIbLb0EES16_IbLb1EEEEDaS12_S13_EUlS12_E_NS1_11comp_targetILNS1_3genE2ELNS1_11target_archE906ELNS1_3gpuE6ELNS1_3repE0EEENS1_30default_config_static_selectorELNS0_4arch9wavefront6targetE1EEEvT1_.num_vgpr, 0
	.set _ZN7rocprim17ROCPRIM_400000_NS6detail17trampoline_kernelINS0_14default_configENS1_25partition_config_selectorILNS1_17partition_subalgoE8EiNS0_10empty_typeEbEEZZNS1_14partition_implILS5_8ELb0ES3_jPKiPS6_PKS6_NS0_5tupleIJPiS6_EEENSE_IJSB_SB_EEENS0_18inequality_wrapperIN6hipcub16HIPCUB_304000_NS8EqualityEEEPlJS6_EEE10hipError_tPvRmT3_T4_T5_T6_T7_T9_mT8_P12ihipStream_tbDpT10_ENKUlT_T0_E_clISt17integral_constantIbLb0EES16_IbLb1EEEEDaS12_S13_EUlS12_E_NS1_11comp_targetILNS1_3genE2ELNS1_11target_archE906ELNS1_3gpuE6ELNS1_3repE0EEENS1_30default_config_static_selectorELNS0_4arch9wavefront6targetE1EEEvT1_.num_agpr, 0
	.set _ZN7rocprim17ROCPRIM_400000_NS6detail17trampoline_kernelINS0_14default_configENS1_25partition_config_selectorILNS1_17partition_subalgoE8EiNS0_10empty_typeEbEEZZNS1_14partition_implILS5_8ELb0ES3_jPKiPS6_PKS6_NS0_5tupleIJPiS6_EEENSE_IJSB_SB_EEENS0_18inequality_wrapperIN6hipcub16HIPCUB_304000_NS8EqualityEEEPlJS6_EEE10hipError_tPvRmT3_T4_T5_T6_T7_T9_mT8_P12ihipStream_tbDpT10_ENKUlT_T0_E_clISt17integral_constantIbLb0EES16_IbLb1EEEEDaS12_S13_EUlS12_E_NS1_11comp_targetILNS1_3genE2ELNS1_11target_archE906ELNS1_3gpuE6ELNS1_3repE0EEENS1_30default_config_static_selectorELNS0_4arch9wavefront6targetE1EEEvT1_.numbered_sgpr, 0
	.set _ZN7rocprim17ROCPRIM_400000_NS6detail17trampoline_kernelINS0_14default_configENS1_25partition_config_selectorILNS1_17partition_subalgoE8EiNS0_10empty_typeEbEEZZNS1_14partition_implILS5_8ELb0ES3_jPKiPS6_PKS6_NS0_5tupleIJPiS6_EEENSE_IJSB_SB_EEENS0_18inequality_wrapperIN6hipcub16HIPCUB_304000_NS8EqualityEEEPlJS6_EEE10hipError_tPvRmT3_T4_T5_T6_T7_T9_mT8_P12ihipStream_tbDpT10_ENKUlT_T0_E_clISt17integral_constantIbLb0EES16_IbLb1EEEEDaS12_S13_EUlS12_E_NS1_11comp_targetILNS1_3genE2ELNS1_11target_archE906ELNS1_3gpuE6ELNS1_3repE0EEENS1_30default_config_static_selectorELNS0_4arch9wavefront6targetE1EEEvT1_.num_named_barrier, 0
	.set _ZN7rocprim17ROCPRIM_400000_NS6detail17trampoline_kernelINS0_14default_configENS1_25partition_config_selectorILNS1_17partition_subalgoE8EiNS0_10empty_typeEbEEZZNS1_14partition_implILS5_8ELb0ES3_jPKiPS6_PKS6_NS0_5tupleIJPiS6_EEENSE_IJSB_SB_EEENS0_18inequality_wrapperIN6hipcub16HIPCUB_304000_NS8EqualityEEEPlJS6_EEE10hipError_tPvRmT3_T4_T5_T6_T7_T9_mT8_P12ihipStream_tbDpT10_ENKUlT_T0_E_clISt17integral_constantIbLb0EES16_IbLb1EEEEDaS12_S13_EUlS12_E_NS1_11comp_targetILNS1_3genE2ELNS1_11target_archE906ELNS1_3gpuE6ELNS1_3repE0EEENS1_30default_config_static_selectorELNS0_4arch9wavefront6targetE1EEEvT1_.private_seg_size, 0
	.set _ZN7rocprim17ROCPRIM_400000_NS6detail17trampoline_kernelINS0_14default_configENS1_25partition_config_selectorILNS1_17partition_subalgoE8EiNS0_10empty_typeEbEEZZNS1_14partition_implILS5_8ELb0ES3_jPKiPS6_PKS6_NS0_5tupleIJPiS6_EEENSE_IJSB_SB_EEENS0_18inequality_wrapperIN6hipcub16HIPCUB_304000_NS8EqualityEEEPlJS6_EEE10hipError_tPvRmT3_T4_T5_T6_T7_T9_mT8_P12ihipStream_tbDpT10_ENKUlT_T0_E_clISt17integral_constantIbLb0EES16_IbLb1EEEEDaS12_S13_EUlS12_E_NS1_11comp_targetILNS1_3genE2ELNS1_11target_archE906ELNS1_3gpuE6ELNS1_3repE0EEENS1_30default_config_static_selectorELNS0_4arch9wavefront6targetE1EEEvT1_.uses_vcc, 0
	.set _ZN7rocprim17ROCPRIM_400000_NS6detail17trampoline_kernelINS0_14default_configENS1_25partition_config_selectorILNS1_17partition_subalgoE8EiNS0_10empty_typeEbEEZZNS1_14partition_implILS5_8ELb0ES3_jPKiPS6_PKS6_NS0_5tupleIJPiS6_EEENSE_IJSB_SB_EEENS0_18inequality_wrapperIN6hipcub16HIPCUB_304000_NS8EqualityEEEPlJS6_EEE10hipError_tPvRmT3_T4_T5_T6_T7_T9_mT8_P12ihipStream_tbDpT10_ENKUlT_T0_E_clISt17integral_constantIbLb0EES16_IbLb1EEEEDaS12_S13_EUlS12_E_NS1_11comp_targetILNS1_3genE2ELNS1_11target_archE906ELNS1_3gpuE6ELNS1_3repE0EEENS1_30default_config_static_selectorELNS0_4arch9wavefront6targetE1EEEvT1_.uses_flat_scratch, 0
	.set _ZN7rocprim17ROCPRIM_400000_NS6detail17trampoline_kernelINS0_14default_configENS1_25partition_config_selectorILNS1_17partition_subalgoE8EiNS0_10empty_typeEbEEZZNS1_14partition_implILS5_8ELb0ES3_jPKiPS6_PKS6_NS0_5tupleIJPiS6_EEENSE_IJSB_SB_EEENS0_18inequality_wrapperIN6hipcub16HIPCUB_304000_NS8EqualityEEEPlJS6_EEE10hipError_tPvRmT3_T4_T5_T6_T7_T9_mT8_P12ihipStream_tbDpT10_ENKUlT_T0_E_clISt17integral_constantIbLb0EES16_IbLb1EEEEDaS12_S13_EUlS12_E_NS1_11comp_targetILNS1_3genE2ELNS1_11target_archE906ELNS1_3gpuE6ELNS1_3repE0EEENS1_30default_config_static_selectorELNS0_4arch9wavefront6targetE1EEEvT1_.has_dyn_sized_stack, 0
	.set _ZN7rocprim17ROCPRIM_400000_NS6detail17trampoline_kernelINS0_14default_configENS1_25partition_config_selectorILNS1_17partition_subalgoE8EiNS0_10empty_typeEbEEZZNS1_14partition_implILS5_8ELb0ES3_jPKiPS6_PKS6_NS0_5tupleIJPiS6_EEENSE_IJSB_SB_EEENS0_18inequality_wrapperIN6hipcub16HIPCUB_304000_NS8EqualityEEEPlJS6_EEE10hipError_tPvRmT3_T4_T5_T6_T7_T9_mT8_P12ihipStream_tbDpT10_ENKUlT_T0_E_clISt17integral_constantIbLb0EES16_IbLb1EEEEDaS12_S13_EUlS12_E_NS1_11comp_targetILNS1_3genE2ELNS1_11target_archE906ELNS1_3gpuE6ELNS1_3repE0EEENS1_30default_config_static_selectorELNS0_4arch9wavefront6targetE1EEEvT1_.has_recursion, 0
	.set _ZN7rocprim17ROCPRIM_400000_NS6detail17trampoline_kernelINS0_14default_configENS1_25partition_config_selectorILNS1_17partition_subalgoE8EiNS0_10empty_typeEbEEZZNS1_14partition_implILS5_8ELb0ES3_jPKiPS6_PKS6_NS0_5tupleIJPiS6_EEENSE_IJSB_SB_EEENS0_18inequality_wrapperIN6hipcub16HIPCUB_304000_NS8EqualityEEEPlJS6_EEE10hipError_tPvRmT3_T4_T5_T6_T7_T9_mT8_P12ihipStream_tbDpT10_ENKUlT_T0_E_clISt17integral_constantIbLb0EES16_IbLb1EEEEDaS12_S13_EUlS12_E_NS1_11comp_targetILNS1_3genE2ELNS1_11target_archE906ELNS1_3gpuE6ELNS1_3repE0EEENS1_30default_config_static_selectorELNS0_4arch9wavefront6targetE1EEEvT1_.has_indirect_call, 0
	.section	.AMDGPU.csdata,"",@progbits
; Kernel info:
; codeLenInByte = 0
; TotalNumSgprs: 6
; NumVgprs: 0
; NumAgprs: 0
; TotalNumVgprs: 0
; ScratchSize: 0
; MemoryBound: 0
; FloatMode: 240
; IeeeMode: 1
; LDSByteSize: 0 bytes/workgroup (compile time only)
; SGPRBlocks: 0
; VGPRBlocks: 0
; NumSGPRsForWavesPerEU: 6
; NumVGPRsForWavesPerEU: 1
; AccumOffset: 4
; Occupancy: 8
; WaveLimiterHint : 0
; COMPUTE_PGM_RSRC2:SCRATCH_EN: 0
; COMPUTE_PGM_RSRC2:USER_SGPR: 2
; COMPUTE_PGM_RSRC2:TRAP_HANDLER: 0
; COMPUTE_PGM_RSRC2:TGID_X_EN: 1
; COMPUTE_PGM_RSRC2:TGID_Y_EN: 0
; COMPUTE_PGM_RSRC2:TGID_Z_EN: 0
; COMPUTE_PGM_RSRC2:TIDIG_COMP_CNT: 0
; COMPUTE_PGM_RSRC3_GFX90A:ACCUM_OFFSET: 0
; COMPUTE_PGM_RSRC3_GFX90A:TG_SPLIT: 0
	.section	.text._ZN7rocprim17ROCPRIM_400000_NS6detail17trampoline_kernelINS0_14default_configENS1_25partition_config_selectorILNS1_17partition_subalgoE8EiNS0_10empty_typeEbEEZZNS1_14partition_implILS5_8ELb0ES3_jPKiPS6_PKS6_NS0_5tupleIJPiS6_EEENSE_IJSB_SB_EEENS0_18inequality_wrapperIN6hipcub16HIPCUB_304000_NS8EqualityEEEPlJS6_EEE10hipError_tPvRmT3_T4_T5_T6_T7_T9_mT8_P12ihipStream_tbDpT10_ENKUlT_T0_E_clISt17integral_constantIbLb0EES16_IbLb1EEEEDaS12_S13_EUlS12_E_NS1_11comp_targetILNS1_3genE10ELNS1_11target_archE1200ELNS1_3gpuE4ELNS1_3repE0EEENS1_30default_config_static_selectorELNS0_4arch9wavefront6targetE1EEEvT1_,"axG",@progbits,_ZN7rocprim17ROCPRIM_400000_NS6detail17trampoline_kernelINS0_14default_configENS1_25partition_config_selectorILNS1_17partition_subalgoE8EiNS0_10empty_typeEbEEZZNS1_14partition_implILS5_8ELb0ES3_jPKiPS6_PKS6_NS0_5tupleIJPiS6_EEENSE_IJSB_SB_EEENS0_18inequality_wrapperIN6hipcub16HIPCUB_304000_NS8EqualityEEEPlJS6_EEE10hipError_tPvRmT3_T4_T5_T6_T7_T9_mT8_P12ihipStream_tbDpT10_ENKUlT_T0_E_clISt17integral_constantIbLb0EES16_IbLb1EEEEDaS12_S13_EUlS12_E_NS1_11comp_targetILNS1_3genE10ELNS1_11target_archE1200ELNS1_3gpuE4ELNS1_3repE0EEENS1_30default_config_static_selectorELNS0_4arch9wavefront6targetE1EEEvT1_,comdat
	.protected	_ZN7rocprim17ROCPRIM_400000_NS6detail17trampoline_kernelINS0_14default_configENS1_25partition_config_selectorILNS1_17partition_subalgoE8EiNS0_10empty_typeEbEEZZNS1_14partition_implILS5_8ELb0ES3_jPKiPS6_PKS6_NS0_5tupleIJPiS6_EEENSE_IJSB_SB_EEENS0_18inequality_wrapperIN6hipcub16HIPCUB_304000_NS8EqualityEEEPlJS6_EEE10hipError_tPvRmT3_T4_T5_T6_T7_T9_mT8_P12ihipStream_tbDpT10_ENKUlT_T0_E_clISt17integral_constantIbLb0EES16_IbLb1EEEEDaS12_S13_EUlS12_E_NS1_11comp_targetILNS1_3genE10ELNS1_11target_archE1200ELNS1_3gpuE4ELNS1_3repE0EEENS1_30default_config_static_selectorELNS0_4arch9wavefront6targetE1EEEvT1_ ; -- Begin function _ZN7rocprim17ROCPRIM_400000_NS6detail17trampoline_kernelINS0_14default_configENS1_25partition_config_selectorILNS1_17partition_subalgoE8EiNS0_10empty_typeEbEEZZNS1_14partition_implILS5_8ELb0ES3_jPKiPS6_PKS6_NS0_5tupleIJPiS6_EEENSE_IJSB_SB_EEENS0_18inequality_wrapperIN6hipcub16HIPCUB_304000_NS8EqualityEEEPlJS6_EEE10hipError_tPvRmT3_T4_T5_T6_T7_T9_mT8_P12ihipStream_tbDpT10_ENKUlT_T0_E_clISt17integral_constantIbLb0EES16_IbLb1EEEEDaS12_S13_EUlS12_E_NS1_11comp_targetILNS1_3genE10ELNS1_11target_archE1200ELNS1_3gpuE4ELNS1_3repE0EEENS1_30default_config_static_selectorELNS0_4arch9wavefront6targetE1EEEvT1_
	.globl	_ZN7rocprim17ROCPRIM_400000_NS6detail17trampoline_kernelINS0_14default_configENS1_25partition_config_selectorILNS1_17partition_subalgoE8EiNS0_10empty_typeEbEEZZNS1_14partition_implILS5_8ELb0ES3_jPKiPS6_PKS6_NS0_5tupleIJPiS6_EEENSE_IJSB_SB_EEENS0_18inequality_wrapperIN6hipcub16HIPCUB_304000_NS8EqualityEEEPlJS6_EEE10hipError_tPvRmT3_T4_T5_T6_T7_T9_mT8_P12ihipStream_tbDpT10_ENKUlT_T0_E_clISt17integral_constantIbLb0EES16_IbLb1EEEEDaS12_S13_EUlS12_E_NS1_11comp_targetILNS1_3genE10ELNS1_11target_archE1200ELNS1_3gpuE4ELNS1_3repE0EEENS1_30default_config_static_selectorELNS0_4arch9wavefront6targetE1EEEvT1_
	.p2align	8
	.type	_ZN7rocprim17ROCPRIM_400000_NS6detail17trampoline_kernelINS0_14default_configENS1_25partition_config_selectorILNS1_17partition_subalgoE8EiNS0_10empty_typeEbEEZZNS1_14partition_implILS5_8ELb0ES3_jPKiPS6_PKS6_NS0_5tupleIJPiS6_EEENSE_IJSB_SB_EEENS0_18inequality_wrapperIN6hipcub16HIPCUB_304000_NS8EqualityEEEPlJS6_EEE10hipError_tPvRmT3_T4_T5_T6_T7_T9_mT8_P12ihipStream_tbDpT10_ENKUlT_T0_E_clISt17integral_constantIbLb0EES16_IbLb1EEEEDaS12_S13_EUlS12_E_NS1_11comp_targetILNS1_3genE10ELNS1_11target_archE1200ELNS1_3gpuE4ELNS1_3repE0EEENS1_30default_config_static_selectorELNS0_4arch9wavefront6targetE1EEEvT1_,@function
_ZN7rocprim17ROCPRIM_400000_NS6detail17trampoline_kernelINS0_14default_configENS1_25partition_config_selectorILNS1_17partition_subalgoE8EiNS0_10empty_typeEbEEZZNS1_14partition_implILS5_8ELb0ES3_jPKiPS6_PKS6_NS0_5tupleIJPiS6_EEENSE_IJSB_SB_EEENS0_18inequality_wrapperIN6hipcub16HIPCUB_304000_NS8EqualityEEEPlJS6_EEE10hipError_tPvRmT3_T4_T5_T6_T7_T9_mT8_P12ihipStream_tbDpT10_ENKUlT_T0_E_clISt17integral_constantIbLb0EES16_IbLb1EEEEDaS12_S13_EUlS12_E_NS1_11comp_targetILNS1_3genE10ELNS1_11target_archE1200ELNS1_3gpuE4ELNS1_3repE0EEENS1_30default_config_static_selectorELNS0_4arch9wavefront6targetE1EEEvT1_: ; @_ZN7rocprim17ROCPRIM_400000_NS6detail17trampoline_kernelINS0_14default_configENS1_25partition_config_selectorILNS1_17partition_subalgoE8EiNS0_10empty_typeEbEEZZNS1_14partition_implILS5_8ELb0ES3_jPKiPS6_PKS6_NS0_5tupleIJPiS6_EEENSE_IJSB_SB_EEENS0_18inequality_wrapperIN6hipcub16HIPCUB_304000_NS8EqualityEEEPlJS6_EEE10hipError_tPvRmT3_T4_T5_T6_T7_T9_mT8_P12ihipStream_tbDpT10_ENKUlT_T0_E_clISt17integral_constantIbLb0EES16_IbLb1EEEEDaS12_S13_EUlS12_E_NS1_11comp_targetILNS1_3genE10ELNS1_11target_archE1200ELNS1_3gpuE4ELNS1_3repE0EEENS1_30default_config_static_selectorELNS0_4arch9wavefront6targetE1EEEvT1_
; %bb.0:
	.section	.rodata,"a",@progbits
	.p2align	6, 0x0
	.amdhsa_kernel _ZN7rocprim17ROCPRIM_400000_NS6detail17trampoline_kernelINS0_14default_configENS1_25partition_config_selectorILNS1_17partition_subalgoE8EiNS0_10empty_typeEbEEZZNS1_14partition_implILS5_8ELb0ES3_jPKiPS6_PKS6_NS0_5tupleIJPiS6_EEENSE_IJSB_SB_EEENS0_18inequality_wrapperIN6hipcub16HIPCUB_304000_NS8EqualityEEEPlJS6_EEE10hipError_tPvRmT3_T4_T5_T6_T7_T9_mT8_P12ihipStream_tbDpT10_ENKUlT_T0_E_clISt17integral_constantIbLb0EES16_IbLb1EEEEDaS12_S13_EUlS12_E_NS1_11comp_targetILNS1_3genE10ELNS1_11target_archE1200ELNS1_3gpuE4ELNS1_3repE0EEENS1_30default_config_static_selectorELNS0_4arch9wavefront6targetE1EEEvT1_
		.amdhsa_group_segment_fixed_size 0
		.amdhsa_private_segment_fixed_size 0
		.amdhsa_kernarg_size 128
		.amdhsa_user_sgpr_count 2
		.amdhsa_user_sgpr_dispatch_ptr 0
		.amdhsa_user_sgpr_queue_ptr 0
		.amdhsa_user_sgpr_kernarg_segment_ptr 1
		.amdhsa_user_sgpr_dispatch_id 0
		.amdhsa_user_sgpr_kernarg_preload_length 0
		.amdhsa_user_sgpr_kernarg_preload_offset 0
		.amdhsa_user_sgpr_private_segment_size 0
		.amdhsa_uses_dynamic_stack 0
		.amdhsa_enable_private_segment 0
		.amdhsa_system_sgpr_workgroup_id_x 1
		.amdhsa_system_sgpr_workgroup_id_y 0
		.amdhsa_system_sgpr_workgroup_id_z 0
		.amdhsa_system_sgpr_workgroup_info 0
		.amdhsa_system_vgpr_workitem_id 0
		.amdhsa_next_free_vgpr 1
		.amdhsa_next_free_sgpr 0
		.amdhsa_accum_offset 4
		.amdhsa_reserve_vcc 0
		.amdhsa_float_round_mode_32 0
		.amdhsa_float_round_mode_16_64 0
		.amdhsa_float_denorm_mode_32 3
		.amdhsa_float_denorm_mode_16_64 3
		.amdhsa_dx10_clamp 1
		.amdhsa_ieee_mode 1
		.amdhsa_fp16_overflow 0
		.amdhsa_tg_split 0
		.amdhsa_exception_fp_ieee_invalid_op 0
		.amdhsa_exception_fp_denorm_src 0
		.amdhsa_exception_fp_ieee_div_zero 0
		.amdhsa_exception_fp_ieee_overflow 0
		.amdhsa_exception_fp_ieee_underflow 0
		.amdhsa_exception_fp_ieee_inexact 0
		.amdhsa_exception_int_div_zero 0
	.end_amdhsa_kernel
	.section	.text._ZN7rocprim17ROCPRIM_400000_NS6detail17trampoline_kernelINS0_14default_configENS1_25partition_config_selectorILNS1_17partition_subalgoE8EiNS0_10empty_typeEbEEZZNS1_14partition_implILS5_8ELb0ES3_jPKiPS6_PKS6_NS0_5tupleIJPiS6_EEENSE_IJSB_SB_EEENS0_18inequality_wrapperIN6hipcub16HIPCUB_304000_NS8EqualityEEEPlJS6_EEE10hipError_tPvRmT3_T4_T5_T6_T7_T9_mT8_P12ihipStream_tbDpT10_ENKUlT_T0_E_clISt17integral_constantIbLb0EES16_IbLb1EEEEDaS12_S13_EUlS12_E_NS1_11comp_targetILNS1_3genE10ELNS1_11target_archE1200ELNS1_3gpuE4ELNS1_3repE0EEENS1_30default_config_static_selectorELNS0_4arch9wavefront6targetE1EEEvT1_,"axG",@progbits,_ZN7rocprim17ROCPRIM_400000_NS6detail17trampoline_kernelINS0_14default_configENS1_25partition_config_selectorILNS1_17partition_subalgoE8EiNS0_10empty_typeEbEEZZNS1_14partition_implILS5_8ELb0ES3_jPKiPS6_PKS6_NS0_5tupleIJPiS6_EEENSE_IJSB_SB_EEENS0_18inequality_wrapperIN6hipcub16HIPCUB_304000_NS8EqualityEEEPlJS6_EEE10hipError_tPvRmT3_T4_T5_T6_T7_T9_mT8_P12ihipStream_tbDpT10_ENKUlT_T0_E_clISt17integral_constantIbLb0EES16_IbLb1EEEEDaS12_S13_EUlS12_E_NS1_11comp_targetILNS1_3genE10ELNS1_11target_archE1200ELNS1_3gpuE4ELNS1_3repE0EEENS1_30default_config_static_selectorELNS0_4arch9wavefront6targetE1EEEvT1_,comdat
.Lfunc_end218:
	.size	_ZN7rocprim17ROCPRIM_400000_NS6detail17trampoline_kernelINS0_14default_configENS1_25partition_config_selectorILNS1_17partition_subalgoE8EiNS0_10empty_typeEbEEZZNS1_14partition_implILS5_8ELb0ES3_jPKiPS6_PKS6_NS0_5tupleIJPiS6_EEENSE_IJSB_SB_EEENS0_18inequality_wrapperIN6hipcub16HIPCUB_304000_NS8EqualityEEEPlJS6_EEE10hipError_tPvRmT3_T4_T5_T6_T7_T9_mT8_P12ihipStream_tbDpT10_ENKUlT_T0_E_clISt17integral_constantIbLb0EES16_IbLb1EEEEDaS12_S13_EUlS12_E_NS1_11comp_targetILNS1_3genE10ELNS1_11target_archE1200ELNS1_3gpuE4ELNS1_3repE0EEENS1_30default_config_static_selectorELNS0_4arch9wavefront6targetE1EEEvT1_, .Lfunc_end218-_ZN7rocprim17ROCPRIM_400000_NS6detail17trampoline_kernelINS0_14default_configENS1_25partition_config_selectorILNS1_17partition_subalgoE8EiNS0_10empty_typeEbEEZZNS1_14partition_implILS5_8ELb0ES3_jPKiPS6_PKS6_NS0_5tupleIJPiS6_EEENSE_IJSB_SB_EEENS0_18inequality_wrapperIN6hipcub16HIPCUB_304000_NS8EqualityEEEPlJS6_EEE10hipError_tPvRmT3_T4_T5_T6_T7_T9_mT8_P12ihipStream_tbDpT10_ENKUlT_T0_E_clISt17integral_constantIbLb0EES16_IbLb1EEEEDaS12_S13_EUlS12_E_NS1_11comp_targetILNS1_3genE10ELNS1_11target_archE1200ELNS1_3gpuE4ELNS1_3repE0EEENS1_30default_config_static_selectorELNS0_4arch9wavefront6targetE1EEEvT1_
                                        ; -- End function
	.set _ZN7rocprim17ROCPRIM_400000_NS6detail17trampoline_kernelINS0_14default_configENS1_25partition_config_selectorILNS1_17partition_subalgoE8EiNS0_10empty_typeEbEEZZNS1_14partition_implILS5_8ELb0ES3_jPKiPS6_PKS6_NS0_5tupleIJPiS6_EEENSE_IJSB_SB_EEENS0_18inequality_wrapperIN6hipcub16HIPCUB_304000_NS8EqualityEEEPlJS6_EEE10hipError_tPvRmT3_T4_T5_T6_T7_T9_mT8_P12ihipStream_tbDpT10_ENKUlT_T0_E_clISt17integral_constantIbLb0EES16_IbLb1EEEEDaS12_S13_EUlS12_E_NS1_11comp_targetILNS1_3genE10ELNS1_11target_archE1200ELNS1_3gpuE4ELNS1_3repE0EEENS1_30default_config_static_selectorELNS0_4arch9wavefront6targetE1EEEvT1_.num_vgpr, 0
	.set _ZN7rocprim17ROCPRIM_400000_NS6detail17trampoline_kernelINS0_14default_configENS1_25partition_config_selectorILNS1_17partition_subalgoE8EiNS0_10empty_typeEbEEZZNS1_14partition_implILS5_8ELb0ES3_jPKiPS6_PKS6_NS0_5tupleIJPiS6_EEENSE_IJSB_SB_EEENS0_18inequality_wrapperIN6hipcub16HIPCUB_304000_NS8EqualityEEEPlJS6_EEE10hipError_tPvRmT3_T4_T5_T6_T7_T9_mT8_P12ihipStream_tbDpT10_ENKUlT_T0_E_clISt17integral_constantIbLb0EES16_IbLb1EEEEDaS12_S13_EUlS12_E_NS1_11comp_targetILNS1_3genE10ELNS1_11target_archE1200ELNS1_3gpuE4ELNS1_3repE0EEENS1_30default_config_static_selectorELNS0_4arch9wavefront6targetE1EEEvT1_.num_agpr, 0
	.set _ZN7rocprim17ROCPRIM_400000_NS6detail17trampoline_kernelINS0_14default_configENS1_25partition_config_selectorILNS1_17partition_subalgoE8EiNS0_10empty_typeEbEEZZNS1_14partition_implILS5_8ELb0ES3_jPKiPS6_PKS6_NS0_5tupleIJPiS6_EEENSE_IJSB_SB_EEENS0_18inequality_wrapperIN6hipcub16HIPCUB_304000_NS8EqualityEEEPlJS6_EEE10hipError_tPvRmT3_T4_T5_T6_T7_T9_mT8_P12ihipStream_tbDpT10_ENKUlT_T0_E_clISt17integral_constantIbLb0EES16_IbLb1EEEEDaS12_S13_EUlS12_E_NS1_11comp_targetILNS1_3genE10ELNS1_11target_archE1200ELNS1_3gpuE4ELNS1_3repE0EEENS1_30default_config_static_selectorELNS0_4arch9wavefront6targetE1EEEvT1_.numbered_sgpr, 0
	.set _ZN7rocprim17ROCPRIM_400000_NS6detail17trampoline_kernelINS0_14default_configENS1_25partition_config_selectorILNS1_17partition_subalgoE8EiNS0_10empty_typeEbEEZZNS1_14partition_implILS5_8ELb0ES3_jPKiPS6_PKS6_NS0_5tupleIJPiS6_EEENSE_IJSB_SB_EEENS0_18inequality_wrapperIN6hipcub16HIPCUB_304000_NS8EqualityEEEPlJS6_EEE10hipError_tPvRmT3_T4_T5_T6_T7_T9_mT8_P12ihipStream_tbDpT10_ENKUlT_T0_E_clISt17integral_constantIbLb0EES16_IbLb1EEEEDaS12_S13_EUlS12_E_NS1_11comp_targetILNS1_3genE10ELNS1_11target_archE1200ELNS1_3gpuE4ELNS1_3repE0EEENS1_30default_config_static_selectorELNS0_4arch9wavefront6targetE1EEEvT1_.num_named_barrier, 0
	.set _ZN7rocprim17ROCPRIM_400000_NS6detail17trampoline_kernelINS0_14default_configENS1_25partition_config_selectorILNS1_17partition_subalgoE8EiNS0_10empty_typeEbEEZZNS1_14partition_implILS5_8ELb0ES3_jPKiPS6_PKS6_NS0_5tupleIJPiS6_EEENSE_IJSB_SB_EEENS0_18inequality_wrapperIN6hipcub16HIPCUB_304000_NS8EqualityEEEPlJS6_EEE10hipError_tPvRmT3_T4_T5_T6_T7_T9_mT8_P12ihipStream_tbDpT10_ENKUlT_T0_E_clISt17integral_constantIbLb0EES16_IbLb1EEEEDaS12_S13_EUlS12_E_NS1_11comp_targetILNS1_3genE10ELNS1_11target_archE1200ELNS1_3gpuE4ELNS1_3repE0EEENS1_30default_config_static_selectorELNS0_4arch9wavefront6targetE1EEEvT1_.private_seg_size, 0
	.set _ZN7rocprim17ROCPRIM_400000_NS6detail17trampoline_kernelINS0_14default_configENS1_25partition_config_selectorILNS1_17partition_subalgoE8EiNS0_10empty_typeEbEEZZNS1_14partition_implILS5_8ELb0ES3_jPKiPS6_PKS6_NS0_5tupleIJPiS6_EEENSE_IJSB_SB_EEENS0_18inequality_wrapperIN6hipcub16HIPCUB_304000_NS8EqualityEEEPlJS6_EEE10hipError_tPvRmT3_T4_T5_T6_T7_T9_mT8_P12ihipStream_tbDpT10_ENKUlT_T0_E_clISt17integral_constantIbLb0EES16_IbLb1EEEEDaS12_S13_EUlS12_E_NS1_11comp_targetILNS1_3genE10ELNS1_11target_archE1200ELNS1_3gpuE4ELNS1_3repE0EEENS1_30default_config_static_selectorELNS0_4arch9wavefront6targetE1EEEvT1_.uses_vcc, 0
	.set _ZN7rocprim17ROCPRIM_400000_NS6detail17trampoline_kernelINS0_14default_configENS1_25partition_config_selectorILNS1_17partition_subalgoE8EiNS0_10empty_typeEbEEZZNS1_14partition_implILS5_8ELb0ES3_jPKiPS6_PKS6_NS0_5tupleIJPiS6_EEENSE_IJSB_SB_EEENS0_18inequality_wrapperIN6hipcub16HIPCUB_304000_NS8EqualityEEEPlJS6_EEE10hipError_tPvRmT3_T4_T5_T6_T7_T9_mT8_P12ihipStream_tbDpT10_ENKUlT_T0_E_clISt17integral_constantIbLb0EES16_IbLb1EEEEDaS12_S13_EUlS12_E_NS1_11comp_targetILNS1_3genE10ELNS1_11target_archE1200ELNS1_3gpuE4ELNS1_3repE0EEENS1_30default_config_static_selectorELNS0_4arch9wavefront6targetE1EEEvT1_.uses_flat_scratch, 0
	.set _ZN7rocprim17ROCPRIM_400000_NS6detail17trampoline_kernelINS0_14default_configENS1_25partition_config_selectorILNS1_17partition_subalgoE8EiNS0_10empty_typeEbEEZZNS1_14partition_implILS5_8ELb0ES3_jPKiPS6_PKS6_NS0_5tupleIJPiS6_EEENSE_IJSB_SB_EEENS0_18inequality_wrapperIN6hipcub16HIPCUB_304000_NS8EqualityEEEPlJS6_EEE10hipError_tPvRmT3_T4_T5_T6_T7_T9_mT8_P12ihipStream_tbDpT10_ENKUlT_T0_E_clISt17integral_constantIbLb0EES16_IbLb1EEEEDaS12_S13_EUlS12_E_NS1_11comp_targetILNS1_3genE10ELNS1_11target_archE1200ELNS1_3gpuE4ELNS1_3repE0EEENS1_30default_config_static_selectorELNS0_4arch9wavefront6targetE1EEEvT1_.has_dyn_sized_stack, 0
	.set _ZN7rocprim17ROCPRIM_400000_NS6detail17trampoline_kernelINS0_14default_configENS1_25partition_config_selectorILNS1_17partition_subalgoE8EiNS0_10empty_typeEbEEZZNS1_14partition_implILS5_8ELb0ES3_jPKiPS6_PKS6_NS0_5tupleIJPiS6_EEENSE_IJSB_SB_EEENS0_18inequality_wrapperIN6hipcub16HIPCUB_304000_NS8EqualityEEEPlJS6_EEE10hipError_tPvRmT3_T4_T5_T6_T7_T9_mT8_P12ihipStream_tbDpT10_ENKUlT_T0_E_clISt17integral_constantIbLb0EES16_IbLb1EEEEDaS12_S13_EUlS12_E_NS1_11comp_targetILNS1_3genE10ELNS1_11target_archE1200ELNS1_3gpuE4ELNS1_3repE0EEENS1_30default_config_static_selectorELNS0_4arch9wavefront6targetE1EEEvT1_.has_recursion, 0
	.set _ZN7rocprim17ROCPRIM_400000_NS6detail17trampoline_kernelINS0_14default_configENS1_25partition_config_selectorILNS1_17partition_subalgoE8EiNS0_10empty_typeEbEEZZNS1_14partition_implILS5_8ELb0ES3_jPKiPS6_PKS6_NS0_5tupleIJPiS6_EEENSE_IJSB_SB_EEENS0_18inequality_wrapperIN6hipcub16HIPCUB_304000_NS8EqualityEEEPlJS6_EEE10hipError_tPvRmT3_T4_T5_T6_T7_T9_mT8_P12ihipStream_tbDpT10_ENKUlT_T0_E_clISt17integral_constantIbLb0EES16_IbLb1EEEEDaS12_S13_EUlS12_E_NS1_11comp_targetILNS1_3genE10ELNS1_11target_archE1200ELNS1_3gpuE4ELNS1_3repE0EEENS1_30default_config_static_selectorELNS0_4arch9wavefront6targetE1EEEvT1_.has_indirect_call, 0
	.section	.AMDGPU.csdata,"",@progbits
; Kernel info:
; codeLenInByte = 0
; TotalNumSgprs: 6
; NumVgprs: 0
; NumAgprs: 0
; TotalNumVgprs: 0
; ScratchSize: 0
; MemoryBound: 0
; FloatMode: 240
; IeeeMode: 1
; LDSByteSize: 0 bytes/workgroup (compile time only)
; SGPRBlocks: 0
; VGPRBlocks: 0
; NumSGPRsForWavesPerEU: 6
; NumVGPRsForWavesPerEU: 1
; AccumOffset: 4
; Occupancy: 8
; WaveLimiterHint : 0
; COMPUTE_PGM_RSRC2:SCRATCH_EN: 0
; COMPUTE_PGM_RSRC2:USER_SGPR: 2
; COMPUTE_PGM_RSRC2:TRAP_HANDLER: 0
; COMPUTE_PGM_RSRC2:TGID_X_EN: 1
; COMPUTE_PGM_RSRC2:TGID_Y_EN: 0
; COMPUTE_PGM_RSRC2:TGID_Z_EN: 0
; COMPUTE_PGM_RSRC2:TIDIG_COMP_CNT: 0
; COMPUTE_PGM_RSRC3_GFX90A:ACCUM_OFFSET: 0
; COMPUTE_PGM_RSRC3_GFX90A:TG_SPLIT: 0
	.section	.text._ZN7rocprim17ROCPRIM_400000_NS6detail17trampoline_kernelINS0_14default_configENS1_25partition_config_selectorILNS1_17partition_subalgoE8EiNS0_10empty_typeEbEEZZNS1_14partition_implILS5_8ELb0ES3_jPKiPS6_PKS6_NS0_5tupleIJPiS6_EEENSE_IJSB_SB_EEENS0_18inequality_wrapperIN6hipcub16HIPCUB_304000_NS8EqualityEEEPlJS6_EEE10hipError_tPvRmT3_T4_T5_T6_T7_T9_mT8_P12ihipStream_tbDpT10_ENKUlT_T0_E_clISt17integral_constantIbLb0EES16_IbLb1EEEEDaS12_S13_EUlS12_E_NS1_11comp_targetILNS1_3genE9ELNS1_11target_archE1100ELNS1_3gpuE3ELNS1_3repE0EEENS1_30default_config_static_selectorELNS0_4arch9wavefront6targetE1EEEvT1_,"axG",@progbits,_ZN7rocprim17ROCPRIM_400000_NS6detail17trampoline_kernelINS0_14default_configENS1_25partition_config_selectorILNS1_17partition_subalgoE8EiNS0_10empty_typeEbEEZZNS1_14partition_implILS5_8ELb0ES3_jPKiPS6_PKS6_NS0_5tupleIJPiS6_EEENSE_IJSB_SB_EEENS0_18inequality_wrapperIN6hipcub16HIPCUB_304000_NS8EqualityEEEPlJS6_EEE10hipError_tPvRmT3_T4_T5_T6_T7_T9_mT8_P12ihipStream_tbDpT10_ENKUlT_T0_E_clISt17integral_constantIbLb0EES16_IbLb1EEEEDaS12_S13_EUlS12_E_NS1_11comp_targetILNS1_3genE9ELNS1_11target_archE1100ELNS1_3gpuE3ELNS1_3repE0EEENS1_30default_config_static_selectorELNS0_4arch9wavefront6targetE1EEEvT1_,comdat
	.protected	_ZN7rocprim17ROCPRIM_400000_NS6detail17trampoline_kernelINS0_14default_configENS1_25partition_config_selectorILNS1_17partition_subalgoE8EiNS0_10empty_typeEbEEZZNS1_14partition_implILS5_8ELb0ES3_jPKiPS6_PKS6_NS0_5tupleIJPiS6_EEENSE_IJSB_SB_EEENS0_18inequality_wrapperIN6hipcub16HIPCUB_304000_NS8EqualityEEEPlJS6_EEE10hipError_tPvRmT3_T4_T5_T6_T7_T9_mT8_P12ihipStream_tbDpT10_ENKUlT_T0_E_clISt17integral_constantIbLb0EES16_IbLb1EEEEDaS12_S13_EUlS12_E_NS1_11comp_targetILNS1_3genE9ELNS1_11target_archE1100ELNS1_3gpuE3ELNS1_3repE0EEENS1_30default_config_static_selectorELNS0_4arch9wavefront6targetE1EEEvT1_ ; -- Begin function _ZN7rocprim17ROCPRIM_400000_NS6detail17trampoline_kernelINS0_14default_configENS1_25partition_config_selectorILNS1_17partition_subalgoE8EiNS0_10empty_typeEbEEZZNS1_14partition_implILS5_8ELb0ES3_jPKiPS6_PKS6_NS0_5tupleIJPiS6_EEENSE_IJSB_SB_EEENS0_18inequality_wrapperIN6hipcub16HIPCUB_304000_NS8EqualityEEEPlJS6_EEE10hipError_tPvRmT3_T4_T5_T6_T7_T9_mT8_P12ihipStream_tbDpT10_ENKUlT_T0_E_clISt17integral_constantIbLb0EES16_IbLb1EEEEDaS12_S13_EUlS12_E_NS1_11comp_targetILNS1_3genE9ELNS1_11target_archE1100ELNS1_3gpuE3ELNS1_3repE0EEENS1_30default_config_static_selectorELNS0_4arch9wavefront6targetE1EEEvT1_
	.globl	_ZN7rocprim17ROCPRIM_400000_NS6detail17trampoline_kernelINS0_14default_configENS1_25partition_config_selectorILNS1_17partition_subalgoE8EiNS0_10empty_typeEbEEZZNS1_14partition_implILS5_8ELb0ES3_jPKiPS6_PKS6_NS0_5tupleIJPiS6_EEENSE_IJSB_SB_EEENS0_18inequality_wrapperIN6hipcub16HIPCUB_304000_NS8EqualityEEEPlJS6_EEE10hipError_tPvRmT3_T4_T5_T6_T7_T9_mT8_P12ihipStream_tbDpT10_ENKUlT_T0_E_clISt17integral_constantIbLb0EES16_IbLb1EEEEDaS12_S13_EUlS12_E_NS1_11comp_targetILNS1_3genE9ELNS1_11target_archE1100ELNS1_3gpuE3ELNS1_3repE0EEENS1_30default_config_static_selectorELNS0_4arch9wavefront6targetE1EEEvT1_
	.p2align	8
	.type	_ZN7rocprim17ROCPRIM_400000_NS6detail17trampoline_kernelINS0_14default_configENS1_25partition_config_selectorILNS1_17partition_subalgoE8EiNS0_10empty_typeEbEEZZNS1_14partition_implILS5_8ELb0ES3_jPKiPS6_PKS6_NS0_5tupleIJPiS6_EEENSE_IJSB_SB_EEENS0_18inequality_wrapperIN6hipcub16HIPCUB_304000_NS8EqualityEEEPlJS6_EEE10hipError_tPvRmT3_T4_T5_T6_T7_T9_mT8_P12ihipStream_tbDpT10_ENKUlT_T0_E_clISt17integral_constantIbLb0EES16_IbLb1EEEEDaS12_S13_EUlS12_E_NS1_11comp_targetILNS1_3genE9ELNS1_11target_archE1100ELNS1_3gpuE3ELNS1_3repE0EEENS1_30default_config_static_selectorELNS0_4arch9wavefront6targetE1EEEvT1_,@function
_ZN7rocprim17ROCPRIM_400000_NS6detail17trampoline_kernelINS0_14default_configENS1_25partition_config_selectorILNS1_17partition_subalgoE8EiNS0_10empty_typeEbEEZZNS1_14partition_implILS5_8ELb0ES3_jPKiPS6_PKS6_NS0_5tupleIJPiS6_EEENSE_IJSB_SB_EEENS0_18inequality_wrapperIN6hipcub16HIPCUB_304000_NS8EqualityEEEPlJS6_EEE10hipError_tPvRmT3_T4_T5_T6_T7_T9_mT8_P12ihipStream_tbDpT10_ENKUlT_T0_E_clISt17integral_constantIbLb0EES16_IbLb1EEEEDaS12_S13_EUlS12_E_NS1_11comp_targetILNS1_3genE9ELNS1_11target_archE1100ELNS1_3gpuE3ELNS1_3repE0EEENS1_30default_config_static_selectorELNS0_4arch9wavefront6targetE1EEEvT1_: ; @_ZN7rocprim17ROCPRIM_400000_NS6detail17trampoline_kernelINS0_14default_configENS1_25partition_config_selectorILNS1_17partition_subalgoE8EiNS0_10empty_typeEbEEZZNS1_14partition_implILS5_8ELb0ES3_jPKiPS6_PKS6_NS0_5tupleIJPiS6_EEENSE_IJSB_SB_EEENS0_18inequality_wrapperIN6hipcub16HIPCUB_304000_NS8EqualityEEEPlJS6_EEE10hipError_tPvRmT3_T4_T5_T6_T7_T9_mT8_P12ihipStream_tbDpT10_ENKUlT_T0_E_clISt17integral_constantIbLb0EES16_IbLb1EEEEDaS12_S13_EUlS12_E_NS1_11comp_targetILNS1_3genE9ELNS1_11target_archE1100ELNS1_3gpuE3ELNS1_3repE0EEENS1_30default_config_static_selectorELNS0_4arch9wavefront6targetE1EEEvT1_
; %bb.0:
	.section	.rodata,"a",@progbits
	.p2align	6, 0x0
	.amdhsa_kernel _ZN7rocprim17ROCPRIM_400000_NS6detail17trampoline_kernelINS0_14default_configENS1_25partition_config_selectorILNS1_17partition_subalgoE8EiNS0_10empty_typeEbEEZZNS1_14partition_implILS5_8ELb0ES3_jPKiPS6_PKS6_NS0_5tupleIJPiS6_EEENSE_IJSB_SB_EEENS0_18inequality_wrapperIN6hipcub16HIPCUB_304000_NS8EqualityEEEPlJS6_EEE10hipError_tPvRmT3_T4_T5_T6_T7_T9_mT8_P12ihipStream_tbDpT10_ENKUlT_T0_E_clISt17integral_constantIbLb0EES16_IbLb1EEEEDaS12_S13_EUlS12_E_NS1_11comp_targetILNS1_3genE9ELNS1_11target_archE1100ELNS1_3gpuE3ELNS1_3repE0EEENS1_30default_config_static_selectorELNS0_4arch9wavefront6targetE1EEEvT1_
		.amdhsa_group_segment_fixed_size 0
		.amdhsa_private_segment_fixed_size 0
		.amdhsa_kernarg_size 128
		.amdhsa_user_sgpr_count 2
		.amdhsa_user_sgpr_dispatch_ptr 0
		.amdhsa_user_sgpr_queue_ptr 0
		.amdhsa_user_sgpr_kernarg_segment_ptr 1
		.amdhsa_user_sgpr_dispatch_id 0
		.amdhsa_user_sgpr_kernarg_preload_length 0
		.amdhsa_user_sgpr_kernarg_preload_offset 0
		.amdhsa_user_sgpr_private_segment_size 0
		.amdhsa_uses_dynamic_stack 0
		.amdhsa_enable_private_segment 0
		.amdhsa_system_sgpr_workgroup_id_x 1
		.amdhsa_system_sgpr_workgroup_id_y 0
		.amdhsa_system_sgpr_workgroup_id_z 0
		.amdhsa_system_sgpr_workgroup_info 0
		.amdhsa_system_vgpr_workitem_id 0
		.amdhsa_next_free_vgpr 1
		.amdhsa_next_free_sgpr 0
		.amdhsa_accum_offset 4
		.amdhsa_reserve_vcc 0
		.amdhsa_float_round_mode_32 0
		.amdhsa_float_round_mode_16_64 0
		.amdhsa_float_denorm_mode_32 3
		.amdhsa_float_denorm_mode_16_64 3
		.amdhsa_dx10_clamp 1
		.amdhsa_ieee_mode 1
		.amdhsa_fp16_overflow 0
		.amdhsa_tg_split 0
		.amdhsa_exception_fp_ieee_invalid_op 0
		.amdhsa_exception_fp_denorm_src 0
		.amdhsa_exception_fp_ieee_div_zero 0
		.amdhsa_exception_fp_ieee_overflow 0
		.amdhsa_exception_fp_ieee_underflow 0
		.amdhsa_exception_fp_ieee_inexact 0
		.amdhsa_exception_int_div_zero 0
	.end_amdhsa_kernel
	.section	.text._ZN7rocprim17ROCPRIM_400000_NS6detail17trampoline_kernelINS0_14default_configENS1_25partition_config_selectorILNS1_17partition_subalgoE8EiNS0_10empty_typeEbEEZZNS1_14partition_implILS5_8ELb0ES3_jPKiPS6_PKS6_NS0_5tupleIJPiS6_EEENSE_IJSB_SB_EEENS0_18inequality_wrapperIN6hipcub16HIPCUB_304000_NS8EqualityEEEPlJS6_EEE10hipError_tPvRmT3_T4_T5_T6_T7_T9_mT8_P12ihipStream_tbDpT10_ENKUlT_T0_E_clISt17integral_constantIbLb0EES16_IbLb1EEEEDaS12_S13_EUlS12_E_NS1_11comp_targetILNS1_3genE9ELNS1_11target_archE1100ELNS1_3gpuE3ELNS1_3repE0EEENS1_30default_config_static_selectorELNS0_4arch9wavefront6targetE1EEEvT1_,"axG",@progbits,_ZN7rocprim17ROCPRIM_400000_NS6detail17trampoline_kernelINS0_14default_configENS1_25partition_config_selectorILNS1_17partition_subalgoE8EiNS0_10empty_typeEbEEZZNS1_14partition_implILS5_8ELb0ES3_jPKiPS6_PKS6_NS0_5tupleIJPiS6_EEENSE_IJSB_SB_EEENS0_18inequality_wrapperIN6hipcub16HIPCUB_304000_NS8EqualityEEEPlJS6_EEE10hipError_tPvRmT3_T4_T5_T6_T7_T9_mT8_P12ihipStream_tbDpT10_ENKUlT_T0_E_clISt17integral_constantIbLb0EES16_IbLb1EEEEDaS12_S13_EUlS12_E_NS1_11comp_targetILNS1_3genE9ELNS1_11target_archE1100ELNS1_3gpuE3ELNS1_3repE0EEENS1_30default_config_static_selectorELNS0_4arch9wavefront6targetE1EEEvT1_,comdat
.Lfunc_end219:
	.size	_ZN7rocprim17ROCPRIM_400000_NS6detail17trampoline_kernelINS0_14default_configENS1_25partition_config_selectorILNS1_17partition_subalgoE8EiNS0_10empty_typeEbEEZZNS1_14partition_implILS5_8ELb0ES3_jPKiPS6_PKS6_NS0_5tupleIJPiS6_EEENSE_IJSB_SB_EEENS0_18inequality_wrapperIN6hipcub16HIPCUB_304000_NS8EqualityEEEPlJS6_EEE10hipError_tPvRmT3_T4_T5_T6_T7_T9_mT8_P12ihipStream_tbDpT10_ENKUlT_T0_E_clISt17integral_constantIbLb0EES16_IbLb1EEEEDaS12_S13_EUlS12_E_NS1_11comp_targetILNS1_3genE9ELNS1_11target_archE1100ELNS1_3gpuE3ELNS1_3repE0EEENS1_30default_config_static_selectorELNS0_4arch9wavefront6targetE1EEEvT1_, .Lfunc_end219-_ZN7rocprim17ROCPRIM_400000_NS6detail17trampoline_kernelINS0_14default_configENS1_25partition_config_selectorILNS1_17partition_subalgoE8EiNS0_10empty_typeEbEEZZNS1_14partition_implILS5_8ELb0ES3_jPKiPS6_PKS6_NS0_5tupleIJPiS6_EEENSE_IJSB_SB_EEENS0_18inequality_wrapperIN6hipcub16HIPCUB_304000_NS8EqualityEEEPlJS6_EEE10hipError_tPvRmT3_T4_T5_T6_T7_T9_mT8_P12ihipStream_tbDpT10_ENKUlT_T0_E_clISt17integral_constantIbLb0EES16_IbLb1EEEEDaS12_S13_EUlS12_E_NS1_11comp_targetILNS1_3genE9ELNS1_11target_archE1100ELNS1_3gpuE3ELNS1_3repE0EEENS1_30default_config_static_selectorELNS0_4arch9wavefront6targetE1EEEvT1_
                                        ; -- End function
	.set _ZN7rocprim17ROCPRIM_400000_NS6detail17trampoline_kernelINS0_14default_configENS1_25partition_config_selectorILNS1_17partition_subalgoE8EiNS0_10empty_typeEbEEZZNS1_14partition_implILS5_8ELb0ES3_jPKiPS6_PKS6_NS0_5tupleIJPiS6_EEENSE_IJSB_SB_EEENS0_18inequality_wrapperIN6hipcub16HIPCUB_304000_NS8EqualityEEEPlJS6_EEE10hipError_tPvRmT3_T4_T5_T6_T7_T9_mT8_P12ihipStream_tbDpT10_ENKUlT_T0_E_clISt17integral_constantIbLb0EES16_IbLb1EEEEDaS12_S13_EUlS12_E_NS1_11comp_targetILNS1_3genE9ELNS1_11target_archE1100ELNS1_3gpuE3ELNS1_3repE0EEENS1_30default_config_static_selectorELNS0_4arch9wavefront6targetE1EEEvT1_.num_vgpr, 0
	.set _ZN7rocprim17ROCPRIM_400000_NS6detail17trampoline_kernelINS0_14default_configENS1_25partition_config_selectorILNS1_17partition_subalgoE8EiNS0_10empty_typeEbEEZZNS1_14partition_implILS5_8ELb0ES3_jPKiPS6_PKS6_NS0_5tupleIJPiS6_EEENSE_IJSB_SB_EEENS0_18inequality_wrapperIN6hipcub16HIPCUB_304000_NS8EqualityEEEPlJS6_EEE10hipError_tPvRmT3_T4_T5_T6_T7_T9_mT8_P12ihipStream_tbDpT10_ENKUlT_T0_E_clISt17integral_constantIbLb0EES16_IbLb1EEEEDaS12_S13_EUlS12_E_NS1_11comp_targetILNS1_3genE9ELNS1_11target_archE1100ELNS1_3gpuE3ELNS1_3repE0EEENS1_30default_config_static_selectorELNS0_4arch9wavefront6targetE1EEEvT1_.num_agpr, 0
	.set _ZN7rocprim17ROCPRIM_400000_NS6detail17trampoline_kernelINS0_14default_configENS1_25partition_config_selectorILNS1_17partition_subalgoE8EiNS0_10empty_typeEbEEZZNS1_14partition_implILS5_8ELb0ES3_jPKiPS6_PKS6_NS0_5tupleIJPiS6_EEENSE_IJSB_SB_EEENS0_18inequality_wrapperIN6hipcub16HIPCUB_304000_NS8EqualityEEEPlJS6_EEE10hipError_tPvRmT3_T4_T5_T6_T7_T9_mT8_P12ihipStream_tbDpT10_ENKUlT_T0_E_clISt17integral_constantIbLb0EES16_IbLb1EEEEDaS12_S13_EUlS12_E_NS1_11comp_targetILNS1_3genE9ELNS1_11target_archE1100ELNS1_3gpuE3ELNS1_3repE0EEENS1_30default_config_static_selectorELNS0_4arch9wavefront6targetE1EEEvT1_.numbered_sgpr, 0
	.set _ZN7rocprim17ROCPRIM_400000_NS6detail17trampoline_kernelINS0_14default_configENS1_25partition_config_selectorILNS1_17partition_subalgoE8EiNS0_10empty_typeEbEEZZNS1_14partition_implILS5_8ELb0ES3_jPKiPS6_PKS6_NS0_5tupleIJPiS6_EEENSE_IJSB_SB_EEENS0_18inequality_wrapperIN6hipcub16HIPCUB_304000_NS8EqualityEEEPlJS6_EEE10hipError_tPvRmT3_T4_T5_T6_T7_T9_mT8_P12ihipStream_tbDpT10_ENKUlT_T0_E_clISt17integral_constantIbLb0EES16_IbLb1EEEEDaS12_S13_EUlS12_E_NS1_11comp_targetILNS1_3genE9ELNS1_11target_archE1100ELNS1_3gpuE3ELNS1_3repE0EEENS1_30default_config_static_selectorELNS0_4arch9wavefront6targetE1EEEvT1_.num_named_barrier, 0
	.set _ZN7rocprim17ROCPRIM_400000_NS6detail17trampoline_kernelINS0_14default_configENS1_25partition_config_selectorILNS1_17partition_subalgoE8EiNS0_10empty_typeEbEEZZNS1_14partition_implILS5_8ELb0ES3_jPKiPS6_PKS6_NS0_5tupleIJPiS6_EEENSE_IJSB_SB_EEENS0_18inequality_wrapperIN6hipcub16HIPCUB_304000_NS8EqualityEEEPlJS6_EEE10hipError_tPvRmT3_T4_T5_T6_T7_T9_mT8_P12ihipStream_tbDpT10_ENKUlT_T0_E_clISt17integral_constantIbLb0EES16_IbLb1EEEEDaS12_S13_EUlS12_E_NS1_11comp_targetILNS1_3genE9ELNS1_11target_archE1100ELNS1_3gpuE3ELNS1_3repE0EEENS1_30default_config_static_selectorELNS0_4arch9wavefront6targetE1EEEvT1_.private_seg_size, 0
	.set _ZN7rocprim17ROCPRIM_400000_NS6detail17trampoline_kernelINS0_14default_configENS1_25partition_config_selectorILNS1_17partition_subalgoE8EiNS0_10empty_typeEbEEZZNS1_14partition_implILS5_8ELb0ES3_jPKiPS6_PKS6_NS0_5tupleIJPiS6_EEENSE_IJSB_SB_EEENS0_18inequality_wrapperIN6hipcub16HIPCUB_304000_NS8EqualityEEEPlJS6_EEE10hipError_tPvRmT3_T4_T5_T6_T7_T9_mT8_P12ihipStream_tbDpT10_ENKUlT_T0_E_clISt17integral_constantIbLb0EES16_IbLb1EEEEDaS12_S13_EUlS12_E_NS1_11comp_targetILNS1_3genE9ELNS1_11target_archE1100ELNS1_3gpuE3ELNS1_3repE0EEENS1_30default_config_static_selectorELNS0_4arch9wavefront6targetE1EEEvT1_.uses_vcc, 0
	.set _ZN7rocprim17ROCPRIM_400000_NS6detail17trampoline_kernelINS0_14default_configENS1_25partition_config_selectorILNS1_17partition_subalgoE8EiNS0_10empty_typeEbEEZZNS1_14partition_implILS5_8ELb0ES3_jPKiPS6_PKS6_NS0_5tupleIJPiS6_EEENSE_IJSB_SB_EEENS0_18inequality_wrapperIN6hipcub16HIPCUB_304000_NS8EqualityEEEPlJS6_EEE10hipError_tPvRmT3_T4_T5_T6_T7_T9_mT8_P12ihipStream_tbDpT10_ENKUlT_T0_E_clISt17integral_constantIbLb0EES16_IbLb1EEEEDaS12_S13_EUlS12_E_NS1_11comp_targetILNS1_3genE9ELNS1_11target_archE1100ELNS1_3gpuE3ELNS1_3repE0EEENS1_30default_config_static_selectorELNS0_4arch9wavefront6targetE1EEEvT1_.uses_flat_scratch, 0
	.set _ZN7rocprim17ROCPRIM_400000_NS6detail17trampoline_kernelINS0_14default_configENS1_25partition_config_selectorILNS1_17partition_subalgoE8EiNS0_10empty_typeEbEEZZNS1_14partition_implILS5_8ELb0ES3_jPKiPS6_PKS6_NS0_5tupleIJPiS6_EEENSE_IJSB_SB_EEENS0_18inequality_wrapperIN6hipcub16HIPCUB_304000_NS8EqualityEEEPlJS6_EEE10hipError_tPvRmT3_T4_T5_T6_T7_T9_mT8_P12ihipStream_tbDpT10_ENKUlT_T0_E_clISt17integral_constantIbLb0EES16_IbLb1EEEEDaS12_S13_EUlS12_E_NS1_11comp_targetILNS1_3genE9ELNS1_11target_archE1100ELNS1_3gpuE3ELNS1_3repE0EEENS1_30default_config_static_selectorELNS0_4arch9wavefront6targetE1EEEvT1_.has_dyn_sized_stack, 0
	.set _ZN7rocprim17ROCPRIM_400000_NS6detail17trampoline_kernelINS0_14default_configENS1_25partition_config_selectorILNS1_17partition_subalgoE8EiNS0_10empty_typeEbEEZZNS1_14partition_implILS5_8ELb0ES3_jPKiPS6_PKS6_NS0_5tupleIJPiS6_EEENSE_IJSB_SB_EEENS0_18inequality_wrapperIN6hipcub16HIPCUB_304000_NS8EqualityEEEPlJS6_EEE10hipError_tPvRmT3_T4_T5_T6_T7_T9_mT8_P12ihipStream_tbDpT10_ENKUlT_T0_E_clISt17integral_constantIbLb0EES16_IbLb1EEEEDaS12_S13_EUlS12_E_NS1_11comp_targetILNS1_3genE9ELNS1_11target_archE1100ELNS1_3gpuE3ELNS1_3repE0EEENS1_30default_config_static_selectorELNS0_4arch9wavefront6targetE1EEEvT1_.has_recursion, 0
	.set _ZN7rocprim17ROCPRIM_400000_NS6detail17trampoline_kernelINS0_14default_configENS1_25partition_config_selectorILNS1_17partition_subalgoE8EiNS0_10empty_typeEbEEZZNS1_14partition_implILS5_8ELb0ES3_jPKiPS6_PKS6_NS0_5tupleIJPiS6_EEENSE_IJSB_SB_EEENS0_18inequality_wrapperIN6hipcub16HIPCUB_304000_NS8EqualityEEEPlJS6_EEE10hipError_tPvRmT3_T4_T5_T6_T7_T9_mT8_P12ihipStream_tbDpT10_ENKUlT_T0_E_clISt17integral_constantIbLb0EES16_IbLb1EEEEDaS12_S13_EUlS12_E_NS1_11comp_targetILNS1_3genE9ELNS1_11target_archE1100ELNS1_3gpuE3ELNS1_3repE0EEENS1_30default_config_static_selectorELNS0_4arch9wavefront6targetE1EEEvT1_.has_indirect_call, 0
	.section	.AMDGPU.csdata,"",@progbits
; Kernel info:
; codeLenInByte = 0
; TotalNumSgprs: 6
; NumVgprs: 0
; NumAgprs: 0
; TotalNumVgprs: 0
; ScratchSize: 0
; MemoryBound: 0
; FloatMode: 240
; IeeeMode: 1
; LDSByteSize: 0 bytes/workgroup (compile time only)
; SGPRBlocks: 0
; VGPRBlocks: 0
; NumSGPRsForWavesPerEU: 6
; NumVGPRsForWavesPerEU: 1
; AccumOffset: 4
; Occupancy: 8
; WaveLimiterHint : 0
; COMPUTE_PGM_RSRC2:SCRATCH_EN: 0
; COMPUTE_PGM_RSRC2:USER_SGPR: 2
; COMPUTE_PGM_RSRC2:TRAP_HANDLER: 0
; COMPUTE_PGM_RSRC2:TGID_X_EN: 1
; COMPUTE_PGM_RSRC2:TGID_Y_EN: 0
; COMPUTE_PGM_RSRC2:TGID_Z_EN: 0
; COMPUTE_PGM_RSRC2:TIDIG_COMP_CNT: 0
; COMPUTE_PGM_RSRC3_GFX90A:ACCUM_OFFSET: 0
; COMPUTE_PGM_RSRC3_GFX90A:TG_SPLIT: 0
	.section	.text._ZN7rocprim17ROCPRIM_400000_NS6detail17trampoline_kernelINS0_14default_configENS1_25partition_config_selectorILNS1_17partition_subalgoE8EiNS0_10empty_typeEbEEZZNS1_14partition_implILS5_8ELb0ES3_jPKiPS6_PKS6_NS0_5tupleIJPiS6_EEENSE_IJSB_SB_EEENS0_18inequality_wrapperIN6hipcub16HIPCUB_304000_NS8EqualityEEEPlJS6_EEE10hipError_tPvRmT3_T4_T5_T6_T7_T9_mT8_P12ihipStream_tbDpT10_ENKUlT_T0_E_clISt17integral_constantIbLb0EES16_IbLb1EEEEDaS12_S13_EUlS12_E_NS1_11comp_targetILNS1_3genE8ELNS1_11target_archE1030ELNS1_3gpuE2ELNS1_3repE0EEENS1_30default_config_static_selectorELNS0_4arch9wavefront6targetE1EEEvT1_,"axG",@progbits,_ZN7rocprim17ROCPRIM_400000_NS6detail17trampoline_kernelINS0_14default_configENS1_25partition_config_selectorILNS1_17partition_subalgoE8EiNS0_10empty_typeEbEEZZNS1_14partition_implILS5_8ELb0ES3_jPKiPS6_PKS6_NS0_5tupleIJPiS6_EEENSE_IJSB_SB_EEENS0_18inequality_wrapperIN6hipcub16HIPCUB_304000_NS8EqualityEEEPlJS6_EEE10hipError_tPvRmT3_T4_T5_T6_T7_T9_mT8_P12ihipStream_tbDpT10_ENKUlT_T0_E_clISt17integral_constantIbLb0EES16_IbLb1EEEEDaS12_S13_EUlS12_E_NS1_11comp_targetILNS1_3genE8ELNS1_11target_archE1030ELNS1_3gpuE2ELNS1_3repE0EEENS1_30default_config_static_selectorELNS0_4arch9wavefront6targetE1EEEvT1_,comdat
	.protected	_ZN7rocprim17ROCPRIM_400000_NS6detail17trampoline_kernelINS0_14default_configENS1_25partition_config_selectorILNS1_17partition_subalgoE8EiNS0_10empty_typeEbEEZZNS1_14partition_implILS5_8ELb0ES3_jPKiPS6_PKS6_NS0_5tupleIJPiS6_EEENSE_IJSB_SB_EEENS0_18inequality_wrapperIN6hipcub16HIPCUB_304000_NS8EqualityEEEPlJS6_EEE10hipError_tPvRmT3_T4_T5_T6_T7_T9_mT8_P12ihipStream_tbDpT10_ENKUlT_T0_E_clISt17integral_constantIbLb0EES16_IbLb1EEEEDaS12_S13_EUlS12_E_NS1_11comp_targetILNS1_3genE8ELNS1_11target_archE1030ELNS1_3gpuE2ELNS1_3repE0EEENS1_30default_config_static_selectorELNS0_4arch9wavefront6targetE1EEEvT1_ ; -- Begin function _ZN7rocprim17ROCPRIM_400000_NS6detail17trampoline_kernelINS0_14default_configENS1_25partition_config_selectorILNS1_17partition_subalgoE8EiNS0_10empty_typeEbEEZZNS1_14partition_implILS5_8ELb0ES3_jPKiPS6_PKS6_NS0_5tupleIJPiS6_EEENSE_IJSB_SB_EEENS0_18inequality_wrapperIN6hipcub16HIPCUB_304000_NS8EqualityEEEPlJS6_EEE10hipError_tPvRmT3_T4_T5_T6_T7_T9_mT8_P12ihipStream_tbDpT10_ENKUlT_T0_E_clISt17integral_constantIbLb0EES16_IbLb1EEEEDaS12_S13_EUlS12_E_NS1_11comp_targetILNS1_3genE8ELNS1_11target_archE1030ELNS1_3gpuE2ELNS1_3repE0EEENS1_30default_config_static_selectorELNS0_4arch9wavefront6targetE1EEEvT1_
	.globl	_ZN7rocprim17ROCPRIM_400000_NS6detail17trampoline_kernelINS0_14default_configENS1_25partition_config_selectorILNS1_17partition_subalgoE8EiNS0_10empty_typeEbEEZZNS1_14partition_implILS5_8ELb0ES3_jPKiPS6_PKS6_NS0_5tupleIJPiS6_EEENSE_IJSB_SB_EEENS0_18inequality_wrapperIN6hipcub16HIPCUB_304000_NS8EqualityEEEPlJS6_EEE10hipError_tPvRmT3_T4_T5_T6_T7_T9_mT8_P12ihipStream_tbDpT10_ENKUlT_T0_E_clISt17integral_constantIbLb0EES16_IbLb1EEEEDaS12_S13_EUlS12_E_NS1_11comp_targetILNS1_3genE8ELNS1_11target_archE1030ELNS1_3gpuE2ELNS1_3repE0EEENS1_30default_config_static_selectorELNS0_4arch9wavefront6targetE1EEEvT1_
	.p2align	8
	.type	_ZN7rocprim17ROCPRIM_400000_NS6detail17trampoline_kernelINS0_14default_configENS1_25partition_config_selectorILNS1_17partition_subalgoE8EiNS0_10empty_typeEbEEZZNS1_14partition_implILS5_8ELb0ES3_jPKiPS6_PKS6_NS0_5tupleIJPiS6_EEENSE_IJSB_SB_EEENS0_18inequality_wrapperIN6hipcub16HIPCUB_304000_NS8EqualityEEEPlJS6_EEE10hipError_tPvRmT3_T4_T5_T6_T7_T9_mT8_P12ihipStream_tbDpT10_ENKUlT_T0_E_clISt17integral_constantIbLb0EES16_IbLb1EEEEDaS12_S13_EUlS12_E_NS1_11comp_targetILNS1_3genE8ELNS1_11target_archE1030ELNS1_3gpuE2ELNS1_3repE0EEENS1_30default_config_static_selectorELNS0_4arch9wavefront6targetE1EEEvT1_,@function
_ZN7rocprim17ROCPRIM_400000_NS6detail17trampoline_kernelINS0_14default_configENS1_25partition_config_selectorILNS1_17partition_subalgoE8EiNS0_10empty_typeEbEEZZNS1_14partition_implILS5_8ELb0ES3_jPKiPS6_PKS6_NS0_5tupleIJPiS6_EEENSE_IJSB_SB_EEENS0_18inequality_wrapperIN6hipcub16HIPCUB_304000_NS8EqualityEEEPlJS6_EEE10hipError_tPvRmT3_T4_T5_T6_T7_T9_mT8_P12ihipStream_tbDpT10_ENKUlT_T0_E_clISt17integral_constantIbLb0EES16_IbLb1EEEEDaS12_S13_EUlS12_E_NS1_11comp_targetILNS1_3genE8ELNS1_11target_archE1030ELNS1_3gpuE2ELNS1_3repE0EEENS1_30default_config_static_selectorELNS0_4arch9wavefront6targetE1EEEvT1_: ; @_ZN7rocprim17ROCPRIM_400000_NS6detail17trampoline_kernelINS0_14default_configENS1_25partition_config_selectorILNS1_17partition_subalgoE8EiNS0_10empty_typeEbEEZZNS1_14partition_implILS5_8ELb0ES3_jPKiPS6_PKS6_NS0_5tupleIJPiS6_EEENSE_IJSB_SB_EEENS0_18inequality_wrapperIN6hipcub16HIPCUB_304000_NS8EqualityEEEPlJS6_EEE10hipError_tPvRmT3_T4_T5_T6_T7_T9_mT8_P12ihipStream_tbDpT10_ENKUlT_T0_E_clISt17integral_constantIbLb0EES16_IbLb1EEEEDaS12_S13_EUlS12_E_NS1_11comp_targetILNS1_3genE8ELNS1_11target_archE1030ELNS1_3gpuE2ELNS1_3repE0EEENS1_30default_config_static_selectorELNS0_4arch9wavefront6targetE1EEEvT1_
; %bb.0:
	.section	.rodata,"a",@progbits
	.p2align	6, 0x0
	.amdhsa_kernel _ZN7rocprim17ROCPRIM_400000_NS6detail17trampoline_kernelINS0_14default_configENS1_25partition_config_selectorILNS1_17partition_subalgoE8EiNS0_10empty_typeEbEEZZNS1_14partition_implILS5_8ELb0ES3_jPKiPS6_PKS6_NS0_5tupleIJPiS6_EEENSE_IJSB_SB_EEENS0_18inequality_wrapperIN6hipcub16HIPCUB_304000_NS8EqualityEEEPlJS6_EEE10hipError_tPvRmT3_T4_T5_T6_T7_T9_mT8_P12ihipStream_tbDpT10_ENKUlT_T0_E_clISt17integral_constantIbLb0EES16_IbLb1EEEEDaS12_S13_EUlS12_E_NS1_11comp_targetILNS1_3genE8ELNS1_11target_archE1030ELNS1_3gpuE2ELNS1_3repE0EEENS1_30default_config_static_selectorELNS0_4arch9wavefront6targetE1EEEvT1_
		.amdhsa_group_segment_fixed_size 0
		.amdhsa_private_segment_fixed_size 0
		.amdhsa_kernarg_size 128
		.amdhsa_user_sgpr_count 2
		.amdhsa_user_sgpr_dispatch_ptr 0
		.amdhsa_user_sgpr_queue_ptr 0
		.amdhsa_user_sgpr_kernarg_segment_ptr 1
		.amdhsa_user_sgpr_dispatch_id 0
		.amdhsa_user_sgpr_kernarg_preload_length 0
		.amdhsa_user_sgpr_kernarg_preload_offset 0
		.amdhsa_user_sgpr_private_segment_size 0
		.amdhsa_uses_dynamic_stack 0
		.amdhsa_enable_private_segment 0
		.amdhsa_system_sgpr_workgroup_id_x 1
		.amdhsa_system_sgpr_workgroup_id_y 0
		.amdhsa_system_sgpr_workgroup_id_z 0
		.amdhsa_system_sgpr_workgroup_info 0
		.amdhsa_system_vgpr_workitem_id 0
		.amdhsa_next_free_vgpr 1
		.amdhsa_next_free_sgpr 0
		.amdhsa_accum_offset 4
		.amdhsa_reserve_vcc 0
		.amdhsa_float_round_mode_32 0
		.amdhsa_float_round_mode_16_64 0
		.amdhsa_float_denorm_mode_32 3
		.amdhsa_float_denorm_mode_16_64 3
		.amdhsa_dx10_clamp 1
		.amdhsa_ieee_mode 1
		.amdhsa_fp16_overflow 0
		.amdhsa_tg_split 0
		.amdhsa_exception_fp_ieee_invalid_op 0
		.amdhsa_exception_fp_denorm_src 0
		.amdhsa_exception_fp_ieee_div_zero 0
		.amdhsa_exception_fp_ieee_overflow 0
		.amdhsa_exception_fp_ieee_underflow 0
		.amdhsa_exception_fp_ieee_inexact 0
		.amdhsa_exception_int_div_zero 0
	.end_amdhsa_kernel
	.section	.text._ZN7rocprim17ROCPRIM_400000_NS6detail17trampoline_kernelINS0_14default_configENS1_25partition_config_selectorILNS1_17partition_subalgoE8EiNS0_10empty_typeEbEEZZNS1_14partition_implILS5_8ELb0ES3_jPKiPS6_PKS6_NS0_5tupleIJPiS6_EEENSE_IJSB_SB_EEENS0_18inequality_wrapperIN6hipcub16HIPCUB_304000_NS8EqualityEEEPlJS6_EEE10hipError_tPvRmT3_T4_T5_T6_T7_T9_mT8_P12ihipStream_tbDpT10_ENKUlT_T0_E_clISt17integral_constantIbLb0EES16_IbLb1EEEEDaS12_S13_EUlS12_E_NS1_11comp_targetILNS1_3genE8ELNS1_11target_archE1030ELNS1_3gpuE2ELNS1_3repE0EEENS1_30default_config_static_selectorELNS0_4arch9wavefront6targetE1EEEvT1_,"axG",@progbits,_ZN7rocprim17ROCPRIM_400000_NS6detail17trampoline_kernelINS0_14default_configENS1_25partition_config_selectorILNS1_17partition_subalgoE8EiNS0_10empty_typeEbEEZZNS1_14partition_implILS5_8ELb0ES3_jPKiPS6_PKS6_NS0_5tupleIJPiS6_EEENSE_IJSB_SB_EEENS0_18inequality_wrapperIN6hipcub16HIPCUB_304000_NS8EqualityEEEPlJS6_EEE10hipError_tPvRmT3_T4_T5_T6_T7_T9_mT8_P12ihipStream_tbDpT10_ENKUlT_T0_E_clISt17integral_constantIbLb0EES16_IbLb1EEEEDaS12_S13_EUlS12_E_NS1_11comp_targetILNS1_3genE8ELNS1_11target_archE1030ELNS1_3gpuE2ELNS1_3repE0EEENS1_30default_config_static_selectorELNS0_4arch9wavefront6targetE1EEEvT1_,comdat
.Lfunc_end220:
	.size	_ZN7rocprim17ROCPRIM_400000_NS6detail17trampoline_kernelINS0_14default_configENS1_25partition_config_selectorILNS1_17partition_subalgoE8EiNS0_10empty_typeEbEEZZNS1_14partition_implILS5_8ELb0ES3_jPKiPS6_PKS6_NS0_5tupleIJPiS6_EEENSE_IJSB_SB_EEENS0_18inequality_wrapperIN6hipcub16HIPCUB_304000_NS8EqualityEEEPlJS6_EEE10hipError_tPvRmT3_T4_T5_T6_T7_T9_mT8_P12ihipStream_tbDpT10_ENKUlT_T0_E_clISt17integral_constantIbLb0EES16_IbLb1EEEEDaS12_S13_EUlS12_E_NS1_11comp_targetILNS1_3genE8ELNS1_11target_archE1030ELNS1_3gpuE2ELNS1_3repE0EEENS1_30default_config_static_selectorELNS0_4arch9wavefront6targetE1EEEvT1_, .Lfunc_end220-_ZN7rocprim17ROCPRIM_400000_NS6detail17trampoline_kernelINS0_14default_configENS1_25partition_config_selectorILNS1_17partition_subalgoE8EiNS0_10empty_typeEbEEZZNS1_14partition_implILS5_8ELb0ES3_jPKiPS6_PKS6_NS0_5tupleIJPiS6_EEENSE_IJSB_SB_EEENS0_18inequality_wrapperIN6hipcub16HIPCUB_304000_NS8EqualityEEEPlJS6_EEE10hipError_tPvRmT3_T4_T5_T6_T7_T9_mT8_P12ihipStream_tbDpT10_ENKUlT_T0_E_clISt17integral_constantIbLb0EES16_IbLb1EEEEDaS12_S13_EUlS12_E_NS1_11comp_targetILNS1_3genE8ELNS1_11target_archE1030ELNS1_3gpuE2ELNS1_3repE0EEENS1_30default_config_static_selectorELNS0_4arch9wavefront6targetE1EEEvT1_
                                        ; -- End function
	.set _ZN7rocprim17ROCPRIM_400000_NS6detail17trampoline_kernelINS0_14default_configENS1_25partition_config_selectorILNS1_17partition_subalgoE8EiNS0_10empty_typeEbEEZZNS1_14partition_implILS5_8ELb0ES3_jPKiPS6_PKS6_NS0_5tupleIJPiS6_EEENSE_IJSB_SB_EEENS0_18inequality_wrapperIN6hipcub16HIPCUB_304000_NS8EqualityEEEPlJS6_EEE10hipError_tPvRmT3_T4_T5_T6_T7_T9_mT8_P12ihipStream_tbDpT10_ENKUlT_T0_E_clISt17integral_constantIbLb0EES16_IbLb1EEEEDaS12_S13_EUlS12_E_NS1_11comp_targetILNS1_3genE8ELNS1_11target_archE1030ELNS1_3gpuE2ELNS1_3repE0EEENS1_30default_config_static_selectorELNS0_4arch9wavefront6targetE1EEEvT1_.num_vgpr, 0
	.set _ZN7rocprim17ROCPRIM_400000_NS6detail17trampoline_kernelINS0_14default_configENS1_25partition_config_selectorILNS1_17partition_subalgoE8EiNS0_10empty_typeEbEEZZNS1_14partition_implILS5_8ELb0ES3_jPKiPS6_PKS6_NS0_5tupleIJPiS6_EEENSE_IJSB_SB_EEENS0_18inequality_wrapperIN6hipcub16HIPCUB_304000_NS8EqualityEEEPlJS6_EEE10hipError_tPvRmT3_T4_T5_T6_T7_T9_mT8_P12ihipStream_tbDpT10_ENKUlT_T0_E_clISt17integral_constantIbLb0EES16_IbLb1EEEEDaS12_S13_EUlS12_E_NS1_11comp_targetILNS1_3genE8ELNS1_11target_archE1030ELNS1_3gpuE2ELNS1_3repE0EEENS1_30default_config_static_selectorELNS0_4arch9wavefront6targetE1EEEvT1_.num_agpr, 0
	.set _ZN7rocprim17ROCPRIM_400000_NS6detail17trampoline_kernelINS0_14default_configENS1_25partition_config_selectorILNS1_17partition_subalgoE8EiNS0_10empty_typeEbEEZZNS1_14partition_implILS5_8ELb0ES3_jPKiPS6_PKS6_NS0_5tupleIJPiS6_EEENSE_IJSB_SB_EEENS0_18inequality_wrapperIN6hipcub16HIPCUB_304000_NS8EqualityEEEPlJS6_EEE10hipError_tPvRmT3_T4_T5_T6_T7_T9_mT8_P12ihipStream_tbDpT10_ENKUlT_T0_E_clISt17integral_constantIbLb0EES16_IbLb1EEEEDaS12_S13_EUlS12_E_NS1_11comp_targetILNS1_3genE8ELNS1_11target_archE1030ELNS1_3gpuE2ELNS1_3repE0EEENS1_30default_config_static_selectorELNS0_4arch9wavefront6targetE1EEEvT1_.numbered_sgpr, 0
	.set _ZN7rocprim17ROCPRIM_400000_NS6detail17trampoline_kernelINS0_14default_configENS1_25partition_config_selectorILNS1_17partition_subalgoE8EiNS0_10empty_typeEbEEZZNS1_14partition_implILS5_8ELb0ES3_jPKiPS6_PKS6_NS0_5tupleIJPiS6_EEENSE_IJSB_SB_EEENS0_18inequality_wrapperIN6hipcub16HIPCUB_304000_NS8EqualityEEEPlJS6_EEE10hipError_tPvRmT3_T4_T5_T6_T7_T9_mT8_P12ihipStream_tbDpT10_ENKUlT_T0_E_clISt17integral_constantIbLb0EES16_IbLb1EEEEDaS12_S13_EUlS12_E_NS1_11comp_targetILNS1_3genE8ELNS1_11target_archE1030ELNS1_3gpuE2ELNS1_3repE0EEENS1_30default_config_static_selectorELNS0_4arch9wavefront6targetE1EEEvT1_.num_named_barrier, 0
	.set _ZN7rocprim17ROCPRIM_400000_NS6detail17trampoline_kernelINS0_14default_configENS1_25partition_config_selectorILNS1_17partition_subalgoE8EiNS0_10empty_typeEbEEZZNS1_14partition_implILS5_8ELb0ES3_jPKiPS6_PKS6_NS0_5tupleIJPiS6_EEENSE_IJSB_SB_EEENS0_18inequality_wrapperIN6hipcub16HIPCUB_304000_NS8EqualityEEEPlJS6_EEE10hipError_tPvRmT3_T4_T5_T6_T7_T9_mT8_P12ihipStream_tbDpT10_ENKUlT_T0_E_clISt17integral_constantIbLb0EES16_IbLb1EEEEDaS12_S13_EUlS12_E_NS1_11comp_targetILNS1_3genE8ELNS1_11target_archE1030ELNS1_3gpuE2ELNS1_3repE0EEENS1_30default_config_static_selectorELNS0_4arch9wavefront6targetE1EEEvT1_.private_seg_size, 0
	.set _ZN7rocprim17ROCPRIM_400000_NS6detail17trampoline_kernelINS0_14default_configENS1_25partition_config_selectorILNS1_17partition_subalgoE8EiNS0_10empty_typeEbEEZZNS1_14partition_implILS5_8ELb0ES3_jPKiPS6_PKS6_NS0_5tupleIJPiS6_EEENSE_IJSB_SB_EEENS0_18inequality_wrapperIN6hipcub16HIPCUB_304000_NS8EqualityEEEPlJS6_EEE10hipError_tPvRmT3_T4_T5_T6_T7_T9_mT8_P12ihipStream_tbDpT10_ENKUlT_T0_E_clISt17integral_constantIbLb0EES16_IbLb1EEEEDaS12_S13_EUlS12_E_NS1_11comp_targetILNS1_3genE8ELNS1_11target_archE1030ELNS1_3gpuE2ELNS1_3repE0EEENS1_30default_config_static_selectorELNS0_4arch9wavefront6targetE1EEEvT1_.uses_vcc, 0
	.set _ZN7rocprim17ROCPRIM_400000_NS6detail17trampoline_kernelINS0_14default_configENS1_25partition_config_selectorILNS1_17partition_subalgoE8EiNS0_10empty_typeEbEEZZNS1_14partition_implILS5_8ELb0ES3_jPKiPS6_PKS6_NS0_5tupleIJPiS6_EEENSE_IJSB_SB_EEENS0_18inequality_wrapperIN6hipcub16HIPCUB_304000_NS8EqualityEEEPlJS6_EEE10hipError_tPvRmT3_T4_T5_T6_T7_T9_mT8_P12ihipStream_tbDpT10_ENKUlT_T0_E_clISt17integral_constantIbLb0EES16_IbLb1EEEEDaS12_S13_EUlS12_E_NS1_11comp_targetILNS1_3genE8ELNS1_11target_archE1030ELNS1_3gpuE2ELNS1_3repE0EEENS1_30default_config_static_selectorELNS0_4arch9wavefront6targetE1EEEvT1_.uses_flat_scratch, 0
	.set _ZN7rocprim17ROCPRIM_400000_NS6detail17trampoline_kernelINS0_14default_configENS1_25partition_config_selectorILNS1_17partition_subalgoE8EiNS0_10empty_typeEbEEZZNS1_14partition_implILS5_8ELb0ES3_jPKiPS6_PKS6_NS0_5tupleIJPiS6_EEENSE_IJSB_SB_EEENS0_18inequality_wrapperIN6hipcub16HIPCUB_304000_NS8EqualityEEEPlJS6_EEE10hipError_tPvRmT3_T4_T5_T6_T7_T9_mT8_P12ihipStream_tbDpT10_ENKUlT_T0_E_clISt17integral_constantIbLb0EES16_IbLb1EEEEDaS12_S13_EUlS12_E_NS1_11comp_targetILNS1_3genE8ELNS1_11target_archE1030ELNS1_3gpuE2ELNS1_3repE0EEENS1_30default_config_static_selectorELNS0_4arch9wavefront6targetE1EEEvT1_.has_dyn_sized_stack, 0
	.set _ZN7rocprim17ROCPRIM_400000_NS6detail17trampoline_kernelINS0_14default_configENS1_25partition_config_selectorILNS1_17partition_subalgoE8EiNS0_10empty_typeEbEEZZNS1_14partition_implILS5_8ELb0ES3_jPKiPS6_PKS6_NS0_5tupleIJPiS6_EEENSE_IJSB_SB_EEENS0_18inequality_wrapperIN6hipcub16HIPCUB_304000_NS8EqualityEEEPlJS6_EEE10hipError_tPvRmT3_T4_T5_T6_T7_T9_mT8_P12ihipStream_tbDpT10_ENKUlT_T0_E_clISt17integral_constantIbLb0EES16_IbLb1EEEEDaS12_S13_EUlS12_E_NS1_11comp_targetILNS1_3genE8ELNS1_11target_archE1030ELNS1_3gpuE2ELNS1_3repE0EEENS1_30default_config_static_selectorELNS0_4arch9wavefront6targetE1EEEvT1_.has_recursion, 0
	.set _ZN7rocprim17ROCPRIM_400000_NS6detail17trampoline_kernelINS0_14default_configENS1_25partition_config_selectorILNS1_17partition_subalgoE8EiNS0_10empty_typeEbEEZZNS1_14partition_implILS5_8ELb0ES3_jPKiPS6_PKS6_NS0_5tupleIJPiS6_EEENSE_IJSB_SB_EEENS0_18inequality_wrapperIN6hipcub16HIPCUB_304000_NS8EqualityEEEPlJS6_EEE10hipError_tPvRmT3_T4_T5_T6_T7_T9_mT8_P12ihipStream_tbDpT10_ENKUlT_T0_E_clISt17integral_constantIbLb0EES16_IbLb1EEEEDaS12_S13_EUlS12_E_NS1_11comp_targetILNS1_3genE8ELNS1_11target_archE1030ELNS1_3gpuE2ELNS1_3repE0EEENS1_30default_config_static_selectorELNS0_4arch9wavefront6targetE1EEEvT1_.has_indirect_call, 0
	.section	.AMDGPU.csdata,"",@progbits
; Kernel info:
; codeLenInByte = 0
; TotalNumSgprs: 6
; NumVgprs: 0
; NumAgprs: 0
; TotalNumVgprs: 0
; ScratchSize: 0
; MemoryBound: 0
; FloatMode: 240
; IeeeMode: 1
; LDSByteSize: 0 bytes/workgroup (compile time only)
; SGPRBlocks: 0
; VGPRBlocks: 0
; NumSGPRsForWavesPerEU: 6
; NumVGPRsForWavesPerEU: 1
; AccumOffset: 4
; Occupancy: 8
; WaveLimiterHint : 0
; COMPUTE_PGM_RSRC2:SCRATCH_EN: 0
; COMPUTE_PGM_RSRC2:USER_SGPR: 2
; COMPUTE_PGM_RSRC2:TRAP_HANDLER: 0
; COMPUTE_PGM_RSRC2:TGID_X_EN: 1
; COMPUTE_PGM_RSRC2:TGID_Y_EN: 0
; COMPUTE_PGM_RSRC2:TGID_Z_EN: 0
; COMPUTE_PGM_RSRC2:TIDIG_COMP_CNT: 0
; COMPUTE_PGM_RSRC3_GFX90A:ACCUM_OFFSET: 0
; COMPUTE_PGM_RSRC3_GFX90A:TG_SPLIT: 0
	.section	.text._ZN2at6native12_GLOBAL__N_113renorm_kernelIddKiEEvPT_PT1_T0_S8_llllPKl,"axG",@progbits,_ZN2at6native12_GLOBAL__N_113renorm_kernelIddKiEEvPT_PT1_T0_S8_llllPKl,comdat
	.globl	_ZN2at6native12_GLOBAL__N_113renorm_kernelIddKiEEvPT_PT1_T0_S8_llllPKl ; -- Begin function _ZN2at6native12_GLOBAL__N_113renorm_kernelIddKiEEvPT_PT1_T0_S8_llllPKl
	.p2align	8
	.type	_ZN2at6native12_GLOBAL__N_113renorm_kernelIddKiEEvPT_PT1_T0_S8_llllPKl,@function
_ZN2at6native12_GLOBAL__N_113renorm_kernelIddKiEEvPT_PT1_T0_S8_llllPKl: ; @_ZN2at6native12_GLOBAL__N_113renorm_kernelIddKiEEvPT_PT1_T0_S8_llllPKl
; %bb.0:
	s_load_dwordx2 s[4:5], s[0:1], 0x40
	s_mov_b32 s3, 0
	v_mov_b64_e32 v[2:3], s[2:3]
	s_waitcnt lgkmcnt(0)
	s_load_dwordx2 s[4:5], s[4:5], 0x0
	s_waitcnt lgkmcnt(0)
	v_cmp_le_i64_e32 vcc, s[4:5], v[2:3]
	s_cbranch_vccnz .LBB221_26
; %bb.1:
	s_load_dwordx16 s[12:27], s[0:1], 0x0
	s_lshl_b64 s[2:3], s[2:3], 2
	s_waitcnt lgkmcnt(0)
	s_add_u32 s2, s14, s2
	s_addc_u32 s3, s15, s3
	s_load_dword s2, s[2:3], 0x0
	s_waitcnt lgkmcnt(0)
	s_cmp_lt_i32 s2, 0
	s_cbranch_scc1 .LBB221_29
; %bb.2:
	s_ashr_i32 s3, s2, 31
	s_getpc_b64 s[4:5]
	s_add_u32 s4, s4, .str.4@rel32@lo+4
	s_addc_u32 s5, s5, .str.4@rel32@hi+12
	v_mov_b64_e32 v[2:3], s[2:3]
	s_cmp_eq_u64 s[4:5], 0
	v_cmp_le_i64_e32 vcc, s[22:23], v[2:3]
	s_cselect_b64 s[4:5], -1, 0
	s_or_b64 s[10:11], vcc, s[4:5]
	s_andn2_b64 vcc, exec, s[10:11]
	s_cbranch_vccz .LBB221_25
; %bb.3:
	s_mul_i32 s3, s24, s3
	s_mul_hi_u32 s4, s24, s2
	s_add_i32 s3, s4, s3
	s_mul_i32 s4, s25, s2
	v_mov_b32_e32 v1, 0
	s_add_i32 s15, s3, s4
	s_mul_i32 s14, s24, s2
	v_cmp_gt_i64_e64 s[2:3], s[20:21], v[0:1]
	v_mov_b64_e32 v[2:3], 0
	s_and_saveexec_b64 s[22:23], s[2:3]
	s_cbranch_execz .LBB221_13
; %bb.4:
	s_load_dword s6, s[0:1], 0x54
	s_lshl_b64 s[4:5], s[14:15], 3
	s_add_u32 s24, s12, s4
	s_addc_u32 s25, s13, s5
	s_mov_b32 s36, 0x55555555
	s_waitcnt lgkmcnt(0)
	s_and_b32 s33, s6, 0xffff
	s_mov_b32 s38, 0x4222de17
	s_mov_b32 s40, 0xfefa39ef
	;; [unrolled: 1-line block ×9, first 2 shown]
	v_cmp_neq_f64_e64 s[28:29], s[18:19], 1.0
	v_cmp_neq_f64_e64 s[30:31], s[18:19], 2.0
	v_add_u32_e32 v4, s33, v0
	v_mov_b64_e32 v[2:3], 0
	s_mov_b64 s[34:35], 0
	s_brev_b32 s62, -2
	s_mov_b32 s37, 0x3fe55555
	s_mov_b32 s39, 0x3fbdee67
	;; [unrolled: 1-line block ×6, first 2 shown]
	s_movk_i32 s63, 0x204
	s_mov_b32 s49, 0x7ff00000
	s_mov_b32 s51, 0x3ff71547
	;; [unrolled: 1-line block ×7, first 2 shown]
	v_mov_b32_e32 v46, 0x3ff00000
	v_mov_b32_e32 v6, 0x968915a9
	;; [unrolled: 1-line block ×37, first 2 shown]
	v_mov_b64_e32 v[40:41], v[0:1]
	s_branch .LBB221_7
.LBB221_5:                              ;   in Loop: Header=BB221_7 Depth=1
	s_waitcnt vmcnt(0)
	v_and_b32_e32 v41, 0x7fffffff, v41
	v_mov_b64_e32 v[42:43], v[40:41]
.LBB221_6:                              ;   in Loop: Header=BB221_7 Depth=1
	v_ashrrev_i32_e32 v5, 31, v4
	v_cmp_le_i64_e32 vcc, s[20:21], v[4:5]
	v_add_f64 v[2:3], v[2:3], v[42:43]
	s_waitcnt vmcnt(0)
	v_mov_b64_e32 v[40:41], v[4:5]
	s_or_b64 s[34:35], vcc, s[34:35]
	v_add_u32_e32 v4, s33, v4
	s_andn2_b64 exec, exec, s[34:35]
	s_cbranch_execz .LBB221_12
.LBB221_7:                              ; =>This Inner Loop Header: Depth=1
	v_mul_lo_u32 v5, v41, s26
	v_mul_lo_u32 v42, v40, s27
	v_mad_u64_u32 v[40:41], s[4:5], v40, s26, 0
	v_add3_u32 v41, v41, v42, v5
	v_lshl_add_u64 v[40:41], v[40:41], 3, s[24:25]
	global_load_dwordx2 v[40:41], v[40:41], off
	s_and_b64 vcc, exec, s[28:29]
	s_cbranch_vccz .LBB221_5
; %bb.8:                                ;   in Loop: Header=BB221_7 Depth=1
	s_and_b64 vcc, exec, s[30:31]
	s_cbranch_vccz .LBB221_10
; %bb.9:                                ;   in Loop: Header=BB221_7 Depth=1
	v_mov_b32_e32 v5, s19
	s_waitcnt vmcnt(0)
	v_cmp_neq_f64_e32 vcc, 1.0, v[40:41]
	s_mov_b32 s44, s36
	s_mov_b32 s52, s40
	v_cndmask_b32_e32 v43, v46, v5, vcc
	v_mov_b32_e32 v5, s18
	v_cndmask_b32_e32 v42, 0, v5, vcc
	v_cmp_neq_f64_e32 vcc, 0, v[42:43]
	s_mov_b32 s54, s42
	v_cmp_neq_f64_e64 s[6:7], v[42:43], |v[42:43]|
	v_cndmask_b32_e32 v45, v46, v41, vcc
	v_cndmask_b32_e32 v44, 0, v40, vcc
	v_frexp_mant_f64_e64 v[50:51], |v[44:45]|
	v_cmp_gt_f64_e32 vcc, s[36:37], v[50:51]
	v_cmp_lt_f64_e64 s[8:9], |v[44:45]|, 1.0
	s_xor_b64 s[6:7], s[6:7], s[8:9]
	v_cndmask_b32_e64 v5, 0, 1, vcc
	v_ldexp_f64 v[50:51], v[50:51], v5
	v_add_f64 v[52:53], v[50:51], 1.0
	v_rcp_f64_e32 v[54:55], v[52:53]
	v_add_f64 v[58:59], v[52:53], -1.0
	v_add_f64 v[56:57], v[50:51], -1.0
	v_add_f64 v[50:51], v[50:51], -v[58:59]
	v_fma_f64 v[58:59], -v[52:53], v[54:55], 1.0
	v_fmac_f64_e32 v[54:55], v[58:59], v[54:55]
	v_fma_f64 v[58:59], -v[52:53], v[54:55], 1.0
	v_fmac_f64_e32 v[54:55], v[58:59], v[54:55]
	v_mul_f64 v[58:59], v[56:57], v[54:55]
	v_mul_f64 v[60:61], v[52:53], v[58:59]
	v_fma_f64 v[52:53], v[58:59], v[52:53], -v[60:61]
	v_fmac_f64_e32 v[52:53], v[58:59], v[50:51]
	v_add_f64 v[50:51], v[60:61], v[52:53]
	v_add_f64 v[62:63], v[56:57], -v[50:51]
	v_add_f64 v[60:61], v[50:51], -v[60:61]
	;; [unrolled: 1-line block ×5, first 2 shown]
	v_add_f64 v[50:51], v[52:53], v[50:51]
	v_add_f64 v[50:51], v[62:63], v[50:51]
	v_mul_f64 v[50:51], v[54:55], v[50:51]
	v_add_f64 v[52:53], v[58:59], v[50:51]
	v_add_f64 v[54:55], v[52:53], -v[58:59]
	v_add_f64 v[50:51], v[50:51], -v[54:55]
	v_mul_f64 v[54:55], v[52:53], v[52:53]
	v_fma_f64 v[56:57], v[52:53], v[52:53], -v[54:55]
	v_add_f64 v[58:59], v[50:51], v[50:51]
	v_fmac_f64_e32 v[56:57], v[52:53], v[58:59]
	v_add_f64 v[58:59], v[54:55], v[56:57]
	v_add_f64 v[54:55], v[58:59], -v[54:55]
	v_add_f64 v[54:55], v[56:57], -v[54:55]
	v_mov_b64_e32 v[56:57], v[6:7]
	v_fmac_f64_e32 v[56:57], s[38:39], v[58:59]
	v_mov_b64_e32 v[60:61], v[8:9]
	v_fmac_f64_e32 v[60:61], v[58:59], v[56:57]
	;; [unrolled: 2-line block ×8, first 2 shown]
	v_mul_f64 v[56:57], v[52:53], v[58:59]
	v_fma_f64 v[62:63], v[58:59], v[52:53], -v[56:57]
	v_mul_f64 v[64:65], v[58:59], v[60:61]
	v_fmac_f64_e32 v[62:63], v[58:59], v[50:51]
	v_fma_f64 v[58:59], v[58:59], v[60:61], -v[64:65]
	v_fmac_f64_e32 v[58:59], v[54:55], v[60:61]
	v_fmac_f64_e32 v[62:63], v[54:55], v[52:53]
	v_add_f64 v[54:55], v[64:65], v[58:59]
	v_add_f64 v[60:61], v[54:55], -v[64:65]
	v_add_f64 v[58:59], v[58:59], -v[60:61]
	v_add_f64 v[60:61], v[54:55], s[36:37]
	v_add_f64 v[64:65], v[60:61], s[44:45]
	v_add_f64 v[54:55], v[54:55], -v[64:65]
	v_add_f64 v[58:59], v[58:59], s[46:47]
	v_add_f64 v[54:55], v[58:59], v[54:55]
	;; [unrolled: 1-line block ×3, first 2 shown]
	v_add_f64 v[60:61], v[60:61], -v[58:59]
	v_add_f64 v[54:55], v[54:55], v[60:61]
	v_add_f64 v[60:61], v[56:57], v[62:63]
	v_mul_f64 v[64:65], v[60:61], v[58:59]
	v_fma_f64 v[66:67], v[60:61], v[58:59], -v[64:65]
	v_fmac_f64_e32 v[66:67], v[60:61], v[54:55]
	v_add_f64 v[54:55], v[60:61], -v[56:57]
	v_frexp_exp_i32_f64_e32 v5, v[44:45]
	v_add_f64 v[54:55], v[62:63], -v[54:55]
	v_subbrev_co_u32_e32 v5, vcc, 0, v5, vcc
	v_fmac_f64_e32 v[66:67], v[54:55], v[58:59]
	v_cvt_f64_i32_e32 v[54:55], v5
	v_mul_f64 v[56:57], v[54:55], s[40:41]
	v_fma_f64 v[58:59], v[54:55], s[40:41], -v[56:57]
	v_fmac_f64_e32 v[58:59], s[42:43], v[54:55]
	v_add_f64 v[54:55], v[56:57], v[58:59]
	v_add_f64 v[56:57], v[54:55], -v[56:57]
	v_add_f64 v[56:57], v[58:59], -v[56:57]
	v_add_f64 v[58:59], v[64:65], v[66:67]
	v_ldexp_f64 v[52:53], v[52:53], 1
	v_add_f64 v[60:61], v[58:59], -v[64:65]
	v_add_f64 v[62:63], v[52:53], v[58:59]
	v_add_f64 v[60:61], v[66:67], -v[60:61]
	v_add_f64 v[52:53], v[62:63], -v[52:53]
	v_ldexp_f64 v[50:51], v[50:51], 1
	v_add_f64 v[52:53], v[58:59], -v[52:53]
	v_add_f64 v[50:51], v[50:51], v[60:61]
	v_add_f64 v[50:51], v[50:51], v[52:53]
	v_add_f64 v[52:53], v[62:63], v[50:51]
	v_add_f64 v[58:59], v[52:53], -v[62:63]
	v_add_f64 v[50:51], v[50:51], -v[58:59]
	v_add_f64 v[58:59], v[54:55], v[52:53]
	v_add_f64 v[60:61], v[58:59], -v[54:55]
	v_add_f64 v[62:63], v[58:59], -v[60:61]
	v_add_f64 v[54:55], v[54:55], -v[62:63]
	v_add_f64 v[52:53], v[52:53], -v[60:61]
	v_add_f64 v[52:53], v[52:53], v[54:55]
	v_add_f64 v[54:55], v[56:57], v[50:51]
	v_add_f64 v[60:61], v[54:55], -v[56:57]
	v_add_f64 v[62:63], v[54:55], -v[60:61]
	v_add_f64 v[52:53], v[54:55], v[52:53]
	v_add_f64 v[56:57], v[56:57], -v[62:63]
	v_add_f64 v[50:51], v[50:51], -v[60:61]
	v_add_f64 v[54:55], v[58:59], v[52:53]
	v_add_f64 v[50:51], v[50:51], v[56:57]
	v_add_f64 v[56:57], v[54:55], -v[58:59]
	v_add_f64 v[52:53], v[52:53], -v[56:57]
	v_add_f64 v[50:51], v[50:51], v[52:53]
	v_add_f64 v[52:53], v[54:55], v[50:51]
	v_add_f64 v[54:55], v[52:53], -v[54:55]
	v_add_f64 v[50:51], v[50:51], -v[54:55]
	v_mul_f64 v[54:55], v[42:43], v[52:53]
	v_fma_f64 v[52:53], v[42:43], v[52:53], -v[54:55]
	v_fmac_f64_e32 v[52:53], v[42:43], v[50:51]
	v_add_f64 v[50:51], v[54:55], v[52:53]
	v_cmp_class_f64_e64 vcc, v[54:55], s63
	v_add_f64 v[56:57], v[50:51], -v[54:55]
	v_add_f64 v[52:53], v[52:53], -v[56:57]
	v_cndmask_b32_e32 v51, v51, v55, vcc
	v_cndmask_b32_e32 v50, v50, v54, vcc
	v_mul_f64 v[54:55], v[50:51], s[50:51]
	v_rndne_f64_e32 v[54:55], v[54:55]
	v_fma_f64 v[56:57], s[52:53], v[54:55], v[50:51]
	v_fmac_f64_e32 v[56:57], s[54:55], v[54:55]
	v_mov_b64_e32 v[58:59], v[22:23]
	v_fmac_f64_e32 v[58:59], s[56:57], v[56:57]
	v_mov_b64_e32 v[60:61], v[24:25]
	;; [unrolled: 2-line block ×9, first 2 shown]
	v_fmac_f64_e32 v[58:59], v[56:57], v[60:61]
	v_fma_f64 v[58:59], v[56:57], v[58:59], 1.0
	v_cmp_neq_f64_e64 vcc, |v[50:51]|, s[48:49]
	v_fma_f64 v[56:57], v[56:57], v[58:59], 1.0
	v_cvt_i32_f64_e32 v5, v[54:55]
	v_cndmask_b32_e32 v53, 0, v53, vcc
	v_cndmask_b32_e32 v52, 0, v52, vcc
	v_ldexp_f64 v[54:55], v[56:57], v5
	v_cmp_nlt_f64_e32 vcc, s[58:59], v[50:51]
	v_cmp_ngt_f64_e64 s[4:5], s[60:61], v[50:51]
	v_cmp_gt_f64_e64 s[8:9], 0, v[42:43]
	v_cndmask_b32_e32 v5, v47, v55, vcc
	s_and_b64 vcc, s[4:5], vcc
	v_cndmask_b32_e64 v51, 0, v5, s[4:5]
	v_cndmask_b32_e32 v50, 0, v54, vcc
	v_mov_b64_e32 v[54:55], v[50:51]
	v_fmac_f64_e32 v[54:55], v[54:55], v[52:53]
	v_cmp_class_f64_e64 vcc, v[50:51], s63
	v_cmp_class_f64_e64 s[64:65], v[44:45], s63
	s_nop 0
	v_cndmask_b32_e32 v5, v54, v50, vcc
	v_cndmask_b32_e32 v49, v55, v51, vcc
	v_trunc_f64_e32 v[50:51], v[42:43]
	v_cmp_eq_f64_e32 vcc, v[50:51], v[42:43]
	v_mul_f64 v[50:51], v[42:43], 0.5
	v_trunc_f64_e32 v[52:53], v[50:51]
	v_cmp_neq_f64_e64 s[4:5], v[52:53], v[50:51]
	s_and_b64 s[4:5], vcc, s[4:5]
	v_cndmask_b32_e32 v51, 0, v5, vcc
	v_cndmask_b32_e64 v50, v46, v45, s[4:5]
	v_bfi_b32 v49, s62, v49, v50
	v_cndmask_b32_e32 v50, v48, v49, vcc
	v_cmp_gt_f64_e32 vcc, 0, v[44:45]
	s_nop 1
	v_cndmask_b32_e32 v5, v5, v51, vcc
	v_cndmask_b32_e32 v49, v49, v50, vcc
	v_cndmask_b32_e64 v50, v47, 0, s[6:7]
	v_cmp_neq_f64_e64 vcc, |v[44:45]|, 1.0
	v_cmp_eq_f64_e64 s[6:7], 0, v[44:45]
	s_xor_b64 s[8:9], s[8:9], s[6:7]
	v_cndmask_b32_e32 v50, v46, v50, vcc
	v_cmp_class_f64_e64 vcc, v[42:43], s63
	v_cndmask_b32_e64 v51, 0, v45, s[4:5]
	s_or_b64 s[4:5], s[6:7], s[64:65]
	v_cndmask_b32_e32 v49, v49, v50, vcc
	v_cndmask_b32_e64 v50, v47, 0, s[8:9]
	v_bfi_b32 v50, s62, v50, v51
	v_cndmask_b32_e64 v49, v49, v50, s[4:5]
	s_or_b64 s[4:5], s[4:5], vcc
	v_cndmask_b32_e64 v5, v5, 0, s[4:5]
	v_cmp_o_f64_e32 vcc, v[44:45], v[42:43]
	s_nop 1
	v_cndmask_b32_e32 v42, 0, v5, vcc
	v_cndmask_b32_e32 v43, v48, v49, vcc
	s_cbranch_execnz .LBB221_6
	s_branch .LBB221_11
.LBB221_10:                             ;   in Loop: Header=BB221_7 Depth=1
                                        ; implicit-def: $vgpr42_vgpr43
.LBB221_11:                             ;   in Loop: Header=BB221_7 Depth=1
	s_waitcnt vmcnt(0)
	v_mul_f64 v[42:43], v[40:41], v[40:41]
	s_branch .LBB221_6
.LBB221_12:
	s_or_b64 exec, exec, s[34:35]
.LBB221_13:
	s_or_b64 exec, exec, s[22:23]
; %bb.14:
	v_mbcnt_lo_u32_b32 v4, -1, 0
	v_mbcnt_hi_u32_b32 v11, -1, v4
	v_mov_b32_e32 v4, 0x80
	v_lshl_or_b32 v6, v11, 2, v4
	ds_bpermute_b32 v4, v6, v2
	ds_bpermute_b32 v5, v6, v3
	v_and_b32_e32 v13, 63, v11
	v_cmp_gt_u32_e32 vcc, 48, v13
	v_and_b32_e32 v12, 63, v0
	s_waitcnt lgkmcnt(0)
	v_add_f64 v[2:3], v[2:3], v[4:5]
	v_cndmask_b32_e64 v4, 0, 16, vcc
	v_add_lshl_u32 v7, v4, v11, 2
	ds_bpermute_b32 v4, v7, v2
	ds_bpermute_b32 v5, v7, v3
	v_cmp_gt_u32_e32 vcc, 56, v13
	s_barrier
	s_waitcnt lgkmcnt(0)
	v_add_f64 v[2:3], v[2:3], v[4:5]
	v_cndmask_b32_e64 v4, 0, 8, vcc
	v_add_lshl_u32 v8, v4, v11, 2
	ds_bpermute_b32 v4, v8, v2
	ds_bpermute_b32 v5, v8, v3
	v_cmp_gt_u32_e32 vcc, 60, v13
	s_waitcnt lgkmcnt(0)
	v_add_f64 v[2:3], v[2:3], v[4:5]
	v_cndmask_b32_e64 v4, 0, 4, vcc
	v_add_lshl_u32 v9, v4, v11, 2
	ds_bpermute_b32 v4, v9, v2
	ds_bpermute_b32 v5, v9, v3
	v_cmp_gt_u32_e32 vcc, 62, v13
	s_waitcnt lgkmcnt(0)
	v_add_f64 v[2:3], v[2:3], v[4:5]
	v_cndmask_b32_e64 v4, 0, 2, vcc
	v_add_lshl_u32 v10, v4, v11, 2
	ds_bpermute_b32 v4, v10, v2
	ds_bpermute_b32 v5, v10, v3
	v_cmp_ne_u32_e32 vcc, 63, v13
	s_waitcnt lgkmcnt(0)
	v_add_f64 v[2:3], v[2:3], v[4:5]
	v_addc_co_u32_e32 v4, vcc, 0, v11, vcc
	v_lshlrev_b32_e32 v11, 2, v4
	ds_bpermute_b32 v4, v11, v2
	ds_bpermute_b32 v5, v11, v3
	v_cmp_eq_u32_e32 vcc, 0, v12
	s_and_saveexec_b64 s[4:5], vcc
	s_cbranch_execz .LBB221_16
; %bb.15:
	v_lshrrev_b32_e32 v13, 3, v0
	v_add_u32_e32 v13, 0, v13
	s_waitcnt lgkmcnt(0)
	v_add_f64 v[2:3], v[2:3], v[4:5]
	ds_write_b64 v13, v[2:3]
.LBB221_16:
	s_or_b64 exec, exec, s[4:5]
	s_waitcnt lgkmcnt(0)
	s_barrier
	s_load_dword s22, s[0:1], 0x54
	v_mov_b64_e32 v[4:5], 0
	s_waitcnt lgkmcnt(0)
	s_bfe_u32 s0, s22, 0xa0006
	v_cmp_gt_u32_e32 vcc, s0, v0
	s_and_saveexec_b64 s[0:1], vcc
	s_cbranch_execnz .LBB221_27
; %bb.17:
	s_or_b64 exec, exec, s[0:1]
	v_cmp_gt_u32_e32 vcc, 64, v0
	s_and_saveexec_b64 s[0:1], vcc
	s_cbranch_execnz .LBB221_28
.LBB221_18:
	s_or_b64 exec, exec, s[0:1]
	v_cmp_eq_u32_e32 vcc, 0, v0
	s_and_saveexec_b64 s[8:9], vcc
	s_cbranch_execz .LBB221_20
.LBB221_19:
	v_div_scale_f64 v[2:3], s[0:1], s[18:19], s[18:19], 1.0
	v_rcp_f64_e32 v[6:7], v[2:3]
	v_div_scale_f64 v[8:9], vcc, 1.0, s[18:19], 1.0
	s_mov_b32 s1, 0x3fe55555
	v_fma_f64 v[10:11], -v[2:3], v[6:7], 1.0
	v_fmac_f64_e32 v[6:7], v[6:7], v[10:11]
	v_fma_f64 v[10:11], -v[2:3], v[6:7], 1.0
	v_fmac_f64_e32 v[6:7], v[6:7], v[10:11]
	v_mul_f64 v[10:11], v[8:9], v[6:7]
	v_fma_f64 v[2:3], -v[2:3], v[10:11], v[8:9]
	v_div_fmas_f64 v[2:3], v[2:3], v[6:7], v[10:11]
	v_div_fixup_f64 v[2:3], v[2:3], s[18:19], 1.0
	v_mov_b32_e32 v6, 0x3ff00000
	s_waitcnt lgkmcnt(0)
	v_cmp_neq_f64_e32 vcc, 1.0, v[4:5]
	s_mov_b32 s0, 0x55555555
	s_mov_b32 s4, 0x4222de17
	v_cndmask_b32_e32 v3, v6, v3, vcc
	v_cndmask_b32_e32 v2, 0, v2, vcc
	v_cmp_neq_f64_e32 vcc, 0, v[2:3]
	s_mov_b32 s5, 0x3fbdee67
	s_mov_b32 s7, 0x3c7abc9e
	v_cndmask_b32_e32 v5, v6, v5, vcc
	v_cndmask_b32_e32 v4, 0, v4, vcc
	v_frexp_mant_f64_e64 v[8:9], |v[4:5]|
	v_cmp_gt_f64_e32 vcc, s[0:1], v[8:9]
	v_frexp_exp_i32_f64_e32 v7, v[4:5]
	s_mov_b32 s6, 0x3b39803f
	v_cndmask_b32_e64 v10, 0, 1, vcc
	v_ldexp_f64 v[8:9], v[8:9], v10
	v_add_f64 v[10:11], v[8:9], 1.0
	v_rcp_f64_e32 v[12:13], v[10:11]
	v_add_f64 v[16:17], v[10:11], -1.0
	v_add_f64 v[14:15], v[8:9], -1.0
	v_add_f64 v[8:9], v[8:9], -v[16:17]
	v_fma_f64 v[16:17], -v[10:11], v[12:13], 1.0
	v_fmac_f64_e32 v[12:13], v[16:17], v[12:13]
	v_fma_f64 v[16:17], -v[10:11], v[12:13], 1.0
	v_fmac_f64_e32 v[12:13], v[16:17], v[12:13]
	v_mul_f64 v[16:17], v[14:15], v[12:13]
	v_mul_f64 v[18:19], v[10:11], v[16:17]
	v_fma_f64 v[10:11], v[16:17], v[10:11], -v[18:19]
	v_fmac_f64_e32 v[10:11], v[16:17], v[8:9]
	v_add_f64 v[8:9], v[18:19], v[10:11]
	v_add_f64 v[20:21], v[14:15], -v[8:9]
	v_add_f64 v[18:19], v[8:9], -v[18:19]
	;; [unrolled: 1-line block ×5, first 2 shown]
	v_add_f64 v[8:9], v[10:11], v[8:9]
	v_add_f64 v[8:9], v[20:21], v[8:9]
	v_mul_f64 v[8:9], v[12:13], v[8:9]
	v_add_f64 v[10:11], v[16:17], v[8:9]
	v_add_f64 v[12:13], v[10:11], -v[16:17]
	v_add_f64 v[8:9], v[8:9], -v[12:13]
	v_mul_f64 v[12:13], v[10:11], v[10:11]
	v_fma_f64 v[14:15], v[10:11], v[10:11], -v[12:13]
	v_add_f64 v[16:17], v[8:9], v[8:9]
	v_fmac_f64_e32 v[14:15], v[10:11], v[16:17]
	v_add_f64 v[16:17], v[12:13], v[14:15]
	v_add_f64 v[12:13], v[16:17], -v[12:13]
	v_add_f64 v[12:13], v[14:15], -v[12:13]
	v_mov_b32_e32 v14, 0x968915a9
	v_mov_b32_e32 v15, 0x3fba6564
	v_fmac_f64_e32 v[14:15], s[4:5], v[16:17]
	v_mov_b32_e32 v18, 0x3abe935a
	v_mov_b32_e32 v19, 0x3fbe25e4
	v_fmac_f64_e32 v[18:19], v[16:17], v[14:15]
	;; [unrolled: 3-line block ×6, first 2 shown]
	v_mov_b32_e32 v14, 0x924920da
	v_mov_b32_e32 v15, 0x3fd24924
	v_subbrev_co_u32_e32 v7, vcc, 0, v7, vcc
	v_fmac_f64_e32 v[14:15], v[16:17], v[18:19]
	v_mov_b32_e32 v18, 0x9999999c
	v_mov_b32_e32 v19, 0x3fd99999
	v_fmac_f64_e32 v[18:19], v[16:17], v[14:15]
	v_cvt_f64_i32_e32 v[14:15], v7
	s_mov_b32 s5, 0x3fe62e42
	s_mov_b32 s4, 0xfefa39ef
	v_mul_f64 v[20:21], v[14:15], s[4:5]
	v_mul_f64 v[26:27], v[10:11], v[16:17]
	v_fma_f64 v[22:23], v[14:15], s[4:5], -v[20:21]
	v_fma_f64 v[28:29], v[16:17], v[10:11], -v[26:27]
	v_fmac_f64_e32 v[22:23], s[6:7], v[14:15]
	v_fmac_f64_e32 v[28:29], v[16:17], v[8:9]
	v_add_f64 v[14:15], v[20:21], v[22:23]
	v_fmac_f64_e32 v[28:29], v[12:13], v[10:11]
	v_add_f64 v[20:21], v[14:15], -v[20:21]
	v_ldexp_f64 v[24:25], v[8:9], 1
	v_add_f64 v[8:9], v[26:27], v[28:29]
	v_add_f64 v[20:21], v[22:23], -v[20:21]
	v_ldexp_f64 v[22:23], v[10:11], 1
	v_add_f64 v[10:11], v[8:9], -v[26:27]
	v_mul_f64 v[26:27], v[16:17], v[18:19]
	v_fma_f64 v[16:17], v[16:17], v[18:19], -v[26:27]
	v_fmac_f64_e32 v[16:17], v[12:13], v[18:19]
	v_add_f64 v[12:13], v[26:27], v[16:17]
	v_add_f64 v[18:19], v[12:13], -v[26:27]
	v_add_f64 v[16:17], v[16:17], -v[18:19]
	v_add_f64 v[18:19], v[12:13], s[0:1]
	s_mov_b32 s1, 0xbfe55555
	v_add_f64 v[26:27], v[18:19], s[0:1]
	s_mov_b32 s0, 0xd5df274d
	s_mov_b32 s1, 0x3c8543b0
	v_add_f64 v[12:13], v[12:13], -v[26:27]
	v_add_f64 v[16:17], v[16:17], s[0:1]
	v_add_f64 v[12:13], v[16:17], v[12:13]
	;; [unrolled: 1-line block ×3, first 2 shown]
	v_add_f64 v[18:19], v[18:19], -v[16:17]
	v_add_f64 v[12:13], v[12:13], v[18:19]
	v_mul_f64 v[18:19], v[8:9], v[16:17]
	v_fma_f64 v[26:27], v[8:9], v[16:17], -v[18:19]
	v_add_f64 v[10:11], v[28:29], -v[10:11]
	v_fmac_f64_e32 v[26:27], v[8:9], v[12:13]
	v_fmac_f64_e32 v[26:27], v[10:11], v[16:17]
	v_add_f64 v[8:9], v[18:19], v[26:27]
	v_add_f64 v[10:11], v[8:9], -v[18:19]
	v_add_f64 v[12:13], v[22:23], v[8:9]
	v_add_f64 v[10:11], v[26:27], -v[10:11]
	v_add_f64 v[16:17], v[12:13], -v[22:23]
	;; [unrolled: 1-line block ×3, first 2 shown]
	v_add_f64 v[10:11], v[24:25], v[10:11]
	v_add_f64 v[8:9], v[10:11], v[8:9]
	;; [unrolled: 1-line block ×3, first 2 shown]
	v_add_f64 v[12:13], v[10:11], -v[12:13]
	v_add_f64 v[8:9], v[8:9], -v[12:13]
	v_add_f64 v[12:13], v[14:15], v[10:11]
	v_add_f64 v[16:17], v[12:13], -v[14:15]
	v_add_f64 v[18:19], v[12:13], -v[16:17]
	;; [unrolled: 1-line block ×4, first 2 shown]
	v_add_f64 v[10:11], v[10:11], v[14:15]
	v_add_f64 v[14:15], v[20:21], v[8:9]
	v_add_f64 v[16:17], v[14:15], -v[20:21]
	v_add_f64 v[10:11], v[14:15], v[10:11]
	v_add_f64 v[18:19], v[14:15], -v[16:17]
	v_add_f64 v[14:15], v[12:13], v[10:11]
	v_add_f64 v[18:19], v[20:21], -v[18:19]
	v_add_f64 v[8:9], v[8:9], -v[16:17]
	v_add_f64 v[12:13], v[14:15], -v[12:13]
	v_add_f64 v[8:9], v[8:9], v[18:19]
	v_add_f64 v[10:11], v[10:11], -v[12:13]
	v_add_f64 v[8:9], v[8:9], v[10:11]
	v_add_f64 v[10:11], v[14:15], v[8:9]
	v_add_f64 v[12:13], v[10:11], -v[14:15]
	v_add_f64 v[8:9], v[8:9], -v[12:13]
	v_mul_f64 v[12:13], v[2:3], v[10:11]
	v_fma_f64 v[10:11], v[2:3], v[10:11], -v[12:13]
	v_fmac_f64_e32 v[10:11], v[2:3], v[8:9]
	s_movk_i32 s18, 0x204
	v_add_f64 v[8:9], v[12:13], v[10:11]
	v_cmp_class_f64_e64 vcc, v[12:13], s18
	s_mov_b32 s0, 0
	v_add_f64 v[14:15], v[8:9], -v[12:13]
	v_cndmask_b32_e32 v9, v9, v13, vcc
	v_cndmask_b32_e32 v8, v8, v12, vcc
	s_mov_b32 s1, 0x7ff00000
	v_cmp_neq_f64_e64 vcc, |v[8:9]|, s[0:1]
	s_mov_b32 s0, 0x652b82fe
	s_mov_b32 s1, 0x3ff71547
	v_mul_f64 v[12:13], v[8:9], s[0:1]
	v_rndne_f64_e32 v[12:13], v[12:13]
	s_mov_b32 s5, 0xbfe62e42
	v_add_f64 v[10:11], v[10:11], -v[14:15]
	v_fma_f64 v[14:15], s[4:5], v[12:13], v[8:9]
	s_mov_b32 s7, 0xbc7abc9e
	s_mov_b32 s0, 0x6a5dcb37
	v_fmac_f64_e32 v[14:15], s[6:7], v[12:13]
	v_mov_b32_e32 v16, 0xfca7ab0c
	v_mov_b32_e32 v17, 0x3e928af3
	s_mov_b32 s1, 0x3e5ade15
	v_fmac_f64_e32 v[16:17], s[0:1], v[14:15]
	v_mov_b32_e32 v18, 0x623fde64
	v_mov_b32_e32 v19, 0x3ec71dee
	v_fmac_f64_e32 v[18:19], v[14:15], v[16:17]
	v_mov_b32_e32 v16, 0x7c89e6b0
	v_mov_b32_e32 v17, 0x3efa0199
	;; [unrolled: 3-line block ×8, first 2 shown]
	s_mov_b32 s0, 0
	v_fmac_f64_e32 v[16:17], v[14:15], v[18:19]
	s_mov_b32 s1, 0x40900000
	v_cndmask_b32_e32 v11, 0, v11, vcc
	v_cndmask_b32_e32 v10, 0, v10, vcc
	v_fma_f64 v[16:17], v[14:15], v[16:17], 1.0
	v_cmp_nlt_f64_e32 vcc, s[0:1], v[8:9]
	s_mov_b32 s0, 0
	v_fma_f64 v[14:15], v[14:15], v[16:17], 1.0
	v_cvt_i32_f64_e32 v7, v[12:13]
	s_mov_b32 s1, 0xc090cc00
	v_ldexp_f64 v[12:13], v[14:15], v7
	v_mov_b32_e32 v7, 0x7ff00000
	v_cmp_ngt_f64_e64 s[0:1], s[0:1], v[8:9]
	v_cndmask_b32_e32 v13, v7, v13, vcc
	s_and_b64 vcc, s[0:1], vcc
	v_cndmask_b32_e64 v9, 0, v13, s[0:1]
	v_cndmask_b32_e32 v8, 0, v12, vcc
	v_mov_b64_e32 v[12:13], v[8:9]
	v_fmac_f64_e32 v[12:13], v[12:13], v[10:11]
	v_cmp_class_f64_e64 vcc, v[8:9], s18
	s_brev_b32 s23, -2
	v_mov_b32_e32 v14, 0x7ff80000
	v_cndmask_b32_e32 v12, v12, v8, vcc
	v_cndmask_b32_e32 v13, v13, v9, vcc
	v_trunc_f64_e32 v[8:9], v[2:3]
	v_cmp_eq_f64_e32 vcc, v[8:9], v[2:3]
	v_mul_f64 v[8:9], v[2:3], 0.5
	v_trunc_f64_e32 v[10:11], v[8:9]
	v_cmp_neq_f64_e64 s[0:1], v[10:11], v[8:9]
	s_and_b64 s[0:1], vcc, s[0:1]
	v_cmp_neq_f64_e64 s[4:5], v[2:3], |v[2:3]|
	v_cndmask_b32_e64 v8, v6, v5, s[0:1]
	v_bfi_b32 v8, s23, v13, v8
	v_cmp_lt_f64_e64 s[6:7], |v[4:5]|, 1.0
	v_cndmask_b32_e32 v9, v14, v8, vcc
	v_cndmask_b32_e32 v10, 0, v12, vcc
	v_cmp_gt_f64_e32 vcc, 0, v[4:5]
	s_xor_b64 s[4:5], s[4:5], s[6:7]
	v_cmp_gt_f64_e64 s[6:7], 0, v[2:3]
	v_cndmask_b32_e32 v10, v12, v10, vcc
	v_cndmask_b32_e32 v8, v8, v9, vcc
	v_cndmask_b32_e64 v9, v7, 0, s[4:5]
	v_cmp_neq_f64_e64 vcc, |v[4:5]|, 1.0
	v_cmp_eq_f64_e64 s[4:5], 0, v[4:5]
	s_xor_b64 s[6:7], s[6:7], s[4:5]
	v_cndmask_b32_e32 v6, v6, v9, vcc
	v_cmp_class_f64_e64 vcc, v[2:3], s18
	v_cmp_class_f64_e64 s[18:19], v[4:5], s18
	v_cndmask_b32_e64 v7, v7, 0, s[6:7]
	v_cndmask_b32_e32 v6, v8, v6, vcc
	v_cndmask_b32_e64 v8, 0, v5, s[0:1]
	v_bfi_b32 v7, s23, v7, v8
	s_or_b64 s[0:1], s[4:5], s[18:19]
	v_cndmask_b32_e64 v6, v6, v7, s[0:1]
	s_or_b64 s[0:1], s[0:1], vcc
	v_cndmask_b32_e64 v7, v10, 0, s[0:1]
	v_cmp_o_f64_e32 vcc, v[4:5], v[2:3]
	v_mov_b32_e32 v4, 0
	s_nop 0
	v_cndmask_b32_e32 v2, 0, v7, vcc
	v_cndmask_b32_e32 v3, v14, v6, vcc
	ds_write_b64 v4, v[2:3]
.LBB221_20:
	s_or_b64 exec, exec, s[8:9]
	v_mov_b32_e32 v2, 0
	s_waitcnt lgkmcnt(0)
	s_barrier
	ds_read_b64 v[2:3], v2
	s_waitcnt lgkmcnt(0)
	v_cmp_nlt_f64_e32 vcc, s[16:17], v[2:3]
	s_cbranch_vccnz .LBB221_25
; %bb.21:
	s_and_saveexec_b64 s[0:1], s[2:3]
	s_cbranch_execz .LBB221_24
; %bb.22:
	s_mov_b32 s2, 0x9abcaf48
	s_mov_b32 s3, 0x3e7ad7f2
	v_add_f64 v[2:3], v[2:3], s[2:3]
	v_div_scale_f64 v[4:5], s[2:3], v[2:3], v[2:3], s[16:17]
	v_rcp_f64_e32 v[6:7], v[4:5]
	s_and_b32 s6, 0xffff, s22
	s_lshl_b64 s[2:3], s[14:15], 3
	s_add_u32 s2, s12, s2
	v_fma_f64 v[8:9], -v[4:5], v[6:7], 1.0
	v_fmac_f64_e32 v[6:7], v[6:7], v[8:9]
	v_fma_f64 v[8:9], -v[4:5], v[6:7], 1.0
	v_fmac_f64_e32 v[6:7], v[6:7], v[8:9]
	v_div_scale_f64 v[8:9], vcc, s[16:17], v[2:3], s[16:17]
	v_mul_f64 v[10:11], v[8:9], v[6:7]
	v_fma_f64 v[4:5], -v[4:5], v[10:11], v[8:9]
	s_addc_u32 s3, s13, s3
	s_nop 0
	v_div_fmas_f64 v[4:5], v[4:5], v[6:7], v[10:11]
	v_div_fixup_f64 v[2:3], v[4:5], v[2:3], s[16:17]
	v_add_u32_e32 v4, s6, v0
	s_mov_b64 s[4:5], 0
.LBB221_23:                             ; =>This Inner Loop Header: Depth=1
	v_mul_lo_u32 v5, v1, s26
	v_mul_lo_u32 v6, v0, s27
	v_mad_u64_u32 v[0:1], s[8:9], v0, s26, 0
	v_add3_u32 v1, v1, v6, v5
	v_lshl_add_u64 v[6:7], v[0:1], 3, s[2:3]
	global_load_dwordx2 v[8:9], v[6:7], off
	v_ashrrev_i32_e32 v5, 31, v4
	v_cmp_le_i64_e32 vcc, s[20:21], v[4:5]
	v_mov_b64_e32 v[0:1], v[4:5]
	v_add_u32_e32 v4, s6, v4
	s_or_b64 s[4:5], vcc, s[4:5]
	s_waitcnt vmcnt(0)
	v_mul_f64 v[8:9], v[2:3], v[8:9]
	global_store_dwordx2 v[6:7], v[8:9], off
	s_andn2_b64 exec, exec, s[4:5]
	s_cbranch_execnz .LBB221_23
.LBB221_24:
	s_or_b64 exec, exec, s[0:1]
.LBB221_25:
	s_and_b64 vcc, exec, s[10:11]
	s_cbranch_vccnz .LBB221_30
.LBB221_26:
	s_endpgm
.LBB221_27:
	v_lshl_add_u32 v2, v12, 3, 0
	ds_read_b64 v[4:5], v2
	s_or_b64 exec, exec, s[0:1]
	v_cmp_gt_u32_e32 vcc, 64, v0
	s_and_saveexec_b64 s[0:1], vcc
	s_cbranch_execz .LBB221_18
.LBB221_28:
	s_waitcnt lgkmcnt(0)
	ds_bpermute_b32 v2, v6, v4
	ds_bpermute_b32 v3, v6, v5
	s_waitcnt lgkmcnt(0)
	v_add_f64 v[2:3], v[4:5], v[2:3]
	ds_bpermute_b32 v4, v7, v2
	ds_bpermute_b32 v5, v7, v3
	s_waitcnt lgkmcnt(0)
	v_add_f64 v[2:3], v[2:3], v[4:5]
	;; [unrolled: 4-line block ×6, first 2 shown]
	s_or_b64 exec, exec, s[0:1]
	v_cmp_eq_u32_e32 vcc, 0, v0
	s_and_saveexec_b64 s[8:9], vcc
	s_cbranch_execnz .LBB221_19
	s_branch .LBB221_20
.LBB221_29:
	s_cbranch_execz .LBB221_26
.LBB221_30:
	s_trap 2
	; divergent unreachable
	s_endpgm
	.section	.rodata,"a",@progbits
	.p2align	6, 0x0
	.amdhsa_kernel _ZN2at6native12_GLOBAL__N_113renorm_kernelIddKiEEvPT_PT1_T0_S8_llllPKl
		.amdhsa_group_segment_fixed_size 0
		.amdhsa_private_segment_fixed_size 0
		.amdhsa_kernarg_size 328
		.amdhsa_user_sgpr_count 2
		.amdhsa_user_sgpr_dispatch_ptr 0
		.amdhsa_user_sgpr_queue_ptr 0
		.amdhsa_user_sgpr_kernarg_segment_ptr 1
		.amdhsa_user_sgpr_dispatch_id 0
		.amdhsa_user_sgpr_kernarg_preload_length 0
		.amdhsa_user_sgpr_kernarg_preload_offset 0
		.amdhsa_user_sgpr_private_segment_size 0
		.amdhsa_uses_dynamic_stack 0
		.amdhsa_enable_private_segment 0
		.amdhsa_system_sgpr_workgroup_id_x 1
		.amdhsa_system_sgpr_workgroup_id_y 0
		.amdhsa_system_sgpr_workgroup_id_z 0
		.amdhsa_system_sgpr_workgroup_info 0
		.amdhsa_system_vgpr_workitem_id 0
		.amdhsa_next_free_vgpr 68
		.amdhsa_next_free_sgpr 66
		.amdhsa_accum_offset 68
		.amdhsa_reserve_vcc 1
		.amdhsa_float_round_mode_32 0
		.amdhsa_float_round_mode_16_64 0
		.amdhsa_float_denorm_mode_32 3
		.amdhsa_float_denorm_mode_16_64 3
		.amdhsa_dx10_clamp 1
		.amdhsa_ieee_mode 1
		.amdhsa_fp16_overflow 0
		.amdhsa_tg_split 0
		.amdhsa_exception_fp_ieee_invalid_op 0
		.amdhsa_exception_fp_denorm_src 0
		.amdhsa_exception_fp_ieee_div_zero 0
		.amdhsa_exception_fp_ieee_overflow 0
		.amdhsa_exception_fp_ieee_underflow 0
		.amdhsa_exception_fp_ieee_inexact 0
		.amdhsa_exception_int_div_zero 0
	.end_amdhsa_kernel
	.section	.text._ZN2at6native12_GLOBAL__N_113renorm_kernelIddKiEEvPT_PT1_T0_S8_llllPKl,"axG",@progbits,_ZN2at6native12_GLOBAL__N_113renorm_kernelIddKiEEvPT_PT1_T0_S8_llllPKl,comdat
.Lfunc_end221:
	.size	_ZN2at6native12_GLOBAL__N_113renorm_kernelIddKiEEvPT_PT1_T0_S8_llllPKl, .Lfunc_end221-_ZN2at6native12_GLOBAL__N_113renorm_kernelIddKiEEvPT_PT1_T0_S8_llllPKl
                                        ; -- End function
	.set _ZN2at6native12_GLOBAL__N_113renorm_kernelIddKiEEvPT_PT1_T0_S8_llllPKl.num_vgpr, 68
	.set _ZN2at6native12_GLOBAL__N_113renorm_kernelIddKiEEvPT_PT1_T0_S8_llllPKl.num_agpr, 0
	.set _ZN2at6native12_GLOBAL__N_113renorm_kernelIddKiEEvPT_PT1_T0_S8_llllPKl.numbered_sgpr, 66
	.set _ZN2at6native12_GLOBAL__N_113renorm_kernelIddKiEEvPT_PT1_T0_S8_llllPKl.num_named_barrier, 0
	.set _ZN2at6native12_GLOBAL__N_113renorm_kernelIddKiEEvPT_PT1_T0_S8_llllPKl.private_seg_size, 0
	.set _ZN2at6native12_GLOBAL__N_113renorm_kernelIddKiEEvPT_PT1_T0_S8_llllPKl.uses_vcc, 1
	.set _ZN2at6native12_GLOBAL__N_113renorm_kernelIddKiEEvPT_PT1_T0_S8_llllPKl.uses_flat_scratch, 0
	.set _ZN2at6native12_GLOBAL__N_113renorm_kernelIddKiEEvPT_PT1_T0_S8_llllPKl.has_dyn_sized_stack, 0
	.set _ZN2at6native12_GLOBAL__N_113renorm_kernelIddKiEEvPT_PT1_T0_S8_llllPKl.has_recursion, 0
	.set _ZN2at6native12_GLOBAL__N_113renorm_kernelIddKiEEvPT_PT1_T0_S8_llllPKl.has_indirect_call, 0
	.section	.AMDGPU.csdata,"",@progbits
; Kernel info:
; codeLenInByte = 4980
; TotalNumSgprs: 72
; NumVgprs: 68
; NumAgprs: 0
; TotalNumVgprs: 68
; ScratchSize: 0
; MemoryBound: 0
; FloatMode: 240
; IeeeMode: 1
; LDSByteSize: 0 bytes/workgroup (compile time only)
; SGPRBlocks: 8
; VGPRBlocks: 8
; NumSGPRsForWavesPerEU: 72
; NumVGPRsForWavesPerEU: 68
; AccumOffset: 68
; Occupancy: 7
; WaveLimiterHint : 1
; COMPUTE_PGM_RSRC2:SCRATCH_EN: 0
; COMPUTE_PGM_RSRC2:USER_SGPR: 2
; COMPUTE_PGM_RSRC2:TRAP_HANDLER: 0
; COMPUTE_PGM_RSRC2:TGID_X_EN: 1
; COMPUTE_PGM_RSRC2:TGID_Y_EN: 0
; COMPUTE_PGM_RSRC2:TGID_Z_EN: 0
; COMPUTE_PGM_RSRC2:TIDIG_COMP_CNT: 0
; COMPUTE_PGM_RSRC3_GFX90A:ACCUM_OFFSET: 16
; COMPUTE_PGM_RSRC3_GFX90A:TG_SPLIT: 0
	.section	.text._ZN2at6native12_GLOBAL__N_113renorm_kernelIffKiEEvPT_PT1_T0_S8_llllPKl,"axG",@progbits,_ZN2at6native12_GLOBAL__N_113renorm_kernelIffKiEEvPT_PT1_T0_S8_llllPKl,comdat
	.globl	_ZN2at6native12_GLOBAL__N_113renorm_kernelIffKiEEvPT_PT1_T0_S8_llllPKl ; -- Begin function _ZN2at6native12_GLOBAL__N_113renorm_kernelIffKiEEvPT_PT1_T0_S8_llllPKl
	.p2align	8
	.type	_ZN2at6native12_GLOBAL__N_113renorm_kernelIffKiEEvPT_PT1_T0_S8_llllPKl,@function
_ZN2at6native12_GLOBAL__N_113renorm_kernelIffKiEEvPT_PT1_T0_S8_llllPKl: ; @_ZN2at6native12_GLOBAL__N_113renorm_kernelIffKiEEvPT_PT1_T0_S8_llllPKl
; %bb.0:
	s_load_dwordx2 s[4:5], s[0:1], 0x38
	s_mov_b32 s3, 0
	v_mov_b64_e32 v[2:3], s[2:3]
	s_waitcnt lgkmcnt(0)
	s_load_dwordx2 s[4:5], s[4:5], 0x0
	s_waitcnt lgkmcnt(0)
	v_cmp_le_i64_e32 vcc, s[4:5], v[2:3]
	s_cbranch_vccnz .LBB222_26
; %bb.1:
	s_load_dwordx4 s[16:19], s[0:1], 0x0
	s_lshl_b64 s[2:3], s[2:3], 2
	s_waitcnt lgkmcnt(0)
	s_add_u32 s2, s18, s2
	s_addc_u32 s3, s19, s3
	s_load_dword s2, s[2:3], 0x0
	s_waitcnt lgkmcnt(0)
	s_cmp_lt_i32 s2, 0
	s_cbranch_scc1 .LBB222_29
; %bb.2:
	s_load_dwordx8 s[8:15], s[0:1], 0x18
	s_ashr_i32 s3, s2, 31
	s_getpc_b64 s[4:5]
	s_add_u32 s4, s4, .str.4@rel32@lo+4
	s_addc_u32 s5, s5, .str.4@rel32@hi+12
	v_mov_b64_e32 v[2:3], s[2:3]
	s_cmp_eq_u64 s[4:5], 0
	s_waitcnt lgkmcnt(0)
	v_cmp_le_i64_e32 vcc, s[10:11], v[2:3]
	s_cselect_b64 s[4:5], -1, 0
	s_or_b64 s[10:11], vcc, s[4:5]
	s_andn2_b64 vcc, exec, s[10:11]
	s_cbranch_vccz .LBB222_25
; %bb.3:
	s_load_dwordx2 s[18:19], s[0:1], 0x10
	s_mul_i32 s3, s12, s3
	s_mul_hi_u32 s4, s12, s2
	s_add_i32 s3, s4, s3
	s_mul_i32 s4, s13, s2
	v_mov_b32_e32 v1, 0
	s_add_i32 s13, s3, s4
	s_mul_i32 s12, s12, s2
	v_cmp_gt_i64_e64 s[2:3], s[8:9], v[0:1]
	v_mov_b32_e32 v6, v1
	s_and_saveexec_b64 s[20:21], s[2:3]
	s_cbranch_execz .LBB222_13
; %bb.4:
	s_load_dword s6, s[0:1], 0x4c
	s_lshl_b64 s[4:5], s[12:13], 2
	s_add_u32 s22, s16, s4
	s_addc_u32 s23, s17, s5
	s_waitcnt lgkmcnt(0)
	v_cmp_neq_f32_e64 s[24:25], s19, 1.0
	s_and_b32 s30, s6, 0xffff
	v_cmp_neq_f32_e64 s[26:27], s19, 2.0
	v_add_u32_e32 v2, s30, v0
	v_mov_b32_e32 v6, 0
	s_mov_b64 s[28:29], 0
	s_brev_b32 s31, -2
	s_mov_b32 s33, 0x3f2aaaab
	v_mov_b32_e32 v7, 0x3e91f4c4
	s_mov_b32 s34, 0x3f317218
	s_movk_i32 s35, 0x204
	s_mov_b32 s36, 0x7f800000
	s_mov_b32 s37, 0x42b17218
	;; [unrolled: 1-line block ×4, first 2 shown]
	v_mov_b32_e32 v8, 0x37000000
	v_mov_b32_e32 v9, 0x7f800000
	;; [unrolled: 1-line block ×3, first 2 shown]
	v_mov_b64_e32 v[4:5], v[0:1]
                                        ; implicit-def: $vgpr3
	s_branch .LBB222_7
.LBB222_5:                              ;   in Loop: Header=BB222_7 Depth=1
	s_waitcnt vmcnt(0)
	v_and_b32_e32 v4, 0x7fffffff, v3
.LBB222_6:                              ;   in Loop: Header=BB222_7 Depth=1
	s_waitcnt vmcnt(0)
	v_ashrrev_i32_e32 v3, 31, v2
	v_cmp_le_i64_e32 vcc, s[8:9], v[2:3]
	v_add_f32_e32 v6, v6, v4
	v_mov_b64_e32 v[4:5], v[2:3]
	s_or_b64 s[28:29], vcc, s[28:29]
	v_add_u32_e32 v2, s30, v2
	s_andn2_b64 exec, exec, s[28:29]
	s_cbranch_execz .LBB222_12
.LBB222_7:                              ; =>This Inner Loop Header: Depth=1
	v_mul_lo_u32 v3, v5, s14
	v_mul_lo_u32 v11, v4, s15
	v_mad_u64_u32 v[4:5], s[4:5], v4, s14, 0
	v_add3_u32 v5, v5, v11, v3
	v_lshl_add_u64 v[4:5], v[4:5], 2, s[22:23]
	global_load_dword v3, v[4:5], off
	s_and_b64 vcc, exec, s[24:25]
	s_cbranch_vccz .LBB222_5
; %bb.8:                                ;   in Loop: Header=BB222_7 Depth=1
	s_and_b64 vcc, exec, s[26:27]
	s_cbranch_vccz .LBB222_10
; %bb.9:                                ;   in Loop: Header=BB222_7 Depth=1
	v_mov_b32_e32 v4, s19
	s_waitcnt vmcnt(0)
	v_cmp_neq_f32_e32 vcc, 1.0, v3
	s_nop 1
	v_cndmask_b32_e32 v11, 1.0, v4, vcc
	v_cmp_neq_f32_e32 vcc, 0, v11
	v_cmp_neq_f32_e64 s[6:7], v11, |v11|
	s_nop 0
	v_cndmask_b32_e32 v24, 1.0, v3, vcc
	v_frexp_mant_f32_e64 v4, |v24|
	v_cmp_gt_f32_e32 vcc, s33, v4
	v_cmp_lt_f32_e64 s[40:41], |v24|, 1.0
	s_xor_b64 s[6:7], s[6:7], s[40:41]
	v_cndmask_b32_e64 v5, 1.0, 2.0, vcc
	v_mul_f32_e32 v4, v4, v5
	v_add_f32_e32 v13, 1.0, v4
	v_rcp_f32_e32 v18, v13
	v_add_f32_e32 v5, -1.0, v13
	v_sub_f32_e32 v15, v4, v5
	v_add_f32_e32 v5, -1.0, v4
	v_mul_f32_e32 v19, v5, v18
	v_mul_f32_e32 v12, v13, v19
	v_fma_f32 v14, v19, v13, -v12
	v_fmac_f32_e32 v14, v19, v15
	v_add_f32_e32 v4, v12, v14
	v_sub_f32_e32 v13, v5, v4
	v_pk_add_f32 v[16:17], v[4:5], v[12:13] neg_lo:[0,1] neg_hi:[0,1]
	v_mov_b32_e32 v15, v4
	v_pk_add_f32 v[4:5], v[16:17], v[14:15] neg_lo:[0,1] neg_hi:[0,1]
	v_cmp_class_f32_e64 s[40:41], v24, s35
	v_add_f32_e32 v4, v4, v5
	v_add_f32_e32 v4, v13, v4
	v_mul_f32_e32 v5, v18, v4
	v_add_f32_e32 v4, v19, v5
	v_sub_f32_e32 v12, v4, v19
	v_sub_f32_e32 v20, v5, v12
	v_mul_f32_e32 v5, v4, v4
	v_fma_f32 v13, v4, v4, -v5
	v_add_f32_e32 v12, v20, v20
	v_fmac_f32_e32 v13, v4, v12
	v_add_f32_e32 v12, v5, v13
	v_fmamk_f32 v14, v12, 0x3e76c4e1, v7
	v_fmaak_f32 v14, v12, v14, 0x3ecccdef
	v_sub_f32_e32 v5, v12, v5
	v_sub_f32_e32 v21, v13, v5
	v_mul_f32_e32 v5, v12, v14
	v_fma_f32 v13, v12, v14, -v5
	v_fmac_f32_e32 v13, v21, v14
	v_add_f32_e32 v14, v5, v13
	v_add_f32_e32 v15, 0x3f2aaaaa, v14
	v_sub_f32_e32 v5, v14, v5
	v_sub_f32_e32 v5, v13, v5
	v_add_f32_e32 v13, 0xbf2aaaaa, v15
	v_add_f32_e32 v5, 0x31739010, v5
	v_sub_f32_e32 v13, v14, v13
	v_pk_mul_f32 v[16:17], v[4:5], v[12:13]
	v_pk_add_f32 v[18:19], v[4:5], v[12:13]
	v_fma_f32 v14, v12, v4, -v16
	v_fmac_f32_e32 v14, v12, v20
	v_mov_b32_e32 v17, v19
	v_fmac_f32_e32 v14, v21, v4
	v_pk_add_f32 v[12:13], v[16:17], v[14:15]
	v_ldexp_f32 v22, v20, 1
	v_sub_f32_e32 v5, v12, v16
	v_sub_f32_e32 v5, v14, v5
	;; [unrolled: 1-line block ×3, first 2 shown]
	v_add_f32_e32 v18, v19, v14
	v_pk_mul_f32 v[14:15], v[12:13], v[12:13] op_sel:[0,1] op_sel_hi:[1,0]
	v_cvt_f64_f32_e64 v[16:17], |v24|
	v_frexp_exp_i32_f64_e32 v15, v[16:17]
	v_subbrev_co_u32_e32 v15, vcc, 0, v15, vcc
	v_cvt_f32_i32_e32 v15, v15
	v_fma_f32 v16, v12, v13, -v14
	v_fmac_f32_e32 v16, v12, v18
	v_fmac_f32_e32 v16, v5, v13
	v_mul_f32_e32 v12, 0x3f317218, v15
	v_fma_f32 v18, v15, s34, -v12
	v_fmac_f32_e32 v18, 0xb102e308, v15
	v_ldexp_f32 v19, v4, 1
	v_add_f32_e32 v13, v14, v16
	v_pk_add_f32 v[4:5], v[12:13], v[18:19]
	v_mov_b32_e32 v20, v13
	v_mov_b32_e32 v21, v5
	;; [unrolled: 1-line block ×3, first 2 shown]
	v_pk_add_f32 v[14:15], v[20:21], v[14:15] neg_lo:[0,1] neg_hi:[0,1]
	v_mov_b32_e32 v17, v13
	v_pk_add_f32 v[14:15], v[16:17], v[14:15] neg_lo:[0,1] neg_hi:[0,1]
	v_mov_b32_e32 v19, v4
	v_add_f32_e32 v13, v22, v14
	v_add_f32_e32 v13, v13, v15
	v_pk_add_f32 v[14:15], v[4:5], v[12:13] neg_lo:[0,1] neg_hi:[0,1]
	v_pk_add_f32 v[16:17], v[4:5], v[12:13]
	v_mov_b32_e32 v12, v13
	v_mov_b32_e32 v15, v17
	v_pk_add_f32 v[20:21], v[18:19], v[14:15] neg_lo:[0,1] neg_hi:[0,1]
	v_pk_add_f32 v[14:15], v[18:19], v[14:15]
	v_mov_b32_e32 v13, v4
	v_pk_add_f32 v[18:19], v[14:15], v[4:5] op_sel:[1,0] op_sel_hi:[0,1] neg_lo:[0,1] neg_hi:[0,1]
	v_pk_add_f32 v[22:23], v[16:17], v[18:19] op_sel_hi:[1,0] neg_lo:[0,1] neg_hi:[0,1]
	v_mov_b32_e32 v16, v17
	v_mov_b32_e32 v17, v15
	v_pk_mov_b32 v[18:19], v[4:5], v[18:19] op_sel:[1,0]
	v_mov_b32_e32 v22, v20
	v_pk_add_f32 v[16:17], v[16:17], v[18:19] neg_lo:[0,1] neg_hi:[0,1]
	v_mov_b32_e32 v21, v15
	v_pk_add_f32 v[4:5], v[12:13], v[16:17] neg_lo:[0,1] neg_hi:[0,1]
	s_nop 0
	v_pk_add_f32 v[12:13], v[22:23], v[4:5]
	s_nop 0
	v_pk_add_f32 v[16:17], v[12:13], v[12:13] op_sel:[0,1] op_sel_hi:[1,0]
	s_nop 0
	v_pk_add_f32 v[14:15], v[14:15], v[16:17] op_sel:[1,0] op_sel_hi:[0,1]
	v_mov_b32_e32 v13, v14
	v_pk_add_f32 v[18:19], v[12:13], v[20:21] neg_lo:[0,1] neg_hi:[0,1]
	v_mov_b32_e32 v5, v16
	v_sub_f32_e32 v12, v12, v18
	v_pk_add_f32 v[4:5], v[4:5], v[18:19] neg_lo:[0,1] neg_hi:[0,1]
	v_sub_f32_e32 v12, v20, v12
	v_add_f32_e32 v4, v4, v12
	v_add_f32_e32 v4, v4, v5
	v_add_f32_e32 v5, v14, v4
	v_sub_f32_e32 v12, v5, v14
	v_sub_f32_e32 v4, v4, v12
	v_mul_f32_e32 v12, v11, v5
	v_fma_f32 v5, v11, v5, -v12
	v_fmac_f32_e32 v5, v11, v4
	v_add_f32_e32 v4, v12, v5
	v_cmp_class_f32_e64 vcc, v12, s35
	v_sub_f32_e32 v13, v4, v12
	v_sub_f32_e32 v5, v5, v13
	v_cndmask_b32_e32 v4, v4, v12, vcc
	v_cmp_eq_f32_e32 vcc, s37, v4
	s_nop 1
	v_cndmask_b32_e32 v12, 0, v8, vcc
	v_sub_f32_e32 v13, v4, v12
	v_mul_f32_e32 v14, 0x3fb8aa3b, v13
	v_fma_f32 v15, v13, s38, -v14
	v_rndne_f32_e32 v16, v14
	v_fmac_f32_e32 v15, 0x32a5705f, v13
	v_sub_f32_e32 v14, v14, v16
	v_add_f32_e32 v14, v14, v15
	v_exp_f32_e32 v14, v14
	v_cvt_i32_f32_e32 v15, v16
	v_cmp_neq_f32_e64 vcc, |v4|, s36
	s_nop 1
	v_cndmask_b32_e32 v4, 0, v5, vcc
	v_ldexp_f32 v5, v14, v15
	v_cmp_ngt_f32_e32 vcc, s39, v13
	v_add_f32_e32 v4, v12, v4
	s_nop 0
	v_cndmask_b32_e32 v5, 0, v5, vcc
	v_cmp_nlt_f32_e32 vcc, s37, v13
	s_nop 1
	v_cndmask_b32_e32 v5, v9, v5, vcc
	v_fma_f32 v4, v5, v4, v5
	v_cmp_class_f32_e64 vcc, v5, s35
	s_nop 1
	v_cndmask_b32_e32 v4, v4, v5, vcc
	v_trunc_f32_e32 v5, v11
	v_cmp_eq_f32_e32 vcc, v5, v11
	v_mul_f32_e32 v5, 0.5, v11
	v_trunc_f32_e32 v12, v5
	v_cmp_neq_f32_e64 s[4:5], v12, v5
	s_and_b64 s[4:5], vcc, s[4:5]
	s_nop 0
	v_cndmask_b32_e64 v5, 1.0, v24, s[4:5]
	v_bfi_b32 v4, s31, v4, v5
	v_cndmask_b32_e32 v5, v10, v4, vcc
	v_cmp_gt_f32_e32 vcc, 0, v24
	v_cndmask_b32_e64 v12, 0, v24, s[4:5]
	s_nop 0
	v_cndmask_b32_e32 v4, v4, v5, vcc
	v_cndmask_b32_e64 v5, v9, 0, s[6:7]
	v_cmp_neq_f32_e64 vcc, |v24|, 1.0
	v_cmp_gt_f32_e64 s[6:7], 0, v11
	s_nop 0
	v_cndmask_b32_e32 v5, 1.0, v5, vcc
	v_cmp_class_f32_e64 vcc, v11, s35
	s_nop 1
	v_cndmask_b32_e32 v4, v4, v5, vcc
	v_cmp_eq_f32_e32 vcc, 0, v24
	s_xor_b64 s[6:7], s[6:7], vcc
	v_cndmask_b32_e64 v5, v9, 0, s[6:7]
	v_bfi_b32 v5, s31, v5, v12
	s_or_b64 vcc, vcc, s[40:41]
	v_cndmask_b32_e32 v4, v4, v5, vcc
	v_cmp_o_f32_e32 vcc, v24, v11
	s_nop 1
	v_cndmask_b32_e32 v4, v10, v4, vcc
	s_cbranch_execnz .LBB222_6
	s_branch .LBB222_11
.LBB222_10:                             ;   in Loop: Header=BB222_7 Depth=1
                                        ; implicit-def: $vgpr4
.LBB222_11:                             ;   in Loop: Header=BB222_7 Depth=1
	s_waitcnt vmcnt(0)
	v_mul_f32_e32 v4, v3, v3
	s_branch .LBB222_6
.LBB222_12:
	s_or_b64 exec, exec, s[28:29]
.LBB222_13:
	s_or_b64 exec, exec, s[20:21]
; %bb.14:
	v_mbcnt_lo_u32_b32 v2, -1, 0
	v_mbcnt_hi_u32_b32 v7, -1, v2
	v_mov_b32_e32 v2, 0x80
	v_lshl_or_b32 v2, v7, 2, v2
	ds_bpermute_b32 v3, v2, v6
	v_and_b32_e32 v8, 63, v7
	v_cmp_gt_u32_e32 vcc, 48, v8
	s_waitcnt lgkmcnt(0)
	s_barrier
	v_cndmask_b32_e64 v4, 0, 16, vcc
	v_add_f32_e32 v5, v6, v3
	v_add_lshl_u32 v3, v4, v7, 2
	ds_bpermute_b32 v6, v3, v5
	v_cmp_gt_u32_e32 vcc, 56, v8
	s_waitcnt lgkmcnt(0)
	v_add_f32_e32 v6, v5, v6
	v_cndmask_b32_e64 v4, 0, 8, vcc
	v_add_lshl_u32 v4, v4, v7, 2
	ds_bpermute_b32 v9, v4, v6
	v_cmp_gt_u32_e32 vcc, 60, v8
	s_waitcnt lgkmcnt(0)
	v_add_f32_e32 v9, v6, v9
	v_cndmask_b32_e64 v5, 0, 4, vcc
	;; [unrolled: 6-line block ×3, first 2 shown]
	v_add_lshl_u32 v6, v6, v7, 2
	ds_bpermute_b32 v11, v6, v10
	v_cmp_ne_u32_e32 vcc, 63, v8
	v_and_b32_e32 v9, 63, v0
	s_waitcnt lgkmcnt(0)
	v_add_f32_e32 v8, v10, v11
	v_addc_co_u32_e32 v7, vcc, 0, v7, vcc
	v_lshlrev_b32_e32 v7, 2, v7
	ds_bpermute_b32 v10, v7, v8
	v_cmp_eq_u32_e32 vcc, 0, v9
	s_and_saveexec_b64 s[4:5], vcc
	s_cbranch_execz .LBB222_16
; %bb.15:
	s_waitcnt lgkmcnt(0)
	v_add_f32_e32 v8, v8, v10
	v_lshrrev_b32_e32 v10, 4, v0
	v_add_u32_e32 v10, 0, v10
	ds_write_b32 v10, v8
.LBB222_16:
	s_or_b64 exec, exec, s[4:5]
	s_waitcnt lgkmcnt(0)
	s_barrier
	s_load_dword s20, s[0:1], 0x4c
	v_mov_b32_e32 v8, 0
	s_waitcnt lgkmcnt(0)
	s_bfe_u32 s0, s20, 0xa0006
	v_cmp_gt_u32_e32 vcc, s0, v0
	s_and_saveexec_b64 s[0:1], vcc
	s_cbranch_execnz .LBB222_27
; %bb.17:
	s_or_b64 exec, exec, s[0:1]
	v_cmp_gt_u32_e32 vcc, 64, v0
	s_and_saveexec_b64 s[0:1], vcc
	s_cbranch_execnz .LBB222_28
.LBB222_18:
	s_or_b64 exec, exec, s[0:1]
	v_cmp_eq_u32_e32 vcc, 0, v0
	s_and_saveexec_b64 s[6:7], vcc
	s_cbranch_execz .LBB222_20
.LBB222_19:
	v_div_scale_f32 v2, s[0:1], s19, s19, 1.0
	v_rcp_f32_e32 v3, v2
	v_div_scale_f32 v4, vcc, 1.0, s19, 1.0
	s_mov_b32 s0, 0x3f2aaaab
	v_fma_f32 v5, -v2, v3, 1.0
	v_fmac_f32_e32 v3, v5, v3
	v_mul_f32_e32 v5, v4, v3
	v_fma_f32 v6, -v2, v5, v4
	v_fmac_f32_e32 v5, v6, v3
	v_fma_f32 v2, -v2, v5, v4
	v_div_fmas_f32 v2, v2, v3, v5
	v_div_fixup_f32 v2, v2, s19, 1.0
	s_waitcnt lgkmcnt(0)
	v_cmp_neq_f32_e32 vcc, 1.0, v8
	s_movk_i32 s19, 0x204
	s_mov_b32 s1, 0x42b17218
	v_cndmask_b32_e32 v16, 1.0, v2, vcc
	v_cmp_neq_f32_e32 vcc, 0, v16
	s_mov_b32 s4, 0x3fb8aa3b
	s_brev_b32 s21, -2
	v_cndmask_b32_e32 v17, 1.0, v8, vcc
	v_frexp_mant_f32_e64 v2, |v17|
	v_cmp_gt_f32_e32 vcc, s0, v2
	s_mov_b32 s0, 0x3f317218
	v_cmp_lt_f32_e64 s[22:23], |v17|, 1.0
	v_cndmask_b32_e64 v3, 1.0, 2.0, vcc
	v_mul_f32_e32 v2, v2, v3
	v_add_f32_e32 v5, 1.0, v2
	v_rcp_f32_e32 v10, v5
	v_add_f32_e32 v3, -1.0, v5
	v_sub_f32_e32 v7, v2, v3
	v_add_f32_e32 v3, -1.0, v2
	v_mul_f32_e32 v11, v3, v10
	v_mul_f32_e32 v4, v5, v11
	v_fma_f32 v6, v11, v5, -v4
	v_fmac_f32_e32 v6, v11, v7
	v_add_f32_e32 v2, v4, v6
	v_sub_f32_e32 v5, v3, v2
	v_pk_add_f32 v[8:9], v[2:3], v[4:5] neg_lo:[0,1] neg_hi:[0,1]
	v_mov_b32_e32 v7, v2
	v_pk_add_f32 v[2:3], v[8:9], v[6:7] neg_lo:[0,1] neg_hi:[0,1]
	v_mov_b32_e32 v6, 0x3e91f4c4
	v_add_f32_e32 v2, v2, v3
	v_add_f32_e32 v2, v5, v2
	v_mul_f32_e32 v3, v10, v2
	v_add_f32_e32 v2, v11, v3
	v_sub_f32_e32 v4, v2, v11
	v_sub_f32_e32 v12, v3, v4
	v_mul_f32_e32 v3, v2, v2
	v_fma_f32 v5, v2, v2, -v3
	v_add_f32_e32 v4, v12, v12
	v_fmac_f32_e32 v5, v2, v4
	v_add_f32_e32 v4, v3, v5
	v_fmac_f32_e32 v6, 0x3e76c4e1, v4
	v_fmaak_f32 v6, v4, v6, 0x3ecccdef
	v_sub_f32_e32 v3, v4, v3
	v_sub_f32_e32 v13, v5, v3
	v_mul_f32_e32 v3, v4, v6
	v_fma_f32 v5, v4, v6, -v3
	v_fmac_f32_e32 v5, v13, v6
	v_add_f32_e32 v6, v3, v5
	v_add_f32_e32 v7, 0x3f2aaaaa, v6
	v_sub_f32_e32 v3, v6, v3
	v_sub_f32_e32 v3, v5, v3
	v_add_f32_e32 v5, 0xbf2aaaaa, v7
	v_add_f32_e32 v3, 0x31739010, v3
	v_sub_f32_e32 v5, v6, v5
	v_pk_mul_f32 v[8:9], v[2:3], v[4:5]
	v_pk_add_f32 v[10:11], v[2:3], v[4:5]
	v_fma_f32 v6, v4, v2, -v8
	v_fmac_f32_e32 v6, v4, v12
	v_mov_b32_e32 v9, v11
	v_fmac_f32_e32 v6, v13, v2
	v_pk_add_f32 v[4:5], v[8:9], v[6:7]
	v_ldexp_f32 v14, v12, 1
	v_sub_f32_e32 v3, v4, v8
	v_sub_f32_e32 v3, v6, v3
	;; [unrolled: 1-line block ×3, first 2 shown]
	v_add_f32_e32 v9, v11, v6
	v_pk_mul_f32 v[6:7], v[4:5], v[4:5] op_sel:[0,1] op_sel_hi:[1,0]
	v_cvt_f64_f32_e64 v[10:11], |v17|
	v_frexp_exp_i32_f64_e32 v7, v[10:11]
	v_subbrev_co_u32_e32 v7, vcc, 0, v7, vcc
	v_cvt_f32_i32_e32 v7, v7
	v_fma_f32 v8, v4, v5, -v6
	v_fmac_f32_e32 v8, v4, v9
	v_fmac_f32_e32 v8, v3, v5
	v_mul_f32_e32 v4, 0x3f317218, v7
	v_fma_f32 v3, v7, s0, -v4
	v_fmamk_f32 v10, v7, 0xb102e308, v3
	v_ldexp_f32 v11, v2, 1
	v_add_f32_e32 v5, v6, v8
	v_pk_add_f32 v[2:3], v[4:5], v[10:11]
	v_mov_b32_e32 v12, v5
	v_mov_b32_e32 v13, v3
	;; [unrolled: 1-line block ×3, first 2 shown]
	v_pk_add_f32 v[6:7], v[12:13], v[6:7] neg_lo:[0,1] neg_hi:[0,1]
	v_mov_b32_e32 v9, v5
	v_pk_add_f32 v[6:7], v[8:9], v[6:7] neg_lo:[0,1] neg_hi:[0,1]
	v_mov_b32_e32 v11, v2
	v_add_f32_e32 v5, v14, v6
	v_add_f32_e32 v5, v5, v7
	v_pk_add_f32 v[6:7], v[2:3], v[4:5] neg_lo:[0,1] neg_hi:[0,1]
	v_pk_add_f32 v[8:9], v[2:3], v[4:5]
	v_mov_b32_e32 v4, v5
	v_mov_b32_e32 v7, v9
	v_pk_add_f32 v[12:13], v[10:11], v[6:7] neg_lo:[0,1] neg_hi:[0,1]
	v_pk_add_f32 v[6:7], v[10:11], v[6:7]
	v_mov_b32_e32 v5, v2
	v_pk_add_f32 v[10:11], v[6:7], v[2:3] op_sel:[1,0] op_sel_hi:[0,1] neg_lo:[0,1] neg_hi:[0,1]
	v_pk_add_f32 v[14:15], v[8:9], v[10:11] op_sel_hi:[1,0] neg_lo:[0,1] neg_hi:[0,1]
	v_mov_b32_e32 v8, v9
	v_mov_b32_e32 v9, v7
	v_pk_mov_b32 v[10:11], v[2:3], v[10:11] op_sel:[1,0]
	v_mov_b32_e32 v14, v12
	v_pk_add_f32 v[8:9], v[8:9], v[10:11] neg_lo:[0,1] neg_hi:[0,1]
	v_mov_b32_e32 v13, v7
	v_pk_add_f32 v[2:3], v[4:5], v[8:9] neg_lo:[0,1] neg_hi:[0,1]
	s_mov_b32 s0, 0x7f800000
	v_pk_add_f32 v[4:5], v[14:15], v[2:3]
	s_nop 0
	v_pk_add_f32 v[8:9], v[4:5], v[4:5] op_sel:[0,1] op_sel_hi:[1,0]
	s_nop 0
	v_pk_add_f32 v[6:7], v[6:7], v[8:9] op_sel:[1,0] op_sel_hi:[0,1]
	v_mov_b32_e32 v5, v6
	v_pk_add_f32 v[10:11], v[4:5], v[12:13] neg_lo:[0,1] neg_hi:[0,1]
	v_mov_b32_e32 v3, v8
	v_sub_f32_e32 v4, v4, v10
	v_pk_add_f32 v[2:3], v[2:3], v[10:11] neg_lo:[0,1] neg_hi:[0,1]
	v_sub_f32_e32 v4, v12, v4
	v_add_f32_e32 v2, v2, v4
	v_add_f32_e32 v2, v2, v3
	;; [unrolled: 1-line block ×3, first 2 shown]
	v_sub_f32_e32 v4, v3, v6
	v_sub_f32_e32 v2, v2, v4
	v_mul_f32_e32 v4, v16, v3
	v_fma_f32 v3, v16, v3, -v4
	v_fmac_f32_e32 v3, v16, v2
	v_add_f32_e32 v2, v4, v3
	v_cmp_class_f32_e64 vcc, v4, s19
	v_sub_f32_e32 v5, v2, v4
	v_sub_f32_e32 v3, v3, v5
	v_cndmask_b32_e32 v2, v2, v4, vcc
	v_mov_b32_e32 v4, 0x37000000
	v_cmp_eq_f32_e32 vcc, s1, v2
	s_nop 1
	v_cndmask_b32_e32 v4, 0, v4, vcc
	v_sub_f32_e32 v5, v2, v4
	v_mul_f32_e32 v6, 0x3fb8aa3b, v5
	v_fma_f32 v7, v5, s4, -v6
	v_rndne_f32_e32 v8, v6
	v_fmamk_f32 v7, v5, 0x32a5705f, v7
	v_sub_f32_e32 v6, v6, v8
	v_add_f32_e32 v6, v6, v7
	v_exp_f32_e32 v6, v6
	v_cvt_i32_f32_e32 v7, v8
	v_cmp_neq_f32_e64 vcc, |v2|, s0
	s_mov_b32 s0, 0xc2ce8ed0
	v_cmp_neq_f32_e64 s[4:5], v16, |v16|
	v_cndmask_b32_e32 v2, 0, v3, vcc
	v_ldexp_f32 v3, v6, v7
	v_cmp_ngt_f32_e32 vcc, s0, v5
	v_add_f32_e32 v2, v4, v2
	v_mov_b32_e32 v4, 0x7f800000
	v_cndmask_b32_e32 v3, 0, v3, vcc
	v_cmp_nlt_f32_e32 vcc, s1, v5
	v_mov_b32_e32 v5, 0x7fc00000
	s_xor_b64 s[4:5], s[4:5], s[22:23]
	v_cndmask_b32_e32 v3, v4, v3, vcc
	v_fma_f32 v2, v3, v2, v3
	v_cmp_class_f32_e64 vcc, v3, s19
	v_cmp_class_f32_e64 s[22:23], v17, s19
	s_nop 0
	v_cndmask_b32_e32 v2, v2, v3, vcc
	v_trunc_f32_e32 v3, v16
	v_cmp_eq_f32_e32 vcc, v3, v16
	v_mul_f32_e32 v3, 0.5, v16
	v_trunc_f32_e32 v6, v3
	v_cmp_neq_f32_e64 s[0:1], v6, v3
	s_and_b64 s[0:1], vcc, s[0:1]
	s_nop 0
	v_cndmask_b32_e64 v3, 1.0, v17, s[0:1]
	v_bfi_b32 v2, s21, v2, v3
	v_cndmask_b32_e32 v3, v5, v2, vcc
	v_cmp_gt_f32_e32 vcc, 0, v17
	s_nop 1
	v_cndmask_b32_e32 v2, v2, v3, vcc
	v_cndmask_b32_e64 v3, v4, 0, s[4:5]
	v_cmp_neq_f32_e64 vcc, |v17|, 1.0
	v_cmp_gt_f32_e64 s[4:5], 0, v16
	s_nop 0
	v_cndmask_b32_e32 v3, 1.0, v3, vcc
	v_cmp_class_f32_e64 vcc, v16, s19
	s_nop 1
	v_cndmask_b32_e32 v2, v2, v3, vcc
	v_cmp_eq_f32_e32 vcc, 0, v17
	s_xor_b64 s[4:5], s[4:5], vcc
	v_cndmask_b32_e64 v3, v4, 0, s[4:5]
	v_cndmask_b32_e64 v4, 0, v17, s[0:1]
	v_bfi_b32 v3, s21, v3, v4
	s_or_b64 vcc, vcc, s[22:23]
	v_cndmask_b32_e32 v2, v2, v3, vcc
	v_cmp_o_f32_e32 vcc, v17, v16
	v_mov_b32_e32 v3, 0
	s_nop 0
	v_cndmask_b32_e32 v2, v5, v2, vcc
	ds_write_b32 v3, v2
.LBB222_20:
	s_or_b64 exec, exec, s[6:7]
	v_mov_b32_e32 v2, 0
	s_waitcnt lgkmcnt(0)
	s_barrier
	ds_read_b32 v2, v2
	s_waitcnt lgkmcnt(0)
	v_cmp_nlt_f32_e32 vcc, s18, v2
	s_cbranch_vccnz .LBB222_25
; %bb.21:
	s_and_saveexec_b64 s[0:1], s[2:3]
	s_cbranch_execz .LBB222_24
; %bb.22:
	s_mov_b32 s2, 0x9abcaf48
	v_cvt_f64_f32_e32 v[2:3], v2
	s_mov_b32 s3, 0x3e7ad7f2
	v_cvt_f64_f32_e32 v[4:5], s18
	v_add_f64 v[2:3], v[2:3], s[2:3]
	v_div_scale_f64 v[6:7], s[2:3], v[2:3], v[2:3], v[4:5]
	v_rcp_f64_e32 v[8:9], v[6:7]
	s_and_b32 s6, 0xffff, s20
	s_lshl_b64 s[2:3], s[12:13], 2
	s_add_u32 s2, s16, s2
	v_fma_f64 v[10:11], -v[6:7], v[8:9], 1.0
	v_fmac_f64_e32 v[8:9], v[8:9], v[10:11]
	v_fma_f64 v[10:11], -v[6:7], v[8:9], 1.0
	v_fmac_f64_e32 v[8:9], v[8:9], v[10:11]
	v_div_scale_f64 v[10:11], vcc, v[4:5], v[2:3], v[4:5]
	v_mul_f64 v[12:13], v[10:11], v[8:9]
	v_fma_f64 v[6:7], -v[6:7], v[12:13], v[10:11]
	s_addc_u32 s3, s17, s3
	s_nop 0
	v_div_fmas_f64 v[6:7], v[6:7], v[8:9], v[12:13]
	v_div_fixup_f64 v[2:3], v[6:7], v[2:3], v[4:5]
	v_cvt_f32_f64_e32 v4, v[2:3]
	v_add_u32_e32 v2, s6, v0
	s_mov_b64 s[4:5], 0
.LBB222_23:                             ; =>This Inner Loop Header: Depth=1
	v_mul_lo_u32 v3, v1, s14
	v_mul_lo_u32 v5, v0, s15
	v_mad_u64_u32 v[0:1], s[12:13], v0, s14, 0
	v_add3_u32 v1, v1, v5, v3
	v_lshl_add_u64 v[6:7], v[0:1], 2, s[2:3]
	global_load_dword v5, v[6:7], off
	v_ashrrev_i32_e32 v3, 31, v2
	v_cmp_le_i64_e32 vcc, s[8:9], v[2:3]
	v_mov_b64_e32 v[0:1], v[2:3]
	v_add_u32_e32 v2, s6, v2
	s_or_b64 s[4:5], vcc, s[4:5]
	s_waitcnt vmcnt(0)
	v_mul_f32_e32 v3, v5, v4
	global_store_dword v[6:7], v3, off
	s_andn2_b64 exec, exec, s[4:5]
	s_cbranch_execnz .LBB222_23
.LBB222_24:
	s_or_b64 exec, exec, s[0:1]
.LBB222_25:
	s_and_b64 vcc, exec, s[10:11]
	s_cbranch_vccnz .LBB222_30
.LBB222_26:
	s_endpgm
.LBB222_27:
	v_lshl_add_u32 v8, v9, 2, 0
	ds_read_b32 v8, v8
	s_or_b64 exec, exec, s[0:1]
	v_cmp_gt_u32_e32 vcc, 64, v0
	s_and_saveexec_b64 s[0:1], vcc
	s_cbranch_execz .LBB222_18
.LBB222_28:
	s_waitcnt lgkmcnt(0)
	ds_bpermute_b32 v2, v2, v8
	s_waitcnt lgkmcnt(0)
	v_add_f32_e32 v2, v8, v2
	ds_bpermute_b32 v3, v3, v2
	s_waitcnt lgkmcnt(0)
	v_add_f32_e32 v2, v2, v3
	;; [unrolled: 3-line block ×6, first 2 shown]
	s_or_b64 exec, exec, s[0:1]
	v_cmp_eq_u32_e32 vcc, 0, v0
	s_and_saveexec_b64 s[6:7], vcc
	s_cbranch_execnz .LBB222_19
	s_branch .LBB222_20
.LBB222_29:
	s_cbranch_execz .LBB222_26
.LBB222_30:
	s_trap 2
	; divergent unreachable
	s_endpgm
	.section	.rodata,"a",@progbits
	.p2align	6, 0x0
	.amdhsa_kernel _ZN2at6native12_GLOBAL__N_113renorm_kernelIffKiEEvPT_PT1_T0_S8_llllPKl
		.amdhsa_group_segment_fixed_size 0
		.amdhsa_private_segment_fixed_size 0
		.amdhsa_kernarg_size 320
		.amdhsa_user_sgpr_count 2
		.amdhsa_user_sgpr_dispatch_ptr 0
		.amdhsa_user_sgpr_queue_ptr 0
		.amdhsa_user_sgpr_kernarg_segment_ptr 1
		.amdhsa_user_sgpr_dispatch_id 0
		.amdhsa_user_sgpr_kernarg_preload_length 0
		.amdhsa_user_sgpr_kernarg_preload_offset 0
		.amdhsa_user_sgpr_private_segment_size 0
		.amdhsa_uses_dynamic_stack 0
		.amdhsa_enable_private_segment 0
		.amdhsa_system_sgpr_workgroup_id_x 1
		.amdhsa_system_sgpr_workgroup_id_y 0
		.amdhsa_system_sgpr_workgroup_id_z 0
		.amdhsa_system_sgpr_workgroup_info 0
		.amdhsa_system_vgpr_workitem_id 0
		.amdhsa_next_free_vgpr 25
		.amdhsa_next_free_sgpr 42
		.amdhsa_accum_offset 28
		.amdhsa_reserve_vcc 1
		.amdhsa_float_round_mode_32 0
		.amdhsa_float_round_mode_16_64 0
		.amdhsa_float_denorm_mode_32 3
		.amdhsa_float_denorm_mode_16_64 3
		.amdhsa_dx10_clamp 1
		.amdhsa_ieee_mode 1
		.amdhsa_fp16_overflow 0
		.amdhsa_tg_split 0
		.amdhsa_exception_fp_ieee_invalid_op 0
		.amdhsa_exception_fp_denorm_src 0
		.amdhsa_exception_fp_ieee_div_zero 0
		.amdhsa_exception_fp_ieee_overflow 0
		.amdhsa_exception_fp_ieee_underflow 0
		.amdhsa_exception_fp_ieee_inexact 0
		.amdhsa_exception_int_div_zero 0
	.end_amdhsa_kernel
	.section	.text._ZN2at6native12_GLOBAL__N_113renorm_kernelIffKiEEvPT_PT1_T0_S8_llllPKl,"axG",@progbits,_ZN2at6native12_GLOBAL__N_113renorm_kernelIffKiEEvPT_PT1_T0_S8_llllPKl,comdat
.Lfunc_end222:
	.size	_ZN2at6native12_GLOBAL__N_113renorm_kernelIffKiEEvPT_PT1_T0_S8_llllPKl, .Lfunc_end222-_ZN2at6native12_GLOBAL__N_113renorm_kernelIffKiEEvPT_PT1_T0_S8_llllPKl
                                        ; -- End function
	.set _ZN2at6native12_GLOBAL__N_113renorm_kernelIffKiEEvPT_PT1_T0_S8_llllPKl.num_vgpr, 25
	.set _ZN2at6native12_GLOBAL__N_113renorm_kernelIffKiEEvPT_PT1_T0_S8_llllPKl.num_agpr, 0
	.set _ZN2at6native12_GLOBAL__N_113renorm_kernelIffKiEEvPT_PT1_T0_S8_llllPKl.numbered_sgpr, 42
	.set _ZN2at6native12_GLOBAL__N_113renorm_kernelIffKiEEvPT_PT1_T0_S8_llllPKl.num_named_barrier, 0
	.set _ZN2at6native12_GLOBAL__N_113renorm_kernelIffKiEEvPT_PT1_T0_S8_llllPKl.private_seg_size, 0
	.set _ZN2at6native12_GLOBAL__N_113renorm_kernelIffKiEEvPT_PT1_T0_S8_llllPKl.uses_vcc, 1
	.set _ZN2at6native12_GLOBAL__N_113renorm_kernelIffKiEEvPT_PT1_T0_S8_llllPKl.uses_flat_scratch, 0
	.set _ZN2at6native12_GLOBAL__N_113renorm_kernelIffKiEEvPT_PT1_T0_S8_llllPKl.has_dyn_sized_stack, 0
	.set _ZN2at6native12_GLOBAL__N_113renorm_kernelIffKiEEvPT_PT1_T0_S8_llllPKl.has_recursion, 0
	.set _ZN2at6native12_GLOBAL__N_113renorm_kernelIffKiEEvPT_PT1_T0_S8_llllPKl.has_indirect_call, 0
	.section	.AMDGPU.csdata,"",@progbits
; Kernel info:
; codeLenInByte = 3460
; TotalNumSgprs: 48
; NumVgprs: 25
; NumAgprs: 0
; TotalNumVgprs: 25
; ScratchSize: 0
; MemoryBound: 0
; FloatMode: 240
; IeeeMode: 1
; LDSByteSize: 0 bytes/workgroup (compile time only)
; SGPRBlocks: 5
; VGPRBlocks: 3
; NumSGPRsForWavesPerEU: 48
; NumVGPRsForWavesPerEU: 25
; AccumOffset: 28
; Occupancy: 8
; WaveLimiterHint : 1
; COMPUTE_PGM_RSRC2:SCRATCH_EN: 0
; COMPUTE_PGM_RSRC2:USER_SGPR: 2
; COMPUTE_PGM_RSRC2:TRAP_HANDLER: 0
; COMPUTE_PGM_RSRC2:TGID_X_EN: 1
; COMPUTE_PGM_RSRC2:TGID_Y_EN: 0
; COMPUTE_PGM_RSRC2:TGID_Z_EN: 0
; COMPUTE_PGM_RSRC2:TIDIG_COMP_CNT: 0
; COMPUTE_PGM_RSRC3_GFX90A:ACCUM_OFFSET: 6
; COMPUTE_PGM_RSRC3_GFX90A:TG_SPLIT: 0
	.section	.text._ZN2at6native12_GLOBAL__N_113renorm_kernelIN3c104HalfEfKiEEvPT_PT1_T0_SA_llllPKl,"axG",@progbits,_ZN2at6native12_GLOBAL__N_113renorm_kernelIN3c104HalfEfKiEEvPT_PT1_T0_SA_llllPKl,comdat
	.globl	_ZN2at6native12_GLOBAL__N_113renorm_kernelIN3c104HalfEfKiEEvPT_PT1_T0_SA_llllPKl ; -- Begin function _ZN2at6native12_GLOBAL__N_113renorm_kernelIN3c104HalfEfKiEEvPT_PT1_T0_SA_llllPKl
	.p2align	8
	.type	_ZN2at6native12_GLOBAL__N_113renorm_kernelIN3c104HalfEfKiEEvPT_PT1_T0_SA_llllPKl,@function
_ZN2at6native12_GLOBAL__N_113renorm_kernelIN3c104HalfEfKiEEvPT_PT1_T0_SA_llllPKl: ; @_ZN2at6native12_GLOBAL__N_113renorm_kernelIN3c104HalfEfKiEEvPT_PT1_T0_SA_llllPKl
; %bb.0:
	s_load_dwordx2 s[4:5], s[0:1], 0x38
	s_mov_b32 s3, 0
	v_mov_b64_e32 v[2:3], s[2:3]
	s_waitcnt lgkmcnt(0)
	s_load_dwordx2 s[4:5], s[4:5], 0x0
	s_waitcnt lgkmcnt(0)
	v_cmp_le_i64_e32 vcc, s[4:5], v[2:3]
	s_cbranch_vccnz .LBB223_26
; %bb.1:
	s_load_dwordx4 s[16:19], s[0:1], 0x0
	s_lshl_b64 s[2:3], s[2:3], 2
	s_waitcnt lgkmcnt(0)
	s_add_u32 s2, s18, s2
	s_addc_u32 s3, s19, s3
	s_load_dword s2, s[2:3], 0x0
	s_waitcnt lgkmcnt(0)
	s_cmp_lt_i32 s2, 0
	s_cbranch_scc1 .LBB223_29
; %bb.2:
	s_load_dwordx8 s[8:15], s[0:1], 0x18
	s_ashr_i32 s3, s2, 31
	s_getpc_b64 s[4:5]
	s_add_u32 s4, s4, .str.4@rel32@lo+4
	s_addc_u32 s5, s5, .str.4@rel32@hi+12
	v_mov_b64_e32 v[2:3], s[2:3]
	s_cmp_eq_u64 s[4:5], 0
	s_waitcnt lgkmcnt(0)
	v_cmp_le_i64_e32 vcc, s[10:11], v[2:3]
	s_cselect_b64 s[4:5], -1, 0
	s_or_b64 s[10:11], vcc, s[4:5]
	s_andn2_b64 vcc, exec, s[10:11]
	s_cbranch_vccz .LBB223_25
; %bb.3:
	s_load_dwordx2 s[18:19], s[0:1], 0x10
	s_mul_i32 s3, s12, s3
	s_mul_hi_u32 s4, s12, s2
	s_add_i32 s3, s4, s3
	s_mul_i32 s4, s13, s2
	v_mov_b32_e32 v1, 0
	s_add_i32 s13, s3, s4
	s_mul_i32 s12, s12, s2
	v_cmp_gt_i64_e64 s[2:3], s[8:9], v[0:1]
	v_mov_b32_e32 v6, v1
	s_and_saveexec_b64 s[20:21], s[2:3]
	s_cbranch_execz .LBB223_13
; %bb.4:
	s_load_dword s6, s[0:1], 0x4c
	s_lshl_b64 s[4:5], s[12:13], 1
	s_add_u32 s22, s16, s4
	s_addc_u32 s23, s17, s5
	s_waitcnt lgkmcnt(0)
	v_cmp_neq_f32_e64 s[24:25], s19, 1.0
	s_and_b32 s30, s6, 0xffff
	v_cmp_neq_f32_e64 s[26:27], s19, 2.0
	v_add_u32_e32 v2, s30, v0
	v_mov_b32_e32 v6, 0
	s_mov_b64 s[28:29], 0
	s_brev_b32 s31, -2
	s_mov_b32 s33, 0x3f2aaaab
	v_mov_b32_e32 v7, 0x3e91f4c4
	s_mov_b32 s34, 0x3f317218
	s_movk_i32 s35, 0x204
	s_mov_b32 s36, 0x7f800000
	s_mov_b32 s37, 0x42b17218
	;; [unrolled: 1-line block ×4, first 2 shown]
	v_mov_b32_e32 v8, 0x37000000
	v_mov_b32_e32 v9, 0x7f800000
	;; [unrolled: 1-line block ×3, first 2 shown]
	v_mov_b64_e32 v[4:5], v[0:1]
                                        ; implicit-def: $vgpr3
	s_branch .LBB223_7
.LBB223_5:                              ;   in Loop: Header=BB223_7 Depth=1
	v_and_b32_e32 v4, 0x7fffffff, v3
.LBB223_6:                              ;   in Loop: Header=BB223_7 Depth=1
	v_ashrrev_i32_e32 v3, 31, v2
	v_cmp_le_i64_e32 vcc, s[8:9], v[2:3]
	v_add_f32_e32 v6, v6, v4
	v_mov_b64_e32 v[4:5], v[2:3]
	s_or_b64 s[28:29], vcc, s[28:29]
	v_add_u32_e32 v2, s30, v2
	s_andn2_b64 exec, exec, s[28:29]
	s_cbranch_execz .LBB223_12
.LBB223_7:                              ; =>This Inner Loop Header: Depth=1
	v_mul_lo_u32 v3, v5, s14
	v_mul_lo_u32 v11, v4, s15
	v_mad_u64_u32 v[4:5], s[4:5], v4, s14, 0
	v_add3_u32 v5, v5, v11, v3
	v_lshl_add_u64 v[4:5], v[4:5], 1, s[22:23]
	global_load_ushort v4, v[4:5], off
	s_and_b64 vcc, exec, s[24:25]
	s_waitcnt vmcnt(0)
	v_cvt_f32_f16_e32 v3, v4
	s_cbranch_vccz .LBB223_5
; %bb.8:                                ;   in Loop: Header=BB223_7 Depth=1
	s_and_b64 vcc, exec, s[26:27]
	s_cbranch_vccz .LBB223_10
; %bb.9:                                ;   in Loop: Header=BB223_7 Depth=1
	v_mov_b32_e32 v5, s19
	v_cmp_neq_f16_e32 vcc, 1.0, v4
	s_nop 1
	v_cndmask_b32_e32 v11, 1.0, v5, vcc
	v_cmp_neq_f32_e32 vcc, 0, v11
	v_cmp_neq_f32_e64 s[6:7], v11, |v11|
	s_nop 0
	v_cndmask_b32_e32 v24, 1.0, v3, vcc
	v_frexp_mant_f32_e64 v4, |v24|
	v_cmp_gt_f32_e32 vcc, s33, v4
	v_cmp_lt_f32_e64 s[40:41], |v24|, 1.0
	s_xor_b64 s[6:7], s[6:7], s[40:41]
	v_cndmask_b32_e64 v5, 1.0, 2.0, vcc
	v_mul_f32_e32 v4, v4, v5
	v_add_f32_e32 v13, 1.0, v4
	v_rcp_f32_e32 v18, v13
	v_add_f32_e32 v5, -1.0, v13
	v_sub_f32_e32 v15, v4, v5
	v_add_f32_e32 v5, -1.0, v4
	v_mul_f32_e32 v19, v5, v18
	v_mul_f32_e32 v12, v13, v19
	v_fma_f32 v14, v19, v13, -v12
	v_fmac_f32_e32 v14, v19, v15
	v_add_f32_e32 v4, v12, v14
	v_sub_f32_e32 v13, v5, v4
	v_pk_add_f32 v[16:17], v[4:5], v[12:13] neg_lo:[0,1] neg_hi:[0,1]
	v_mov_b32_e32 v15, v4
	v_pk_add_f32 v[4:5], v[16:17], v[14:15] neg_lo:[0,1] neg_hi:[0,1]
	v_cmp_class_f32_e64 s[40:41], v24, s35
	v_add_f32_e32 v4, v4, v5
	v_add_f32_e32 v4, v13, v4
	v_mul_f32_e32 v5, v18, v4
	v_add_f32_e32 v4, v19, v5
	v_sub_f32_e32 v12, v4, v19
	v_sub_f32_e32 v20, v5, v12
	v_mul_f32_e32 v5, v4, v4
	v_fma_f32 v13, v4, v4, -v5
	v_add_f32_e32 v12, v20, v20
	v_fmac_f32_e32 v13, v4, v12
	v_add_f32_e32 v12, v5, v13
	v_fmamk_f32 v14, v12, 0x3e76c4e1, v7
	v_fmaak_f32 v14, v12, v14, 0x3ecccdef
	v_sub_f32_e32 v5, v12, v5
	v_sub_f32_e32 v21, v13, v5
	v_mul_f32_e32 v5, v12, v14
	v_fma_f32 v13, v12, v14, -v5
	v_fmac_f32_e32 v13, v21, v14
	v_add_f32_e32 v14, v5, v13
	v_add_f32_e32 v15, 0x3f2aaaaa, v14
	v_sub_f32_e32 v5, v14, v5
	v_sub_f32_e32 v5, v13, v5
	v_add_f32_e32 v13, 0xbf2aaaaa, v15
	v_add_f32_e32 v5, 0x31739010, v5
	v_sub_f32_e32 v13, v14, v13
	v_pk_mul_f32 v[16:17], v[4:5], v[12:13]
	v_pk_add_f32 v[18:19], v[4:5], v[12:13]
	v_fma_f32 v14, v12, v4, -v16
	v_fmac_f32_e32 v14, v12, v20
	v_mov_b32_e32 v17, v19
	v_fmac_f32_e32 v14, v21, v4
	v_pk_add_f32 v[12:13], v[16:17], v[14:15]
	v_ldexp_f32 v22, v20, 1
	v_sub_f32_e32 v5, v12, v16
	v_sub_f32_e32 v5, v14, v5
	;; [unrolled: 1-line block ×3, first 2 shown]
	v_add_f32_e32 v18, v19, v14
	v_pk_mul_f32 v[14:15], v[12:13], v[12:13] op_sel:[0,1] op_sel_hi:[1,0]
	v_cvt_f64_f32_e64 v[16:17], |v24|
	v_frexp_exp_i32_f64_e32 v15, v[16:17]
	v_subbrev_co_u32_e32 v15, vcc, 0, v15, vcc
	v_cvt_f32_i32_e32 v15, v15
	v_fma_f32 v16, v12, v13, -v14
	v_fmac_f32_e32 v16, v12, v18
	v_fmac_f32_e32 v16, v5, v13
	v_mul_f32_e32 v12, 0x3f317218, v15
	v_fma_f32 v18, v15, s34, -v12
	v_fmac_f32_e32 v18, 0xb102e308, v15
	v_ldexp_f32 v19, v4, 1
	v_add_f32_e32 v13, v14, v16
	v_pk_add_f32 v[4:5], v[12:13], v[18:19]
	v_mov_b32_e32 v20, v13
	v_mov_b32_e32 v21, v5
	;; [unrolled: 1-line block ×3, first 2 shown]
	v_pk_add_f32 v[14:15], v[20:21], v[14:15] neg_lo:[0,1] neg_hi:[0,1]
	v_mov_b32_e32 v17, v13
	v_pk_add_f32 v[14:15], v[16:17], v[14:15] neg_lo:[0,1] neg_hi:[0,1]
	v_mov_b32_e32 v19, v4
	v_add_f32_e32 v13, v22, v14
	v_add_f32_e32 v13, v13, v15
	v_pk_add_f32 v[14:15], v[4:5], v[12:13] neg_lo:[0,1] neg_hi:[0,1]
	v_pk_add_f32 v[16:17], v[4:5], v[12:13]
	v_mov_b32_e32 v12, v13
	v_mov_b32_e32 v15, v17
	v_pk_add_f32 v[20:21], v[18:19], v[14:15] neg_lo:[0,1] neg_hi:[0,1]
	v_pk_add_f32 v[14:15], v[18:19], v[14:15]
	v_mov_b32_e32 v13, v4
	v_pk_add_f32 v[18:19], v[14:15], v[4:5] op_sel:[1,0] op_sel_hi:[0,1] neg_lo:[0,1] neg_hi:[0,1]
	v_pk_add_f32 v[22:23], v[16:17], v[18:19] op_sel_hi:[1,0] neg_lo:[0,1] neg_hi:[0,1]
	v_mov_b32_e32 v16, v17
	v_mov_b32_e32 v17, v15
	v_pk_mov_b32 v[18:19], v[4:5], v[18:19] op_sel:[1,0]
	v_mov_b32_e32 v22, v20
	v_pk_add_f32 v[16:17], v[16:17], v[18:19] neg_lo:[0,1] neg_hi:[0,1]
	v_mov_b32_e32 v21, v15
	v_pk_add_f32 v[4:5], v[12:13], v[16:17] neg_lo:[0,1] neg_hi:[0,1]
	s_nop 0
	v_pk_add_f32 v[12:13], v[22:23], v[4:5]
	s_nop 0
	v_pk_add_f32 v[16:17], v[12:13], v[12:13] op_sel:[0,1] op_sel_hi:[1,0]
	s_nop 0
	v_pk_add_f32 v[14:15], v[14:15], v[16:17] op_sel:[1,0] op_sel_hi:[0,1]
	v_mov_b32_e32 v13, v14
	v_pk_add_f32 v[18:19], v[12:13], v[20:21] neg_lo:[0,1] neg_hi:[0,1]
	v_mov_b32_e32 v5, v16
	v_sub_f32_e32 v12, v12, v18
	v_pk_add_f32 v[4:5], v[4:5], v[18:19] neg_lo:[0,1] neg_hi:[0,1]
	v_sub_f32_e32 v12, v20, v12
	v_add_f32_e32 v4, v4, v12
	v_add_f32_e32 v4, v4, v5
	;; [unrolled: 1-line block ×3, first 2 shown]
	v_sub_f32_e32 v12, v5, v14
	v_sub_f32_e32 v4, v4, v12
	v_mul_f32_e32 v12, v11, v5
	v_fma_f32 v5, v11, v5, -v12
	v_fmac_f32_e32 v5, v11, v4
	v_add_f32_e32 v4, v12, v5
	v_cmp_class_f32_e64 vcc, v12, s35
	v_sub_f32_e32 v13, v4, v12
	v_sub_f32_e32 v5, v5, v13
	v_cndmask_b32_e32 v4, v4, v12, vcc
	v_cmp_eq_f32_e32 vcc, s37, v4
	s_nop 1
	v_cndmask_b32_e32 v12, 0, v8, vcc
	v_sub_f32_e32 v13, v4, v12
	v_mul_f32_e32 v14, 0x3fb8aa3b, v13
	v_fma_f32 v15, v13, s38, -v14
	v_rndne_f32_e32 v16, v14
	v_fmac_f32_e32 v15, 0x32a5705f, v13
	v_sub_f32_e32 v14, v14, v16
	v_add_f32_e32 v14, v14, v15
	v_exp_f32_e32 v14, v14
	v_cvt_i32_f32_e32 v15, v16
	v_cmp_neq_f32_e64 vcc, |v4|, s36
	s_nop 1
	v_cndmask_b32_e32 v4, 0, v5, vcc
	v_ldexp_f32 v5, v14, v15
	v_cmp_ngt_f32_e32 vcc, s39, v13
	v_add_f32_e32 v4, v12, v4
	s_nop 0
	v_cndmask_b32_e32 v5, 0, v5, vcc
	v_cmp_nlt_f32_e32 vcc, s37, v13
	s_nop 1
	v_cndmask_b32_e32 v5, v9, v5, vcc
	v_fma_f32 v4, v5, v4, v5
	v_cmp_class_f32_e64 vcc, v5, s35
	s_nop 1
	v_cndmask_b32_e32 v4, v4, v5, vcc
	v_trunc_f32_e32 v5, v11
	v_cmp_eq_f32_e32 vcc, v5, v11
	v_mul_f32_e32 v5, 0.5, v11
	v_trunc_f32_e32 v12, v5
	v_cmp_neq_f32_e64 s[4:5], v12, v5
	s_and_b64 s[4:5], vcc, s[4:5]
	s_nop 0
	v_cndmask_b32_e64 v5, 1.0, v24, s[4:5]
	v_bfi_b32 v4, s31, v4, v5
	v_cndmask_b32_e32 v5, v10, v4, vcc
	v_cmp_gt_f32_e32 vcc, 0, v24
	v_cndmask_b32_e64 v12, 0, v24, s[4:5]
	s_nop 0
	v_cndmask_b32_e32 v4, v4, v5, vcc
	v_cndmask_b32_e64 v5, v9, 0, s[6:7]
	v_cmp_neq_f32_e64 vcc, |v24|, 1.0
	v_cmp_gt_f32_e64 s[6:7], 0, v11
	s_nop 0
	v_cndmask_b32_e32 v5, 1.0, v5, vcc
	v_cmp_class_f32_e64 vcc, v11, s35
	s_nop 1
	v_cndmask_b32_e32 v4, v4, v5, vcc
	v_cmp_eq_f32_e32 vcc, 0, v24
	s_xor_b64 s[6:7], s[6:7], vcc
	v_cndmask_b32_e64 v5, v9, 0, s[6:7]
	v_bfi_b32 v5, s31, v5, v12
	s_or_b64 vcc, vcc, s[40:41]
	v_cndmask_b32_e32 v4, v4, v5, vcc
	v_cmp_o_f32_e32 vcc, v24, v11
	s_nop 1
	v_cndmask_b32_e32 v4, v10, v4, vcc
	s_cbranch_execnz .LBB223_6
	s_branch .LBB223_11
.LBB223_10:                             ;   in Loop: Header=BB223_7 Depth=1
                                        ; implicit-def: $vgpr4
.LBB223_11:                             ;   in Loop: Header=BB223_7 Depth=1
	v_mul_f32_e32 v4, v3, v3
	s_branch .LBB223_6
.LBB223_12:
	s_or_b64 exec, exec, s[28:29]
.LBB223_13:
	s_or_b64 exec, exec, s[20:21]
; %bb.14:
	v_mbcnt_lo_u32_b32 v2, -1, 0
	v_mbcnt_hi_u32_b32 v7, -1, v2
	v_mov_b32_e32 v2, 0x80
	v_lshl_or_b32 v2, v7, 2, v2
	ds_bpermute_b32 v3, v2, v6
	v_and_b32_e32 v8, 63, v7
	v_cmp_gt_u32_e32 vcc, 48, v8
	s_waitcnt lgkmcnt(0)
	s_barrier
	v_cndmask_b32_e64 v4, 0, 16, vcc
	v_add_f32_e32 v5, v6, v3
	v_add_lshl_u32 v3, v4, v7, 2
	ds_bpermute_b32 v6, v3, v5
	v_cmp_gt_u32_e32 vcc, 56, v8
	s_waitcnt lgkmcnt(0)
	v_add_f32_e32 v6, v5, v6
	v_cndmask_b32_e64 v4, 0, 8, vcc
	v_add_lshl_u32 v4, v4, v7, 2
	ds_bpermute_b32 v9, v4, v6
	v_cmp_gt_u32_e32 vcc, 60, v8
	s_waitcnt lgkmcnt(0)
	v_add_f32_e32 v9, v6, v9
	v_cndmask_b32_e64 v5, 0, 4, vcc
	;; [unrolled: 6-line block ×3, first 2 shown]
	v_add_lshl_u32 v6, v6, v7, 2
	ds_bpermute_b32 v11, v6, v10
	v_cmp_ne_u32_e32 vcc, 63, v8
	v_and_b32_e32 v9, 63, v0
	s_waitcnt lgkmcnt(0)
	v_add_f32_e32 v8, v10, v11
	v_addc_co_u32_e32 v7, vcc, 0, v7, vcc
	v_lshlrev_b32_e32 v7, 2, v7
	ds_bpermute_b32 v10, v7, v8
	v_cmp_eq_u32_e32 vcc, 0, v9
	s_and_saveexec_b64 s[4:5], vcc
	s_cbranch_execz .LBB223_16
; %bb.15:
	s_waitcnt lgkmcnt(0)
	v_add_f32_e32 v8, v8, v10
	v_lshrrev_b32_e32 v10, 4, v0
	v_add_u32_e32 v10, 0, v10
	ds_write_b32 v10, v8
.LBB223_16:
	s_or_b64 exec, exec, s[4:5]
	s_waitcnt lgkmcnt(0)
	s_barrier
	s_load_dword s20, s[0:1], 0x4c
	v_mov_b32_e32 v8, 0
	s_waitcnt lgkmcnt(0)
	s_bfe_u32 s0, s20, 0xa0006
	v_cmp_gt_u32_e32 vcc, s0, v0
	s_and_saveexec_b64 s[0:1], vcc
	s_cbranch_execnz .LBB223_27
; %bb.17:
	s_or_b64 exec, exec, s[0:1]
	v_cmp_gt_u32_e32 vcc, 64, v0
	s_and_saveexec_b64 s[0:1], vcc
	s_cbranch_execnz .LBB223_28
.LBB223_18:
	s_or_b64 exec, exec, s[0:1]
	v_cmp_eq_u32_e32 vcc, 0, v0
	s_and_saveexec_b64 s[6:7], vcc
	s_cbranch_execz .LBB223_20
.LBB223_19:
	v_div_scale_f32 v2, s[0:1], s19, s19, 1.0
	v_rcp_f32_e32 v3, v2
	v_div_scale_f32 v4, vcc, 1.0, s19, 1.0
	s_mov_b32 s0, 0x3f2aaaab
	v_fma_f32 v5, -v2, v3, 1.0
	v_fmac_f32_e32 v3, v5, v3
	v_mul_f32_e32 v5, v4, v3
	v_fma_f32 v6, -v2, v5, v4
	v_fmac_f32_e32 v5, v6, v3
	v_fma_f32 v2, -v2, v5, v4
	v_div_fmas_f32 v2, v2, v3, v5
	v_div_fixup_f32 v2, v2, s19, 1.0
	s_waitcnt lgkmcnt(0)
	v_cmp_neq_f32_e32 vcc, 1.0, v8
	s_movk_i32 s19, 0x204
	s_mov_b32 s1, 0x42b17218
	v_cndmask_b32_e32 v16, 1.0, v2, vcc
	v_cmp_neq_f32_e32 vcc, 0, v16
	s_mov_b32 s4, 0x3fb8aa3b
	s_brev_b32 s21, -2
	v_cndmask_b32_e32 v17, 1.0, v8, vcc
	v_frexp_mant_f32_e64 v2, |v17|
	v_cmp_gt_f32_e32 vcc, s0, v2
	s_mov_b32 s0, 0x3f317218
	v_cmp_lt_f32_e64 s[22:23], |v17|, 1.0
	v_cndmask_b32_e64 v3, 1.0, 2.0, vcc
	v_mul_f32_e32 v2, v2, v3
	v_add_f32_e32 v5, 1.0, v2
	v_rcp_f32_e32 v10, v5
	v_add_f32_e32 v3, -1.0, v5
	v_sub_f32_e32 v7, v2, v3
	v_add_f32_e32 v3, -1.0, v2
	v_mul_f32_e32 v11, v3, v10
	v_mul_f32_e32 v4, v5, v11
	v_fma_f32 v6, v11, v5, -v4
	v_fmac_f32_e32 v6, v11, v7
	v_add_f32_e32 v2, v4, v6
	v_sub_f32_e32 v5, v3, v2
	v_pk_add_f32 v[8:9], v[2:3], v[4:5] neg_lo:[0,1] neg_hi:[0,1]
	v_mov_b32_e32 v7, v2
	v_pk_add_f32 v[2:3], v[8:9], v[6:7] neg_lo:[0,1] neg_hi:[0,1]
	v_mov_b32_e32 v6, 0x3e91f4c4
	v_add_f32_e32 v2, v2, v3
	v_add_f32_e32 v2, v5, v2
	v_mul_f32_e32 v3, v10, v2
	v_add_f32_e32 v2, v11, v3
	v_sub_f32_e32 v4, v2, v11
	v_sub_f32_e32 v12, v3, v4
	v_mul_f32_e32 v3, v2, v2
	v_fma_f32 v5, v2, v2, -v3
	v_add_f32_e32 v4, v12, v12
	v_fmac_f32_e32 v5, v2, v4
	v_add_f32_e32 v4, v3, v5
	v_fmac_f32_e32 v6, 0x3e76c4e1, v4
	v_fmaak_f32 v6, v4, v6, 0x3ecccdef
	v_sub_f32_e32 v3, v4, v3
	v_sub_f32_e32 v13, v5, v3
	v_mul_f32_e32 v3, v4, v6
	v_fma_f32 v5, v4, v6, -v3
	v_fmac_f32_e32 v5, v13, v6
	v_add_f32_e32 v6, v3, v5
	v_add_f32_e32 v7, 0x3f2aaaaa, v6
	v_sub_f32_e32 v3, v6, v3
	v_sub_f32_e32 v3, v5, v3
	v_add_f32_e32 v5, 0xbf2aaaaa, v7
	v_add_f32_e32 v3, 0x31739010, v3
	v_sub_f32_e32 v5, v6, v5
	v_pk_mul_f32 v[8:9], v[2:3], v[4:5]
	v_pk_add_f32 v[10:11], v[2:3], v[4:5]
	v_fma_f32 v6, v4, v2, -v8
	v_fmac_f32_e32 v6, v4, v12
	v_mov_b32_e32 v9, v11
	v_fmac_f32_e32 v6, v13, v2
	v_pk_add_f32 v[4:5], v[8:9], v[6:7]
	v_ldexp_f32 v14, v12, 1
	v_sub_f32_e32 v3, v4, v8
	v_sub_f32_e32 v3, v6, v3
	;; [unrolled: 1-line block ×3, first 2 shown]
	v_add_f32_e32 v9, v11, v6
	v_pk_mul_f32 v[6:7], v[4:5], v[4:5] op_sel:[0,1] op_sel_hi:[1,0]
	v_cvt_f64_f32_e64 v[10:11], |v17|
	v_frexp_exp_i32_f64_e32 v7, v[10:11]
	v_subbrev_co_u32_e32 v7, vcc, 0, v7, vcc
	v_cvt_f32_i32_e32 v7, v7
	v_fma_f32 v8, v4, v5, -v6
	v_fmac_f32_e32 v8, v4, v9
	v_fmac_f32_e32 v8, v3, v5
	v_mul_f32_e32 v4, 0x3f317218, v7
	v_fma_f32 v3, v7, s0, -v4
	v_fmamk_f32 v10, v7, 0xb102e308, v3
	v_ldexp_f32 v11, v2, 1
	v_add_f32_e32 v5, v6, v8
	v_pk_add_f32 v[2:3], v[4:5], v[10:11]
	v_mov_b32_e32 v12, v5
	v_mov_b32_e32 v13, v3
	;; [unrolled: 1-line block ×3, first 2 shown]
	v_pk_add_f32 v[6:7], v[12:13], v[6:7] neg_lo:[0,1] neg_hi:[0,1]
	v_mov_b32_e32 v9, v5
	v_pk_add_f32 v[6:7], v[8:9], v[6:7] neg_lo:[0,1] neg_hi:[0,1]
	v_mov_b32_e32 v11, v2
	v_add_f32_e32 v5, v14, v6
	v_add_f32_e32 v5, v5, v7
	v_pk_add_f32 v[6:7], v[2:3], v[4:5] neg_lo:[0,1] neg_hi:[0,1]
	v_pk_add_f32 v[8:9], v[2:3], v[4:5]
	v_mov_b32_e32 v4, v5
	v_mov_b32_e32 v7, v9
	v_pk_add_f32 v[12:13], v[10:11], v[6:7] neg_lo:[0,1] neg_hi:[0,1]
	v_pk_add_f32 v[6:7], v[10:11], v[6:7]
	v_mov_b32_e32 v5, v2
	v_pk_add_f32 v[10:11], v[6:7], v[2:3] op_sel:[1,0] op_sel_hi:[0,1] neg_lo:[0,1] neg_hi:[0,1]
	v_pk_add_f32 v[14:15], v[8:9], v[10:11] op_sel_hi:[1,0] neg_lo:[0,1] neg_hi:[0,1]
	v_mov_b32_e32 v8, v9
	v_mov_b32_e32 v9, v7
	v_pk_mov_b32 v[10:11], v[2:3], v[10:11] op_sel:[1,0]
	v_mov_b32_e32 v14, v12
	v_pk_add_f32 v[8:9], v[8:9], v[10:11] neg_lo:[0,1] neg_hi:[0,1]
	v_mov_b32_e32 v13, v7
	v_pk_add_f32 v[2:3], v[4:5], v[8:9] neg_lo:[0,1] neg_hi:[0,1]
	s_mov_b32 s0, 0x7f800000
	v_pk_add_f32 v[4:5], v[14:15], v[2:3]
	s_nop 0
	v_pk_add_f32 v[8:9], v[4:5], v[4:5] op_sel:[0,1] op_sel_hi:[1,0]
	s_nop 0
	v_pk_add_f32 v[6:7], v[6:7], v[8:9] op_sel:[1,0] op_sel_hi:[0,1]
	v_mov_b32_e32 v5, v6
	v_pk_add_f32 v[10:11], v[4:5], v[12:13] neg_lo:[0,1] neg_hi:[0,1]
	v_mov_b32_e32 v3, v8
	v_sub_f32_e32 v4, v4, v10
	v_pk_add_f32 v[2:3], v[2:3], v[10:11] neg_lo:[0,1] neg_hi:[0,1]
	v_sub_f32_e32 v4, v12, v4
	v_add_f32_e32 v2, v2, v4
	v_add_f32_e32 v2, v2, v3
	;; [unrolled: 1-line block ×3, first 2 shown]
	v_sub_f32_e32 v4, v3, v6
	v_sub_f32_e32 v2, v2, v4
	v_mul_f32_e32 v4, v16, v3
	v_fma_f32 v3, v16, v3, -v4
	v_fmac_f32_e32 v3, v16, v2
	v_add_f32_e32 v2, v4, v3
	v_cmp_class_f32_e64 vcc, v4, s19
	v_sub_f32_e32 v5, v2, v4
	v_sub_f32_e32 v3, v3, v5
	v_cndmask_b32_e32 v2, v2, v4, vcc
	v_mov_b32_e32 v4, 0x37000000
	v_cmp_eq_f32_e32 vcc, s1, v2
	s_nop 1
	v_cndmask_b32_e32 v4, 0, v4, vcc
	v_sub_f32_e32 v5, v2, v4
	v_mul_f32_e32 v6, 0x3fb8aa3b, v5
	v_fma_f32 v7, v5, s4, -v6
	v_rndne_f32_e32 v8, v6
	v_fmamk_f32 v7, v5, 0x32a5705f, v7
	v_sub_f32_e32 v6, v6, v8
	v_add_f32_e32 v6, v6, v7
	v_exp_f32_e32 v6, v6
	v_cvt_i32_f32_e32 v7, v8
	v_cmp_neq_f32_e64 vcc, |v2|, s0
	s_mov_b32 s0, 0xc2ce8ed0
	v_cmp_neq_f32_e64 s[4:5], v16, |v16|
	v_cndmask_b32_e32 v2, 0, v3, vcc
	v_ldexp_f32 v3, v6, v7
	v_cmp_ngt_f32_e32 vcc, s0, v5
	v_add_f32_e32 v2, v4, v2
	v_mov_b32_e32 v4, 0x7f800000
	v_cndmask_b32_e32 v3, 0, v3, vcc
	v_cmp_nlt_f32_e32 vcc, s1, v5
	v_mov_b32_e32 v5, 0x7fc00000
	s_xor_b64 s[4:5], s[4:5], s[22:23]
	v_cndmask_b32_e32 v3, v4, v3, vcc
	v_fma_f32 v2, v3, v2, v3
	v_cmp_class_f32_e64 vcc, v3, s19
	v_cmp_class_f32_e64 s[22:23], v17, s19
	s_nop 0
	v_cndmask_b32_e32 v2, v2, v3, vcc
	v_trunc_f32_e32 v3, v16
	v_cmp_eq_f32_e32 vcc, v3, v16
	v_mul_f32_e32 v3, 0.5, v16
	v_trunc_f32_e32 v6, v3
	v_cmp_neq_f32_e64 s[0:1], v6, v3
	s_and_b64 s[0:1], vcc, s[0:1]
	s_nop 0
	v_cndmask_b32_e64 v3, 1.0, v17, s[0:1]
	v_bfi_b32 v2, s21, v2, v3
	v_cndmask_b32_e32 v3, v5, v2, vcc
	v_cmp_gt_f32_e32 vcc, 0, v17
	s_nop 1
	v_cndmask_b32_e32 v2, v2, v3, vcc
	v_cndmask_b32_e64 v3, v4, 0, s[4:5]
	v_cmp_neq_f32_e64 vcc, |v17|, 1.0
	v_cmp_gt_f32_e64 s[4:5], 0, v16
	s_nop 0
	v_cndmask_b32_e32 v3, 1.0, v3, vcc
	v_cmp_class_f32_e64 vcc, v16, s19
	s_nop 1
	v_cndmask_b32_e32 v2, v2, v3, vcc
	v_cmp_eq_f32_e32 vcc, 0, v17
	s_xor_b64 s[4:5], s[4:5], vcc
	v_cndmask_b32_e64 v3, v4, 0, s[4:5]
	v_cndmask_b32_e64 v4, 0, v17, s[0:1]
	v_bfi_b32 v3, s21, v3, v4
	s_or_b64 vcc, vcc, s[22:23]
	v_cndmask_b32_e32 v2, v2, v3, vcc
	v_cmp_o_f32_e32 vcc, v17, v16
	v_mov_b32_e32 v3, 0
	s_nop 0
	v_cndmask_b32_e32 v2, v5, v2, vcc
	ds_write_b32 v3, v2
.LBB223_20:
	s_or_b64 exec, exec, s[6:7]
	v_mov_b32_e32 v2, 0
	s_waitcnt lgkmcnt(0)
	s_barrier
	ds_read_b32 v2, v2
	s_waitcnt lgkmcnt(0)
	v_cmp_nlt_f32_e32 vcc, s18, v2
	s_cbranch_vccnz .LBB223_25
; %bb.21:
	s_and_saveexec_b64 s[0:1], s[2:3]
	s_cbranch_execz .LBB223_24
; %bb.22:
	s_mov_b32 s2, 0x9abcaf48
	v_cvt_f64_f32_e32 v[2:3], v2
	s_mov_b32 s3, 0x3e7ad7f2
	v_cvt_f64_f32_e32 v[4:5], s18
	v_add_f64 v[2:3], v[2:3], s[2:3]
	v_div_scale_f64 v[6:7], s[2:3], v[2:3], v[2:3], v[4:5]
	v_rcp_f64_e32 v[8:9], v[6:7]
	s_nop 0
	v_fma_f64 v[10:11], -v[6:7], v[8:9], 1.0
	v_fmac_f64_e32 v[8:9], v[8:9], v[10:11]
	v_fma_f64 v[10:11], -v[6:7], v[8:9], 1.0
	v_fmac_f64_e32 v[8:9], v[8:9], v[10:11]
	v_div_scale_f64 v[10:11], vcc, v[4:5], v[2:3], v[4:5]
	v_mul_f64 v[12:13], v[10:11], v[8:9]
	v_fma_f64 v[6:7], -v[6:7], v[12:13], v[10:11]
	s_nop 1
	v_div_fmas_f64 v[6:7], v[6:7], v[8:9], v[12:13]
	v_div_fixup_f64 v[2:3], v[6:7], v[2:3], v[4:5]
	s_nop 0
	v_readfirstlane_b32 s2, v3
	s_and_b32 s3, s2, 0x1ff
	v_or_b32_e32 v2, s3, v2
	v_cmp_ne_u32_e32 vcc, 0, v2
	s_lshr_b32 s3, s2, 8
	s_bfe_u32 s5, s2, 0xb0014
	v_cndmask_b32_e64 v2, 0, 1, vcc
	s_and_b32 s3, s3, 0xffe
	v_readfirstlane_b32 s4, v2
	s_sub_i32 s6, 0x3f1, s5
	s_or_b32 s3, s3, s4
	v_med3_i32 v2, s6, 0, 13
	s_or_b32 s4, s3, 0x1000
	v_readfirstlane_b32 s6, v2
	s_lshr_b32 s7, s4, s6
	s_lshl_b32 s6, s7, s6
	s_cmp_lg_u32 s6, s4
	s_cselect_b32 s4, 1, 0
	s_addk_i32 s5, 0xfc10
	s_lshl_b32 s6, s5, 12
	s_or_b32 s4, s7, s4
	s_or_b32 s6, s3, s6
	s_cmp_lt_i32 s5, 1
	s_cselect_b32 s4, s4, s6
	s_and_b32 s6, s4, 7
	s_cmp_gt_i32 s6, 5
	s_cselect_b32 s7, 1, 0
	s_cmp_eq_u32 s6, 3
	s_cselect_b32 s6, 1, 0
	s_or_b32 s6, s6, s7
	s_lshr_b32 s4, s4, 2
	s_add_i32 s4, s4, s6
	s_cmp_lt_i32 s5, 31
	s_cselect_b32 s4, s4, 0x7c00
	s_cmp_lg_u32 s3, 0
	s_movk_i32 s3, 0x7e00
	s_cselect_b32 s3, s3, 0x7c00
	s_cmpk_eq_i32 s5, 0x40f
	s_cselect_b32 s3, s3, s4
	s_lshr_b32 s2, s2, 16
	s_and_b32 s2, s2, 0x8000
	s_or_b32 s6, s2, s3
	s_and_b32 s7, 0xffff, s20
	s_lshl_b64 s[2:3], s[12:13], 1
	s_add_u32 s2, s16, s2
	s_addc_u32 s3, s17, s3
	v_add_u32_e32 v2, s7, v0
	s_mov_b64 s[4:5], 0
.LBB223_23:                             ; =>This Inner Loop Header: Depth=1
	v_mul_lo_u32 v3, v1, s14
	v_mul_lo_u32 v4, v0, s15
	v_mad_u64_u32 v[0:1], s[12:13], v0, s14, 0
	v_add3_u32 v1, v1, v4, v3
	v_lshl_add_u64 v[4:5], v[0:1], 1, s[2:3]
	global_load_ushort v6, v[4:5], off
	v_ashrrev_i32_e32 v3, 31, v2
	v_cmp_le_i64_e32 vcc, s[8:9], v[2:3]
	v_mov_b64_e32 v[0:1], v[2:3]
	v_add_u32_e32 v2, s7, v2
	s_or_b64 s[4:5], vcc, s[4:5]
	s_waitcnt vmcnt(0)
	v_mul_f16_e32 v3, s6, v6
	global_store_short v[4:5], v3, off
	s_andn2_b64 exec, exec, s[4:5]
	s_cbranch_execnz .LBB223_23
.LBB223_24:
	s_or_b64 exec, exec, s[0:1]
.LBB223_25:
	s_and_b64 vcc, exec, s[10:11]
	s_cbranch_vccnz .LBB223_30
.LBB223_26:
	s_endpgm
.LBB223_27:
	v_lshl_add_u32 v8, v9, 2, 0
	ds_read_b32 v8, v8
	s_or_b64 exec, exec, s[0:1]
	v_cmp_gt_u32_e32 vcc, 64, v0
	s_and_saveexec_b64 s[0:1], vcc
	s_cbranch_execz .LBB223_18
.LBB223_28:
	s_waitcnt lgkmcnt(0)
	ds_bpermute_b32 v2, v2, v8
	s_waitcnt lgkmcnt(0)
	v_add_f32_e32 v2, v8, v2
	ds_bpermute_b32 v3, v3, v2
	s_waitcnt lgkmcnt(0)
	v_add_f32_e32 v2, v2, v3
	;; [unrolled: 3-line block ×6, first 2 shown]
	s_or_b64 exec, exec, s[0:1]
	v_cmp_eq_u32_e32 vcc, 0, v0
	s_and_saveexec_b64 s[6:7], vcc
	s_cbranch_execnz .LBB223_19
	s_branch .LBB223_20
.LBB223_29:
	s_cbranch_execz .LBB223_26
.LBB223_30:
	s_trap 2
	; divergent unreachable
	s_endpgm
	.section	.rodata,"a",@progbits
	.p2align	6, 0x0
	.amdhsa_kernel _ZN2at6native12_GLOBAL__N_113renorm_kernelIN3c104HalfEfKiEEvPT_PT1_T0_SA_llllPKl
		.amdhsa_group_segment_fixed_size 0
		.amdhsa_private_segment_fixed_size 0
		.amdhsa_kernarg_size 320
		.amdhsa_user_sgpr_count 2
		.amdhsa_user_sgpr_dispatch_ptr 0
		.amdhsa_user_sgpr_queue_ptr 0
		.amdhsa_user_sgpr_kernarg_segment_ptr 1
		.amdhsa_user_sgpr_dispatch_id 0
		.amdhsa_user_sgpr_kernarg_preload_length 0
		.amdhsa_user_sgpr_kernarg_preload_offset 0
		.amdhsa_user_sgpr_private_segment_size 0
		.amdhsa_uses_dynamic_stack 0
		.amdhsa_enable_private_segment 0
		.amdhsa_system_sgpr_workgroup_id_x 1
		.amdhsa_system_sgpr_workgroup_id_y 0
		.amdhsa_system_sgpr_workgroup_id_z 0
		.amdhsa_system_sgpr_workgroup_info 0
		.amdhsa_system_vgpr_workitem_id 0
		.amdhsa_next_free_vgpr 25
		.amdhsa_next_free_sgpr 42
		.amdhsa_accum_offset 28
		.amdhsa_reserve_vcc 1
		.amdhsa_float_round_mode_32 0
		.amdhsa_float_round_mode_16_64 0
		.amdhsa_float_denorm_mode_32 3
		.amdhsa_float_denorm_mode_16_64 3
		.amdhsa_dx10_clamp 1
		.amdhsa_ieee_mode 1
		.amdhsa_fp16_overflow 0
		.amdhsa_tg_split 0
		.amdhsa_exception_fp_ieee_invalid_op 0
		.amdhsa_exception_fp_denorm_src 0
		.amdhsa_exception_fp_ieee_div_zero 0
		.amdhsa_exception_fp_ieee_overflow 0
		.amdhsa_exception_fp_ieee_underflow 0
		.amdhsa_exception_fp_ieee_inexact 0
		.amdhsa_exception_int_div_zero 0
	.end_amdhsa_kernel
	.section	.text._ZN2at6native12_GLOBAL__N_113renorm_kernelIN3c104HalfEfKiEEvPT_PT1_T0_SA_llllPKl,"axG",@progbits,_ZN2at6native12_GLOBAL__N_113renorm_kernelIN3c104HalfEfKiEEvPT_PT1_T0_SA_llllPKl,comdat
.Lfunc_end223:
	.size	_ZN2at6native12_GLOBAL__N_113renorm_kernelIN3c104HalfEfKiEEvPT_PT1_T0_SA_llllPKl, .Lfunc_end223-_ZN2at6native12_GLOBAL__N_113renorm_kernelIN3c104HalfEfKiEEvPT_PT1_T0_SA_llllPKl
                                        ; -- End function
	.set _ZN2at6native12_GLOBAL__N_113renorm_kernelIN3c104HalfEfKiEEvPT_PT1_T0_SA_llllPKl.num_vgpr, 25
	.set _ZN2at6native12_GLOBAL__N_113renorm_kernelIN3c104HalfEfKiEEvPT_PT1_T0_SA_llllPKl.num_agpr, 0
	.set _ZN2at6native12_GLOBAL__N_113renorm_kernelIN3c104HalfEfKiEEvPT_PT1_T0_SA_llllPKl.numbered_sgpr, 42
	.set _ZN2at6native12_GLOBAL__N_113renorm_kernelIN3c104HalfEfKiEEvPT_PT1_T0_SA_llllPKl.num_named_barrier, 0
	.set _ZN2at6native12_GLOBAL__N_113renorm_kernelIN3c104HalfEfKiEEvPT_PT1_T0_SA_llllPKl.private_seg_size, 0
	.set _ZN2at6native12_GLOBAL__N_113renorm_kernelIN3c104HalfEfKiEEvPT_PT1_T0_SA_llllPKl.uses_vcc, 1
	.set _ZN2at6native12_GLOBAL__N_113renorm_kernelIN3c104HalfEfKiEEvPT_PT1_T0_SA_llllPKl.uses_flat_scratch, 0
	.set _ZN2at6native12_GLOBAL__N_113renorm_kernelIN3c104HalfEfKiEEvPT_PT1_T0_SA_llllPKl.has_dyn_sized_stack, 0
	.set _ZN2at6native12_GLOBAL__N_113renorm_kernelIN3c104HalfEfKiEEvPT_PT1_T0_SA_llllPKl.has_recursion, 0
	.set _ZN2at6native12_GLOBAL__N_113renorm_kernelIN3c104HalfEfKiEEvPT_PT1_T0_SA_llllPKl.has_indirect_call, 0
	.section	.AMDGPU.csdata,"",@progbits
; Kernel info:
; codeLenInByte = 3664
; TotalNumSgprs: 48
; NumVgprs: 25
; NumAgprs: 0
; TotalNumVgprs: 25
; ScratchSize: 0
; MemoryBound: 0
; FloatMode: 240
; IeeeMode: 1
; LDSByteSize: 0 bytes/workgroup (compile time only)
; SGPRBlocks: 5
; VGPRBlocks: 3
; NumSGPRsForWavesPerEU: 48
; NumVGPRsForWavesPerEU: 25
; AccumOffset: 28
; Occupancy: 8
; WaveLimiterHint : 1
; COMPUTE_PGM_RSRC2:SCRATCH_EN: 0
; COMPUTE_PGM_RSRC2:USER_SGPR: 2
; COMPUTE_PGM_RSRC2:TRAP_HANDLER: 0
; COMPUTE_PGM_RSRC2:TGID_X_EN: 1
; COMPUTE_PGM_RSRC2:TGID_Y_EN: 0
; COMPUTE_PGM_RSRC2:TGID_Z_EN: 0
; COMPUTE_PGM_RSRC2:TIDIG_COMP_CNT: 0
; COMPUTE_PGM_RSRC3_GFX90A:ACCUM_OFFSET: 6
; COMPUTE_PGM_RSRC3_GFX90A:TG_SPLIT: 0
	.section	.text._ZN2at6native12_GLOBAL__N_113renorm_kernelIN3c108BFloat16EfKiEEvPT_PT1_T0_SA_llllPKl,"axG",@progbits,_ZN2at6native12_GLOBAL__N_113renorm_kernelIN3c108BFloat16EfKiEEvPT_PT1_T0_SA_llllPKl,comdat
	.globl	_ZN2at6native12_GLOBAL__N_113renorm_kernelIN3c108BFloat16EfKiEEvPT_PT1_T0_SA_llllPKl ; -- Begin function _ZN2at6native12_GLOBAL__N_113renorm_kernelIN3c108BFloat16EfKiEEvPT_PT1_T0_SA_llllPKl
	.p2align	8
	.type	_ZN2at6native12_GLOBAL__N_113renorm_kernelIN3c108BFloat16EfKiEEvPT_PT1_T0_SA_llllPKl,@function
_ZN2at6native12_GLOBAL__N_113renorm_kernelIN3c108BFloat16EfKiEEvPT_PT1_T0_SA_llllPKl: ; @_ZN2at6native12_GLOBAL__N_113renorm_kernelIN3c108BFloat16EfKiEEvPT_PT1_T0_SA_llllPKl
; %bb.0:
	s_load_dwordx2 s[4:5], s[0:1], 0x38
	s_mov_b32 s3, 0
	v_mov_b64_e32 v[2:3], s[2:3]
	s_waitcnt lgkmcnt(0)
	s_load_dwordx2 s[4:5], s[4:5], 0x0
	s_waitcnt lgkmcnt(0)
	v_cmp_le_i64_e32 vcc, s[4:5], v[2:3]
	s_cbranch_vccnz .LBB224_25
; %bb.1:
	s_load_dwordx4 s[16:19], s[0:1], 0x0
	s_lshl_b64 s[2:3], s[2:3], 2
	s_waitcnt lgkmcnt(0)
	s_add_u32 s2, s18, s2
	s_addc_u32 s3, s19, s3
	s_load_dword s2, s[2:3], 0x0
	s_waitcnt lgkmcnt(0)
	s_cmp_lt_i32 s2, 0
	s_cbranch_scc1 .LBB224_28
; %bb.2:
	s_load_dwordx8 s[8:15], s[0:1], 0x18
	s_ashr_i32 s3, s2, 31
	s_getpc_b64 s[4:5]
	s_add_u32 s4, s4, .str.4@rel32@lo+4
	s_addc_u32 s5, s5, .str.4@rel32@hi+12
	v_mov_b64_e32 v[2:3], s[2:3]
	s_cmp_eq_u64 s[4:5], 0
	s_waitcnt lgkmcnt(0)
	v_cmp_le_i64_e32 vcc, s[10:11], v[2:3]
	s_cselect_b64 s[4:5], -1, 0
	s_or_b64 s[10:11], vcc, s[4:5]
	s_andn2_b64 vcc, exec, s[10:11]
	s_cbranch_vccz .LBB224_24
; %bb.3:
	s_load_dwordx2 s[18:19], s[0:1], 0x10
	s_mul_i32 s3, s12, s3
	s_mul_hi_u32 s4, s12, s2
	s_add_i32 s3, s4, s3
	s_mul_i32 s4, s13, s2
	v_mov_b32_e32 v1, 0
	s_add_i32 s13, s3, s4
	s_mul_i32 s12, s12, s2
	v_cmp_le_i64_e64 s[2:3], s[8:9], v[0:1]
	v_cmp_gt_i64_e32 vcc, s[8:9], v[0:1]
	v_mov_b32_e32 v6, v1
	s_and_saveexec_b64 s[20:21], vcc
	s_cbranch_execz .LBB224_13
; %bb.4:
	s_load_dword s6, s[0:1], 0x4c
	s_lshl_b64 s[4:5], s[12:13], 1
	s_add_u32 s22, s16, s4
	s_addc_u32 s23, s17, s5
	s_waitcnt lgkmcnt(0)
	v_cmp_neq_f32_e64 s[24:25], s19, 1.0
	s_and_b32 s30, s6, 0xffff
	v_cmp_neq_f32_e64 s[26:27], s19, 2.0
	v_add_u32_e32 v2, s30, v0
	v_mov_b32_e32 v6, 0
	s_mov_b64 s[28:29], 0
	s_brev_b32 s31, -2
	s_mov_b32 s33, 0x3f2aaaab
	v_mov_b32_e32 v7, 0x3e91f4c4
	s_mov_b32 s34, 0x3f317218
	s_movk_i32 s35, 0x204
	s_mov_b32 s36, 0x7f800000
	s_mov_b32 s37, 0x42b17218
	;; [unrolled: 1-line block ×4, first 2 shown]
	v_mov_b32_e32 v8, 0x37000000
	v_mov_b32_e32 v9, 0x7f800000
	;; [unrolled: 1-line block ×3, first 2 shown]
	v_mov_b64_e32 v[4:5], v[0:1]
                                        ; implicit-def: $vgpr3
	s_branch .LBB224_7
.LBB224_5:                              ;   in Loop: Header=BB224_7 Depth=1
	v_and_b32_e32 v4, 0x7fffffff, v3
.LBB224_6:                              ;   in Loop: Header=BB224_7 Depth=1
	v_ashrrev_i32_e32 v3, 31, v2
	v_cmp_le_i64_e32 vcc, s[8:9], v[2:3]
	v_add_f32_e32 v6, v6, v4
	v_mov_b64_e32 v[4:5], v[2:3]
	s_or_b64 s[28:29], vcc, s[28:29]
	v_add_u32_e32 v2, s30, v2
	s_andn2_b64 exec, exec, s[28:29]
	s_cbranch_execz .LBB224_12
.LBB224_7:                              ; =>This Inner Loop Header: Depth=1
	v_mul_lo_u32 v3, v5, s14
	v_mul_lo_u32 v11, v4, s15
	v_mad_u64_u32 v[4:5], s[4:5], v4, s14, 0
	v_add3_u32 v5, v5, v11, v3
	v_lshl_add_u64 v[4:5], v[4:5], 1, s[22:23]
	global_load_ushort v3, v[4:5], off
	s_and_b64 vcc, exec, s[24:25]
	s_waitcnt vmcnt(0)
	v_lshlrev_b32_e32 v3, 16, v3
	s_cbranch_vccz .LBB224_5
; %bb.8:                                ;   in Loop: Header=BB224_7 Depth=1
	s_and_b64 vcc, exec, s[26:27]
	s_cbranch_vccz .LBB224_10
; %bb.9:                                ;   in Loop: Header=BB224_7 Depth=1
	v_mov_b32_e32 v4, s19
	v_cmp_neq_f32_e32 vcc, 1.0, v3
	s_nop 1
	v_cndmask_b32_e32 v11, 1.0, v4, vcc
	v_cmp_neq_f32_e32 vcc, 0, v11
	v_cmp_neq_f32_e64 s[6:7], v11, |v11|
	s_nop 0
	v_cndmask_b32_e32 v24, 1.0, v3, vcc
	v_frexp_mant_f32_e64 v4, |v24|
	v_cmp_gt_f32_e32 vcc, s33, v4
	v_cmp_lt_f32_e64 s[40:41], |v24|, 1.0
	s_xor_b64 s[6:7], s[6:7], s[40:41]
	v_cndmask_b32_e64 v5, 1.0, 2.0, vcc
	v_mul_f32_e32 v4, v4, v5
	v_add_f32_e32 v13, 1.0, v4
	v_rcp_f32_e32 v18, v13
	v_add_f32_e32 v5, -1.0, v13
	v_sub_f32_e32 v15, v4, v5
	v_add_f32_e32 v5, -1.0, v4
	v_mul_f32_e32 v19, v5, v18
	v_mul_f32_e32 v12, v13, v19
	v_fma_f32 v14, v19, v13, -v12
	v_fmac_f32_e32 v14, v19, v15
	v_add_f32_e32 v4, v12, v14
	v_sub_f32_e32 v13, v5, v4
	v_pk_add_f32 v[16:17], v[4:5], v[12:13] neg_lo:[0,1] neg_hi:[0,1]
	v_mov_b32_e32 v15, v4
	v_pk_add_f32 v[4:5], v[16:17], v[14:15] neg_lo:[0,1] neg_hi:[0,1]
	v_cmp_class_f32_e64 s[40:41], v24, s35
	v_add_f32_e32 v4, v4, v5
	v_add_f32_e32 v4, v13, v4
	v_mul_f32_e32 v5, v18, v4
	v_add_f32_e32 v4, v19, v5
	v_sub_f32_e32 v12, v4, v19
	v_sub_f32_e32 v20, v5, v12
	v_mul_f32_e32 v5, v4, v4
	v_fma_f32 v13, v4, v4, -v5
	v_add_f32_e32 v12, v20, v20
	v_fmac_f32_e32 v13, v4, v12
	v_add_f32_e32 v12, v5, v13
	v_fmamk_f32 v14, v12, 0x3e76c4e1, v7
	v_fmaak_f32 v14, v12, v14, 0x3ecccdef
	v_sub_f32_e32 v5, v12, v5
	v_sub_f32_e32 v21, v13, v5
	v_mul_f32_e32 v5, v12, v14
	v_fma_f32 v13, v12, v14, -v5
	v_fmac_f32_e32 v13, v21, v14
	v_add_f32_e32 v14, v5, v13
	v_add_f32_e32 v15, 0x3f2aaaaa, v14
	v_sub_f32_e32 v5, v14, v5
	v_sub_f32_e32 v5, v13, v5
	v_add_f32_e32 v13, 0xbf2aaaaa, v15
	v_add_f32_e32 v5, 0x31739010, v5
	v_sub_f32_e32 v13, v14, v13
	v_pk_mul_f32 v[16:17], v[4:5], v[12:13]
	v_pk_add_f32 v[18:19], v[4:5], v[12:13]
	v_fma_f32 v14, v12, v4, -v16
	v_fmac_f32_e32 v14, v12, v20
	v_mov_b32_e32 v17, v19
	v_fmac_f32_e32 v14, v21, v4
	v_pk_add_f32 v[12:13], v[16:17], v[14:15]
	v_ldexp_f32 v22, v20, 1
	v_sub_f32_e32 v5, v12, v16
	v_sub_f32_e32 v5, v14, v5
	;; [unrolled: 1-line block ×3, first 2 shown]
	v_add_f32_e32 v18, v19, v14
	v_pk_mul_f32 v[14:15], v[12:13], v[12:13] op_sel:[0,1] op_sel_hi:[1,0]
	v_cvt_f64_f32_e64 v[16:17], |v24|
	v_frexp_exp_i32_f64_e32 v15, v[16:17]
	v_subbrev_co_u32_e32 v15, vcc, 0, v15, vcc
	v_cvt_f32_i32_e32 v15, v15
	v_fma_f32 v16, v12, v13, -v14
	v_fmac_f32_e32 v16, v12, v18
	v_fmac_f32_e32 v16, v5, v13
	v_mul_f32_e32 v12, 0x3f317218, v15
	v_fma_f32 v18, v15, s34, -v12
	v_fmac_f32_e32 v18, 0xb102e308, v15
	v_ldexp_f32 v19, v4, 1
	v_add_f32_e32 v13, v14, v16
	v_pk_add_f32 v[4:5], v[12:13], v[18:19]
	v_mov_b32_e32 v20, v13
	v_mov_b32_e32 v21, v5
	;; [unrolled: 1-line block ×3, first 2 shown]
	v_pk_add_f32 v[14:15], v[20:21], v[14:15] neg_lo:[0,1] neg_hi:[0,1]
	v_mov_b32_e32 v17, v13
	v_pk_add_f32 v[14:15], v[16:17], v[14:15] neg_lo:[0,1] neg_hi:[0,1]
	v_mov_b32_e32 v19, v4
	v_add_f32_e32 v13, v22, v14
	v_add_f32_e32 v13, v13, v15
	v_pk_add_f32 v[14:15], v[4:5], v[12:13] neg_lo:[0,1] neg_hi:[0,1]
	v_pk_add_f32 v[16:17], v[4:5], v[12:13]
	v_mov_b32_e32 v12, v13
	v_mov_b32_e32 v15, v17
	v_pk_add_f32 v[20:21], v[18:19], v[14:15] neg_lo:[0,1] neg_hi:[0,1]
	v_pk_add_f32 v[14:15], v[18:19], v[14:15]
	v_mov_b32_e32 v13, v4
	v_pk_add_f32 v[18:19], v[14:15], v[4:5] op_sel:[1,0] op_sel_hi:[0,1] neg_lo:[0,1] neg_hi:[0,1]
	v_pk_add_f32 v[22:23], v[16:17], v[18:19] op_sel_hi:[1,0] neg_lo:[0,1] neg_hi:[0,1]
	v_mov_b32_e32 v16, v17
	v_mov_b32_e32 v17, v15
	v_pk_mov_b32 v[18:19], v[4:5], v[18:19] op_sel:[1,0]
	v_mov_b32_e32 v22, v20
	v_pk_add_f32 v[16:17], v[16:17], v[18:19] neg_lo:[0,1] neg_hi:[0,1]
	v_mov_b32_e32 v21, v15
	v_pk_add_f32 v[4:5], v[12:13], v[16:17] neg_lo:[0,1] neg_hi:[0,1]
	s_nop 0
	v_pk_add_f32 v[12:13], v[22:23], v[4:5]
	s_nop 0
	v_pk_add_f32 v[16:17], v[12:13], v[12:13] op_sel:[0,1] op_sel_hi:[1,0]
	s_nop 0
	v_pk_add_f32 v[14:15], v[14:15], v[16:17] op_sel:[1,0] op_sel_hi:[0,1]
	v_mov_b32_e32 v13, v14
	v_pk_add_f32 v[18:19], v[12:13], v[20:21] neg_lo:[0,1] neg_hi:[0,1]
	v_mov_b32_e32 v5, v16
	v_sub_f32_e32 v12, v12, v18
	v_pk_add_f32 v[4:5], v[4:5], v[18:19] neg_lo:[0,1] neg_hi:[0,1]
	v_sub_f32_e32 v12, v20, v12
	v_add_f32_e32 v4, v4, v12
	v_add_f32_e32 v4, v4, v5
	;; [unrolled: 1-line block ×3, first 2 shown]
	v_sub_f32_e32 v12, v5, v14
	v_sub_f32_e32 v4, v4, v12
	v_mul_f32_e32 v12, v11, v5
	v_fma_f32 v5, v11, v5, -v12
	v_fmac_f32_e32 v5, v11, v4
	v_add_f32_e32 v4, v12, v5
	v_cmp_class_f32_e64 vcc, v12, s35
	v_sub_f32_e32 v13, v4, v12
	v_sub_f32_e32 v5, v5, v13
	v_cndmask_b32_e32 v4, v4, v12, vcc
	v_cmp_eq_f32_e32 vcc, s37, v4
	s_nop 1
	v_cndmask_b32_e32 v12, 0, v8, vcc
	v_sub_f32_e32 v13, v4, v12
	v_mul_f32_e32 v14, 0x3fb8aa3b, v13
	v_fma_f32 v15, v13, s38, -v14
	v_rndne_f32_e32 v16, v14
	v_fmac_f32_e32 v15, 0x32a5705f, v13
	v_sub_f32_e32 v14, v14, v16
	v_add_f32_e32 v14, v14, v15
	v_exp_f32_e32 v14, v14
	v_cvt_i32_f32_e32 v15, v16
	v_cmp_neq_f32_e64 vcc, |v4|, s36
	s_nop 1
	v_cndmask_b32_e32 v4, 0, v5, vcc
	v_ldexp_f32 v5, v14, v15
	v_cmp_ngt_f32_e32 vcc, s39, v13
	v_add_f32_e32 v4, v12, v4
	s_nop 0
	v_cndmask_b32_e32 v5, 0, v5, vcc
	v_cmp_nlt_f32_e32 vcc, s37, v13
	s_nop 1
	v_cndmask_b32_e32 v5, v9, v5, vcc
	v_fma_f32 v4, v5, v4, v5
	v_cmp_class_f32_e64 vcc, v5, s35
	s_nop 1
	v_cndmask_b32_e32 v4, v4, v5, vcc
	v_trunc_f32_e32 v5, v11
	v_cmp_eq_f32_e32 vcc, v5, v11
	v_mul_f32_e32 v5, 0.5, v11
	v_trunc_f32_e32 v12, v5
	v_cmp_neq_f32_e64 s[4:5], v12, v5
	s_and_b64 s[4:5], vcc, s[4:5]
	s_nop 0
	v_cndmask_b32_e64 v5, 1.0, v24, s[4:5]
	v_bfi_b32 v4, s31, v4, v5
	v_cndmask_b32_e32 v5, v10, v4, vcc
	v_cmp_gt_f32_e32 vcc, 0, v24
	v_cndmask_b32_e64 v12, 0, v24, s[4:5]
	s_nop 0
	v_cndmask_b32_e32 v4, v4, v5, vcc
	v_cndmask_b32_e64 v5, v9, 0, s[6:7]
	v_cmp_neq_f32_e64 vcc, |v24|, 1.0
	v_cmp_gt_f32_e64 s[6:7], 0, v11
	s_nop 0
	v_cndmask_b32_e32 v5, 1.0, v5, vcc
	v_cmp_class_f32_e64 vcc, v11, s35
	s_nop 1
	v_cndmask_b32_e32 v4, v4, v5, vcc
	v_cmp_eq_f32_e32 vcc, 0, v24
	s_xor_b64 s[6:7], s[6:7], vcc
	v_cndmask_b32_e64 v5, v9, 0, s[6:7]
	v_bfi_b32 v5, s31, v5, v12
	s_or_b64 vcc, vcc, s[40:41]
	v_cndmask_b32_e32 v4, v4, v5, vcc
	v_cmp_o_f32_e32 vcc, v24, v11
	s_nop 1
	v_cndmask_b32_e32 v4, v10, v4, vcc
	s_cbranch_execnz .LBB224_6
	s_branch .LBB224_11
.LBB224_10:                             ;   in Loop: Header=BB224_7 Depth=1
                                        ; implicit-def: $vgpr4
.LBB224_11:                             ;   in Loop: Header=BB224_7 Depth=1
	v_mul_f32_e32 v4, v3, v3
	s_branch .LBB224_6
.LBB224_12:
	s_or_b64 exec, exec, s[28:29]
.LBB224_13:
	s_or_b64 exec, exec, s[20:21]
; %bb.14:
	v_mbcnt_lo_u32_b32 v2, -1, 0
	v_mbcnt_hi_u32_b32 v7, -1, v2
	v_mov_b32_e32 v2, 0x80
	v_lshl_or_b32 v2, v7, 2, v2
	ds_bpermute_b32 v3, v2, v6
	v_and_b32_e32 v8, 63, v7
	v_cmp_gt_u32_e32 vcc, 48, v8
	s_waitcnt lgkmcnt(0)
	s_barrier
	v_cndmask_b32_e64 v4, 0, 16, vcc
	v_add_f32_e32 v5, v6, v3
	v_add_lshl_u32 v3, v4, v7, 2
	ds_bpermute_b32 v6, v3, v5
	v_cmp_gt_u32_e32 vcc, 56, v8
	s_waitcnt lgkmcnt(0)
	v_add_f32_e32 v6, v5, v6
	v_cndmask_b32_e64 v4, 0, 8, vcc
	v_add_lshl_u32 v4, v4, v7, 2
	ds_bpermute_b32 v9, v4, v6
	v_cmp_gt_u32_e32 vcc, 60, v8
	s_waitcnt lgkmcnt(0)
	v_add_f32_e32 v9, v6, v9
	v_cndmask_b32_e64 v5, 0, 4, vcc
	;; [unrolled: 6-line block ×3, first 2 shown]
	v_add_lshl_u32 v6, v6, v7, 2
	ds_bpermute_b32 v11, v6, v10
	v_cmp_ne_u32_e32 vcc, 63, v8
	v_and_b32_e32 v9, 63, v0
	s_waitcnt lgkmcnt(0)
	v_add_f32_e32 v8, v10, v11
	v_addc_co_u32_e32 v7, vcc, 0, v7, vcc
	v_lshlrev_b32_e32 v7, 2, v7
	ds_bpermute_b32 v10, v7, v8
	v_cmp_eq_u32_e32 vcc, 0, v9
	s_and_saveexec_b64 s[4:5], vcc
	s_cbranch_execz .LBB224_16
; %bb.15:
	s_waitcnt lgkmcnt(0)
	v_add_f32_e32 v8, v8, v10
	v_lshrrev_b32_e32 v10, 4, v0
	v_add_u32_e32 v10, 0, v10
	ds_write_b32 v10, v8
.LBB224_16:
	s_or_b64 exec, exec, s[4:5]
	s_waitcnt lgkmcnt(0)
	s_barrier
	s_load_dword s20, s[0:1], 0x4c
	v_mov_b32_e32 v8, 0
	s_waitcnt lgkmcnt(0)
	s_bfe_u32 s0, s20, 0xa0006
	v_cmp_gt_u32_e32 vcc, s0, v0
	s_and_saveexec_b64 s[0:1], vcc
	s_cbranch_execnz .LBB224_26
; %bb.17:
	s_or_b64 exec, exec, s[0:1]
	v_cmp_gt_u32_e32 vcc, 64, v0
	s_and_saveexec_b64 s[0:1], vcc
	s_cbranch_execnz .LBB224_27
.LBB224_18:
	s_or_b64 exec, exec, s[0:1]
	v_cmp_eq_u32_e32 vcc, 0, v0
	s_and_saveexec_b64 s[6:7], vcc
	s_cbranch_execz .LBB224_20
.LBB224_19:
	v_div_scale_f32 v2, s[0:1], s19, s19, 1.0
	v_rcp_f32_e32 v3, v2
	v_div_scale_f32 v4, vcc, 1.0, s19, 1.0
	s_mov_b32 s0, 0x3f2aaaab
	v_fma_f32 v5, -v2, v3, 1.0
	v_fmac_f32_e32 v3, v5, v3
	v_mul_f32_e32 v5, v4, v3
	v_fma_f32 v6, -v2, v5, v4
	v_fmac_f32_e32 v5, v6, v3
	v_fma_f32 v2, -v2, v5, v4
	v_div_fmas_f32 v2, v2, v3, v5
	v_div_fixup_f32 v2, v2, s19, 1.0
	s_waitcnt lgkmcnt(0)
	v_cmp_neq_f32_e32 vcc, 1.0, v8
	s_movk_i32 s19, 0x204
	s_mov_b32 s1, 0x42b17218
	v_cndmask_b32_e32 v16, 1.0, v2, vcc
	v_cmp_neq_f32_e32 vcc, 0, v16
	s_mov_b32 s4, 0x3fb8aa3b
	s_brev_b32 s21, -2
	v_cndmask_b32_e32 v17, 1.0, v8, vcc
	v_frexp_mant_f32_e64 v2, |v17|
	v_cmp_gt_f32_e32 vcc, s0, v2
	s_mov_b32 s0, 0x3f317218
	v_cmp_lt_f32_e64 s[22:23], |v17|, 1.0
	v_cndmask_b32_e64 v3, 1.0, 2.0, vcc
	v_mul_f32_e32 v2, v2, v3
	v_add_f32_e32 v5, 1.0, v2
	v_rcp_f32_e32 v10, v5
	v_add_f32_e32 v3, -1.0, v5
	v_sub_f32_e32 v7, v2, v3
	v_add_f32_e32 v3, -1.0, v2
	v_mul_f32_e32 v11, v3, v10
	v_mul_f32_e32 v4, v5, v11
	v_fma_f32 v6, v11, v5, -v4
	v_fmac_f32_e32 v6, v11, v7
	v_add_f32_e32 v2, v4, v6
	v_sub_f32_e32 v5, v3, v2
	v_pk_add_f32 v[8:9], v[2:3], v[4:5] neg_lo:[0,1] neg_hi:[0,1]
	v_mov_b32_e32 v7, v2
	v_pk_add_f32 v[2:3], v[8:9], v[6:7] neg_lo:[0,1] neg_hi:[0,1]
	v_mov_b32_e32 v6, 0x3e91f4c4
	v_add_f32_e32 v2, v2, v3
	v_add_f32_e32 v2, v5, v2
	v_mul_f32_e32 v3, v10, v2
	v_add_f32_e32 v2, v11, v3
	v_sub_f32_e32 v4, v2, v11
	v_sub_f32_e32 v12, v3, v4
	v_mul_f32_e32 v3, v2, v2
	v_fma_f32 v5, v2, v2, -v3
	v_add_f32_e32 v4, v12, v12
	v_fmac_f32_e32 v5, v2, v4
	v_add_f32_e32 v4, v3, v5
	v_fmac_f32_e32 v6, 0x3e76c4e1, v4
	v_fmaak_f32 v6, v4, v6, 0x3ecccdef
	v_sub_f32_e32 v3, v4, v3
	v_sub_f32_e32 v13, v5, v3
	v_mul_f32_e32 v3, v4, v6
	v_fma_f32 v5, v4, v6, -v3
	v_fmac_f32_e32 v5, v13, v6
	v_add_f32_e32 v6, v3, v5
	v_add_f32_e32 v7, 0x3f2aaaaa, v6
	v_sub_f32_e32 v3, v6, v3
	v_sub_f32_e32 v3, v5, v3
	v_add_f32_e32 v5, 0xbf2aaaaa, v7
	v_add_f32_e32 v3, 0x31739010, v3
	v_sub_f32_e32 v5, v6, v5
	v_pk_mul_f32 v[8:9], v[2:3], v[4:5]
	v_pk_add_f32 v[10:11], v[2:3], v[4:5]
	v_fma_f32 v6, v4, v2, -v8
	v_fmac_f32_e32 v6, v4, v12
	v_mov_b32_e32 v9, v11
	v_fmac_f32_e32 v6, v13, v2
	v_pk_add_f32 v[4:5], v[8:9], v[6:7]
	v_ldexp_f32 v14, v12, 1
	v_sub_f32_e32 v3, v4, v8
	v_sub_f32_e32 v3, v6, v3
	;; [unrolled: 1-line block ×3, first 2 shown]
	v_add_f32_e32 v9, v11, v6
	v_pk_mul_f32 v[6:7], v[4:5], v[4:5] op_sel:[0,1] op_sel_hi:[1,0]
	v_cvt_f64_f32_e64 v[10:11], |v17|
	v_frexp_exp_i32_f64_e32 v7, v[10:11]
	v_subbrev_co_u32_e32 v7, vcc, 0, v7, vcc
	v_cvt_f32_i32_e32 v7, v7
	v_fma_f32 v8, v4, v5, -v6
	v_fmac_f32_e32 v8, v4, v9
	v_fmac_f32_e32 v8, v3, v5
	v_mul_f32_e32 v4, 0x3f317218, v7
	v_fma_f32 v3, v7, s0, -v4
	v_fmamk_f32 v10, v7, 0xb102e308, v3
	v_ldexp_f32 v11, v2, 1
	v_add_f32_e32 v5, v6, v8
	v_pk_add_f32 v[2:3], v[4:5], v[10:11]
	v_mov_b32_e32 v12, v5
	v_mov_b32_e32 v13, v3
	;; [unrolled: 1-line block ×3, first 2 shown]
	v_pk_add_f32 v[6:7], v[12:13], v[6:7] neg_lo:[0,1] neg_hi:[0,1]
	v_mov_b32_e32 v9, v5
	v_pk_add_f32 v[6:7], v[8:9], v[6:7] neg_lo:[0,1] neg_hi:[0,1]
	v_mov_b32_e32 v11, v2
	v_add_f32_e32 v5, v14, v6
	v_add_f32_e32 v5, v5, v7
	v_pk_add_f32 v[6:7], v[2:3], v[4:5] neg_lo:[0,1] neg_hi:[0,1]
	v_pk_add_f32 v[8:9], v[2:3], v[4:5]
	v_mov_b32_e32 v4, v5
	v_mov_b32_e32 v7, v9
	v_pk_add_f32 v[12:13], v[10:11], v[6:7] neg_lo:[0,1] neg_hi:[0,1]
	v_pk_add_f32 v[6:7], v[10:11], v[6:7]
	v_mov_b32_e32 v5, v2
	v_pk_add_f32 v[10:11], v[6:7], v[2:3] op_sel:[1,0] op_sel_hi:[0,1] neg_lo:[0,1] neg_hi:[0,1]
	v_pk_add_f32 v[14:15], v[8:9], v[10:11] op_sel_hi:[1,0] neg_lo:[0,1] neg_hi:[0,1]
	v_mov_b32_e32 v8, v9
	v_mov_b32_e32 v9, v7
	v_pk_mov_b32 v[10:11], v[2:3], v[10:11] op_sel:[1,0]
	v_mov_b32_e32 v14, v12
	v_pk_add_f32 v[8:9], v[8:9], v[10:11] neg_lo:[0,1] neg_hi:[0,1]
	v_mov_b32_e32 v13, v7
	v_pk_add_f32 v[2:3], v[4:5], v[8:9] neg_lo:[0,1] neg_hi:[0,1]
	s_mov_b32 s0, 0x7f800000
	v_pk_add_f32 v[4:5], v[14:15], v[2:3]
	s_nop 0
	v_pk_add_f32 v[8:9], v[4:5], v[4:5] op_sel:[0,1] op_sel_hi:[1,0]
	s_nop 0
	v_pk_add_f32 v[6:7], v[6:7], v[8:9] op_sel:[1,0] op_sel_hi:[0,1]
	v_mov_b32_e32 v5, v6
	v_pk_add_f32 v[10:11], v[4:5], v[12:13] neg_lo:[0,1] neg_hi:[0,1]
	v_mov_b32_e32 v3, v8
	v_sub_f32_e32 v4, v4, v10
	v_pk_add_f32 v[2:3], v[2:3], v[10:11] neg_lo:[0,1] neg_hi:[0,1]
	v_sub_f32_e32 v4, v12, v4
	v_add_f32_e32 v2, v2, v4
	v_add_f32_e32 v2, v2, v3
	;; [unrolled: 1-line block ×3, first 2 shown]
	v_sub_f32_e32 v4, v3, v6
	v_sub_f32_e32 v2, v2, v4
	v_mul_f32_e32 v4, v16, v3
	v_fma_f32 v3, v16, v3, -v4
	v_fmac_f32_e32 v3, v16, v2
	v_add_f32_e32 v2, v4, v3
	v_cmp_class_f32_e64 vcc, v4, s19
	v_sub_f32_e32 v5, v2, v4
	v_sub_f32_e32 v3, v3, v5
	v_cndmask_b32_e32 v2, v2, v4, vcc
	v_mov_b32_e32 v4, 0x37000000
	v_cmp_eq_f32_e32 vcc, s1, v2
	s_nop 1
	v_cndmask_b32_e32 v4, 0, v4, vcc
	v_sub_f32_e32 v5, v2, v4
	v_mul_f32_e32 v6, 0x3fb8aa3b, v5
	v_fma_f32 v7, v5, s4, -v6
	v_rndne_f32_e32 v8, v6
	v_fmamk_f32 v7, v5, 0x32a5705f, v7
	v_sub_f32_e32 v6, v6, v8
	v_add_f32_e32 v6, v6, v7
	v_exp_f32_e32 v6, v6
	v_cvt_i32_f32_e32 v7, v8
	v_cmp_neq_f32_e64 vcc, |v2|, s0
	s_mov_b32 s0, 0xc2ce8ed0
	v_cmp_neq_f32_e64 s[4:5], v16, |v16|
	v_cndmask_b32_e32 v2, 0, v3, vcc
	v_ldexp_f32 v3, v6, v7
	v_cmp_ngt_f32_e32 vcc, s0, v5
	v_add_f32_e32 v2, v4, v2
	v_mov_b32_e32 v4, 0x7f800000
	v_cndmask_b32_e32 v3, 0, v3, vcc
	v_cmp_nlt_f32_e32 vcc, s1, v5
	v_mov_b32_e32 v5, 0x7fc00000
	s_xor_b64 s[4:5], s[4:5], s[22:23]
	v_cndmask_b32_e32 v3, v4, v3, vcc
	v_fma_f32 v2, v3, v2, v3
	v_cmp_class_f32_e64 vcc, v3, s19
	v_cmp_class_f32_e64 s[22:23], v17, s19
	s_nop 0
	v_cndmask_b32_e32 v2, v2, v3, vcc
	v_trunc_f32_e32 v3, v16
	v_cmp_eq_f32_e32 vcc, v3, v16
	v_mul_f32_e32 v3, 0.5, v16
	v_trunc_f32_e32 v6, v3
	v_cmp_neq_f32_e64 s[0:1], v6, v3
	s_and_b64 s[0:1], vcc, s[0:1]
	s_nop 0
	v_cndmask_b32_e64 v3, 1.0, v17, s[0:1]
	v_bfi_b32 v2, s21, v2, v3
	v_cndmask_b32_e32 v3, v5, v2, vcc
	v_cmp_gt_f32_e32 vcc, 0, v17
	s_nop 1
	v_cndmask_b32_e32 v2, v2, v3, vcc
	v_cndmask_b32_e64 v3, v4, 0, s[4:5]
	v_cmp_neq_f32_e64 vcc, |v17|, 1.0
	v_cmp_gt_f32_e64 s[4:5], 0, v16
	s_nop 0
	v_cndmask_b32_e32 v3, 1.0, v3, vcc
	v_cmp_class_f32_e64 vcc, v16, s19
	s_nop 1
	v_cndmask_b32_e32 v2, v2, v3, vcc
	v_cmp_eq_f32_e32 vcc, 0, v17
	s_xor_b64 s[4:5], s[4:5], vcc
	v_cndmask_b32_e64 v3, v4, 0, s[4:5]
	v_cndmask_b32_e64 v4, 0, v17, s[0:1]
	v_bfi_b32 v3, s21, v3, v4
	s_or_b64 vcc, vcc, s[22:23]
	v_cndmask_b32_e32 v2, v2, v3, vcc
	v_cmp_o_f32_e32 vcc, v17, v16
	v_mov_b32_e32 v3, 0
	s_nop 0
	v_cndmask_b32_e32 v2, v5, v2, vcc
	ds_write_b32 v3, v2
.LBB224_20:
	s_or_b64 exec, exec, s[6:7]
	v_mov_b32_e32 v2, 0
	s_waitcnt lgkmcnt(0)
	s_barrier
	ds_read_b32 v2, v2
	s_xor_b64 s[0:1], s[2:3], -1
	s_waitcnt lgkmcnt(0)
	v_cmp_lt_f32_e32 vcc, s18, v2
	s_and_b64 s[2:3], vcc, s[0:1]
	s_and_saveexec_b64 s[0:1], s[2:3]
	s_cbranch_execz .LBB224_23
; %bb.21:
	s_mov_b32 s2, 0x9abcaf48
	v_cvt_f64_f32_e32 v[2:3], v2
	s_mov_b32 s3, 0x3e7ad7f2
	v_cvt_f64_f32_e32 v[4:5], s18
	v_add_f64 v[2:3], v[2:3], s[2:3]
	v_div_scale_f64 v[6:7], s[2:3], v[2:3], v[2:3], v[4:5]
	v_rcp_f64_e32 v[8:9], v[6:7]
	s_and_b32 s6, 0xffff, s20
	s_lshl_b64 s[2:3], s[12:13], 1
	s_add_u32 s2, s16, s2
	v_fma_f64 v[10:11], -v[6:7], v[8:9], 1.0
	v_fmac_f64_e32 v[8:9], v[8:9], v[10:11]
	v_fma_f64 v[10:11], -v[6:7], v[8:9], 1.0
	v_fmac_f64_e32 v[8:9], v[8:9], v[10:11]
	v_div_scale_f64 v[10:11], vcc, v[4:5], v[2:3], v[4:5]
	v_mul_f64 v[12:13], v[10:11], v[8:9]
	v_fma_f64 v[6:7], -v[6:7], v[12:13], v[10:11]
	s_movk_i32 s7, 0x7fff
	s_nop 0
	v_div_fmas_f64 v[6:7], v[6:7], v[8:9], v[12:13]
	v_div_fixup_f64 v[2:3], v[6:7], v[2:3], v[4:5]
	v_cvt_f32_f64_e32 v2, v[2:3]
	v_bfe_u32 v3, v2, 16, 1
	v_add_u32_e32 v3, v2, v3
	v_add_u32_e32 v3, 0x7fff, v3
	v_and_b32_e32 v3, 0xffff0000, v3
	v_mov_b32_e32 v4, 0x7fc00000
	v_cmp_o_f32_e32 vcc, v2, v2
	s_addc_u32 s3, s17, s3
	v_add_u32_e32 v2, s6, v0
	v_cndmask_b32_e32 v4, v4, v3, vcc
	s_mov_b64 s[4:5], 0
	v_mov_b32_e32 v5, 0x7fc0
.LBB224_22:                             ; =>This Inner Loop Header: Depth=1
	v_mul_lo_u32 v3, v1, s14
	v_mul_lo_u32 v6, v0, s15
	v_mad_u64_u32 v[0:1], s[12:13], v0, s14, 0
	v_add3_u32 v1, v1, v6, v3
	v_lshl_add_u64 v[6:7], v[0:1], 1, s[2:3]
	global_load_ushort v8, v[6:7], off
	v_ashrrev_i32_e32 v3, 31, v2
	v_mov_b64_e32 v[0:1], v[2:3]
	v_cmp_le_i64_e32 vcc, s[8:9], v[2:3]
	s_or_b64 s[4:5], vcc, s[4:5]
	v_add_u32_e32 v2, s6, v2
	s_waitcnt vmcnt(0)
	v_lshlrev_b32_e32 v3, 16, v8
	v_mul_f32_e32 v3, v4, v3
	v_bfe_u32 v8, v3, 16, 1
	v_cmp_o_f32_e32 vcc, v3, v3
	v_add3_u32 v3, v3, v8, s7
	s_nop 0
	v_cndmask_b32_sdwa v3, v5, v3, vcc dst_sel:DWORD dst_unused:UNUSED_PAD src0_sel:DWORD src1_sel:WORD_1
	global_store_short v[6:7], v3, off
	s_andn2_b64 exec, exec, s[4:5]
	s_cbranch_execnz .LBB224_22
.LBB224_23:
	s_or_b64 exec, exec, s[0:1]
.LBB224_24:
	s_and_b64 vcc, exec, s[10:11]
	s_cbranch_vccnz .LBB224_29
.LBB224_25:
	s_endpgm
.LBB224_26:
	v_lshl_add_u32 v8, v9, 2, 0
	ds_read_b32 v8, v8
	s_or_b64 exec, exec, s[0:1]
	v_cmp_gt_u32_e32 vcc, 64, v0
	s_and_saveexec_b64 s[0:1], vcc
	s_cbranch_execz .LBB224_18
.LBB224_27:
	s_waitcnt lgkmcnt(0)
	ds_bpermute_b32 v2, v2, v8
	s_waitcnt lgkmcnt(0)
	v_add_f32_e32 v2, v8, v2
	ds_bpermute_b32 v3, v3, v2
	s_waitcnt lgkmcnt(0)
	v_add_f32_e32 v2, v2, v3
	;; [unrolled: 3-line block ×6, first 2 shown]
	s_or_b64 exec, exec, s[0:1]
	v_cmp_eq_u32_e32 vcc, 0, v0
	s_and_saveexec_b64 s[6:7], vcc
	s_cbranch_execnz .LBB224_19
	s_branch .LBB224_20
.LBB224_28:
	s_cbranch_execz .LBB224_25
.LBB224_29:
	s_trap 2
	; divergent unreachable
	s_endpgm
	.section	.rodata,"a",@progbits
	.p2align	6, 0x0
	.amdhsa_kernel _ZN2at6native12_GLOBAL__N_113renorm_kernelIN3c108BFloat16EfKiEEvPT_PT1_T0_SA_llllPKl
		.amdhsa_group_segment_fixed_size 0
		.amdhsa_private_segment_fixed_size 0
		.amdhsa_kernarg_size 320
		.amdhsa_user_sgpr_count 2
		.amdhsa_user_sgpr_dispatch_ptr 0
		.amdhsa_user_sgpr_queue_ptr 0
		.amdhsa_user_sgpr_kernarg_segment_ptr 1
		.amdhsa_user_sgpr_dispatch_id 0
		.amdhsa_user_sgpr_kernarg_preload_length 0
		.amdhsa_user_sgpr_kernarg_preload_offset 0
		.amdhsa_user_sgpr_private_segment_size 0
		.amdhsa_uses_dynamic_stack 0
		.amdhsa_enable_private_segment 0
		.amdhsa_system_sgpr_workgroup_id_x 1
		.amdhsa_system_sgpr_workgroup_id_y 0
		.amdhsa_system_sgpr_workgroup_id_z 0
		.amdhsa_system_sgpr_workgroup_info 0
		.amdhsa_system_vgpr_workitem_id 0
		.amdhsa_next_free_vgpr 25
		.amdhsa_next_free_sgpr 42
		.amdhsa_accum_offset 28
		.amdhsa_reserve_vcc 1
		.amdhsa_float_round_mode_32 0
		.amdhsa_float_round_mode_16_64 0
		.amdhsa_float_denorm_mode_32 3
		.amdhsa_float_denorm_mode_16_64 3
		.amdhsa_dx10_clamp 1
		.amdhsa_ieee_mode 1
		.amdhsa_fp16_overflow 0
		.amdhsa_tg_split 0
		.amdhsa_exception_fp_ieee_invalid_op 0
		.amdhsa_exception_fp_denorm_src 0
		.amdhsa_exception_fp_ieee_div_zero 0
		.amdhsa_exception_fp_ieee_overflow 0
		.amdhsa_exception_fp_ieee_underflow 0
		.amdhsa_exception_fp_ieee_inexact 0
		.amdhsa_exception_int_div_zero 0
	.end_amdhsa_kernel
	.section	.text._ZN2at6native12_GLOBAL__N_113renorm_kernelIN3c108BFloat16EfKiEEvPT_PT1_T0_SA_llllPKl,"axG",@progbits,_ZN2at6native12_GLOBAL__N_113renorm_kernelIN3c108BFloat16EfKiEEvPT_PT1_T0_SA_llllPKl,comdat
.Lfunc_end224:
	.size	_ZN2at6native12_GLOBAL__N_113renorm_kernelIN3c108BFloat16EfKiEEvPT_PT1_T0_SA_llllPKl, .Lfunc_end224-_ZN2at6native12_GLOBAL__N_113renorm_kernelIN3c108BFloat16EfKiEEvPT_PT1_T0_SA_llllPKl
                                        ; -- End function
	.set _ZN2at6native12_GLOBAL__N_113renorm_kernelIN3c108BFloat16EfKiEEvPT_PT1_T0_SA_llllPKl.num_vgpr, 25
	.set _ZN2at6native12_GLOBAL__N_113renorm_kernelIN3c108BFloat16EfKiEEvPT_PT1_T0_SA_llllPKl.num_agpr, 0
	.set _ZN2at6native12_GLOBAL__N_113renorm_kernelIN3c108BFloat16EfKiEEvPT_PT1_T0_SA_llllPKl.numbered_sgpr, 42
	.set _ZN2at6native12_GLOBAL__N_113renorm_kernelIN3c108BFloat16EfKiEEvPT_PT1_T0_SA_llllPKl.num_named_barrier, 0
	.set _ZN2at6native12_GLOBAL__N_113renorm_kernelIN3c108BFloat16EfKiEEvPT_PT1_T0_SA_llllPKl.private_seg_size, 0
	.set _ZN2at6native12_GLOBAL__N_113renorm_kernelIN3c108BFloat16EfKiEEvPT_PT1_T0_SA_llllPKl.uses_vcc, 1
	.set _ZN2at6native12_GLOBAL__N_113renorm_kernelIN3c108BFloat16EfKiEEvPT_PT1_T0_SA_llllPKl.uses_flat_scratch, 0
	.set _ZN2at6native12_GLOBAL__N_113renorm_kernelIN3c108BFloat16EfKiEEvPT_PT1_T0_SA_llllPKl.has_dyn_sized_stack, 0
	.set _ZN2at6native12_GLOBAL__N_113renorm_kernelIN3c108BFloat16EfKiEEvPT_PT1_T0_SA_llllPKl.has_recursion, 0
	.set _ZN2at6native12_GLOBAL__N_113renorm_kernelIN3c108BFloat16EfKiEEvPT_PT1_T0_SA_llllPKl.has_indirect_call, 0
	.section	.AMDGPU.csdata,"",@progbits
; Kernel info:
; codeLenInByte = 3552
; TotalNumSgprs: 48
; NumVgprs: 25
; NumAgprs: 0
; TotalNumVgprs: 25
; ScratchSize: 0
; MemoryBound: 0
; FloatMode: 240
; IeeeMode: 1
; LDSByteSize: 0 bytes/workgroup (compile time only)
; SGPRBlocks: 5
; VGPRBlocks: 3
; NumSGPRsForWavesPerEU: 48
; NumVGPRsForWavesPerEU: 25
; AccumOffset: 28
; Occupancy: 8
; WaveLimiterHint : 1
; COMPUTE_PGM_RSRC2:SCRATCH_EN: 0
; COMPUTE_PGM_RSRC2:USER_SGPR: 2
; COMPUTE_PGM_RSRC2:TRAP_HANDLER: 0
; COMPUTE_PGM_RSRC2:TGID_X_EN: 1
; COMPUTE_PGM_RSRC2:TGID_Y_EN: 0
; COMPUTE_PGM_RSRC2:TGID_Z_EN: 0
; COMPUTE_PGM_RSRC2:TIDIG_COMP_CNT: 0
; COMPUTE_PGM_RSRC3_GFX90A:ACCUM_OFFSET: 6
; COMPUTE_PGM_RSRC3_GFX90A:TG_SPLIT: 0
	.section	.text._ZN2at6native12_GLOBAL__N_136embedding_renorm_wrap_indices_kernelIlEEvPKT_PS3_ll,"axG",@progbits,_ZN2at6native12_GLOBAL__N_136embedding_renorm_wrap_indices_kernelIlEEvPKT_PS3_ll,comdat
	.globl	_ZN2at6native12_GLOBAL__N_136embedding_renorm_wrap_indices_kernelIlEEvPKT_PS3_ll ; -- Begin function _ZN2at6native12_GLOBAL__N_136embedding_renorm_wrap_indices_kernelIlEEvPKT_PS3_ll
	.p2align	8
	.type	_ZN2at6native12_GLOBAL__N_136embedding_renorm_wrap_indices_kernelIlEEvPKT_PS3_ll,@function
_ZN2at6native12_GLOBAL__N_136embedding_renorm_wrap_indices_kernelIlEEvPKT_PS3_ll: ; @_ZN2at6native12_GLOBAL__N_136embedding_renorm_wrap_indices_kernelIlEEvPKT_PS3_ll
; %bb.0:
	s_load_dword s3, s[0:1], 0x2c
	s_load_dwordx8 s[4:11], s[0:1], 0x0
	v_mov_b32_e32 v1, 0
	v_mov_b32_e32 v2, s2
	s_waitcnt lgkmcnt(0)
	s_and_b32 s0, s3, 0xffff
	v_mad_u64_u32 v[0:1], s[0:1], s0, v2, v[0:1]
	v_cmp_gt_i64_e32 vcc, s[8:9], v[0:1]
	s_and_saveexec_b64 s[0:1], vcc
	s_cbranch_execz .LBB225_6
; %bb.1:
	v_mov_b32_e32 v2, s4
	v_mov_b32_e32 v3, s5
	v_lshl_add_u64 v[2:3], v[0:1], 3, v[2:3]
	global_load_dwordx2 v[2:3], v[2:3], off
	s_sub_u32 s0, 0, s10
	s_subb_u32 s1, 0, s11
	s_mov_b64 s[2:3], -1
	s_waitcnt vmcnt(0)
	v_cmp_le_i64_e32 vcc, s[0:1], v[2:3]
	s_and_saveexec_b64 s[0:1], vcc
	s_cbranch_execz .LBB225_5
; %bb.2:
	s_getpc_b64 s[2:3]
	s_add_u32 s2, s2, .str.4@rel32@lo+4
	s_addc_u32 s3, s3, .str.4@rel32@hi+12
	s_cmp_eq_u64 s[2:3], 0
	v_cmp_le_i64_e32 vcc, s[10:11], v[2:3]
	s_cselect_b64 s[2:3], -1, 0
	s_or_b64 s[2:3], vcc, s[2:3]
	s_xor_b64 s[8:9], s[2:3], -1
	s_and_saveexec_b64 s[4:5], s[8:9]
; %bb.3:
	v_ashrrev_i32_e32 v6, 31, v3
	v_mov_b32_e32 v4, s6
	v_mov_b32_e32 v5, s7
	v_and_b32_e32 v7, s11, v6
	v_and_b32_e32 v6, s10, v6
	v_lshl_add_u64 v[2:3], v[6:7], 0, v[2:3]
	v_lshl_add_u64 v[0:1], v[0:1], 3, v[4:5]
	global_store_dwordx2 v[0:1], v[2:3], off
; %bb.4:
	s_or_b64 exec, exec, s[4:5]
	s_orn2_b64 s[2:3], s[2:3], exec
.LBB225_5:
	s_or_b64 exec, exec, s[0:1]
	s_and_b64 exec, exec, s[2:3]
	s_cbranch_execnz .LBB225_7
.LBB225_6:
	s_endpgm
.LBB225_7:
	s_trap 2
	; divergent unreachable
	s_endpgm
	.section	.rodata,"a",@progbits
	.p2align	6, 0x0
	.amdhsa_kernel _ZN2at6native12_GLOBAL__N_136embedding_renorm_wrap_indices_kernelIlEEvPKT_PS3_ll
		.amdhsa_group_segment_fixed_size 0
		.amdhsa_private_segment_fixed_size 0
		.amdhsa_kernarg_size 288
		.amdhsa_user_sgpr_count 2
		.amdhsa_user_sgpr_dispatch_ptr 0
		.amdhsa_user_sgpr_queue_ptr 0
		.amdhsa_user_sgpr_kernarg_segment_ptr 1
		.amdhsa_user_sgpr_dispatch_id 0
		.amdhsa_user_sgpr_kernarg_preload_length 0
		.amdhsa_user_sgpr_kernarg_preload_offset 0
		.amdhsa_user_sgpr_private_segment_size 0
		.amdhsa_uses_dynamic_stack 0
		.amdhsa_enable_private_segment 0
		.amdhsa_system_sgpr_workgroup_id_x 1
		.amdhsa_system_sgpr_workgroup_id_y 0
		.amdhsa_system_sgpr_workgroup_id_z 0
		.amdhsa_system_sgpr_workgroup_info 0
		.amdhsa_system_vgpr_workitem_id 0
		.amdhsa_next_free_vgpr 8
		.amdhsa_next_free_sgpr 12
		.amdhsa_accum_offset 8
		.amdhsa_reserve_vcc 1
		.amdhsa_float_round_mode_32 0
		.amdhsa_float_round_mode_16_64 0
		.amdhsa_float_denorm_mode_32 3
		.amdhsa_float_denorm_mode_16_64 3
		.amdhsa_dx10_clamp 1
		.amdhsa_ieee_mode 1
		.amdhsa_fp16_overflow 0
		.amdhsa_tg_split 0
		.amdhsa_exception_fp_ieee_invalid_op 0
		.amdhsa_exception_fp_denorm_src 0
		.amdhsa_exception_fp_ieee_div_zero 0
		.amdhsa_exception_fp_ieee_overflow 0
		.amdhsa_exception_fp_ieee_underflow 0
		.amdhsa_exception_fp_ieee_inexact 0
		.amdhsa_exception_int_div_zero 0
	.end_amdhsa_kernel
	.section	.text._ZN2at6native12_GLOBAL__N_136embedding_renorm_wrap_indices_kernelIlEEvPKT_PS3_ll,"axG",@progbits,_ZN2at6native12_GLOBAL__N_136embedding_renorm_wrap_indices_kernelIlEEvPKT_PS3_ll,comdat
.Lfunc_end225:
	.size	_ZN2at6native12_GLOBAL__N_136embedding_renorm_wrap_indices_kernelIlEEvPKT_PS3_ll, .Lfunc_end225-_ZN2at6native12_GLOBAL__N_136embedding_renorm_wrap_indices_kernelIlEEvPKT_PS3_ll
                                        ; -- End function
	.set _ZN2at6native12_GLOBAL__N_136embedding_renorm_wrap_indices_kernelIlEEvPKT_PS3_ll.num_vgpr, 8
	.set _ZN2at6native12_GLOBAL__N_136embedding_renorm_wrap_indices_kernelIlEEvPKT_PS3_ll.num_agpr, 0
	.set _ZN2at6native12_GLOBAL__N_136embedding_renorm_wrap_indices_kernelIlEEvPKT_PS3_ll.numbered_sgpr, 12
	.set _ZN2at6native12_GLOBAL__N_136embedding_renorm_wrap_indices_kernelIlEEvPKT_PS3_ll.num_named_barrier, 0
	.set _ZN2at6native12_GLOBAL__N_136embedding_renorm_wrap_indices_kernelIlEEvPKT_PS3_ll.private_seg_size, 0
	.set _ZN2at6native12_GLOBAL__N_136embedding_renorm_wrap_indices_kernelIlEEvPKT_PS3_ll.uses_vcc, 1
	.set _ZN2at6native12_GLOBAL__N_136embedding_renorm_wrap_indices_kernelIlEEvPKT_PS3_ll.uses_flat_scratch, 0
	.set _ZN2at6native12_GLOBAL__N_136embedding_renorm_wrap_indices_kernelIlEEvPKT_PS3_ll.has_dyn_sized_stack, 0
	.set _ZN2at6native12_GLOBAL__N_136embedding_renorm_wrap_indices_kernelIlEEvPKT_PS3_ll.has_recursion, 0
	.set _ZN2at6native12_GLOBAL__N_136embedding_renorm_wrap_indices_kernelIlEEvPKT_PS3_ll.has_indirect_call, 0
	.section	.AMDGPU.csdata,"",@progbits
; Kernel info:
; codeLenInByte = 228
; TotalNumSgprs: 18
; NumVgprs: 8
; NumAgprs: 0
; TotalNumVgprs: 8
; ScratchSize: 0
; MemoryBound: 0
; FloatMode: 240
; IeeeMode: 1
; LDSByteSize: 0 bytes/workgroup (compile time only)
; SGPRBlocks: 2
; VGPRBlocks: 0
; NumSGPRsForWavesPerEU: 18
; NumVGPRsForWavesPerEU: 8
; AccumOffset: 8
; Occupancy: 8
; WaveLimiterHint : 0
; COMPUTE_PGM_RSRC2:SCRATCH_EN: 0
; COMPUTE_PGM_RSRC2:USER_SGPR: 2
; COMPUTE_PGM_RSRC2:TRAP_HANDLER: 0
; COMPUTE_PGM_RSRC2:TGID_X_EN: 1
; COMPUTE_PGM_RSRC2:TGID_Y_EN: 0
; COMPUTE_PGM_RSRC2:TGID_Z_EN: 0
; COMPUTE_PGM_RSRC2:TIDIG_COMP_CNT: 0
; COMPUTE_PGM_RSRC3_GFX90A:ACCUM_OFFSET: 1
; COMPUTE_PGM_RSRC3_GFX90A:TG_SPLIT: 0
	.section	.text._ZN7rocprim17ROCPRIM_400000_NS6detail17trampoline_kernelINS0_14default_configENS1_25partition_config_selectorILNS1_17partition_subalgoE8ElNS0_10empty_typeEbEEZZNS1_14partition_implILS5_8ELb0ES3_jPKlPS6_PKS6_NS0_5tupleIJPlS6_EEENSE_IJSB_SB_EEENS0_18inequality_wrapperIN6hipcub16HIPCUB_304000_NS8EqualityEEESF_JS6_EEE10hipError_tPvRmT3_T4_T5_T6_T7_T9_mT8_P12ihipStream_tbDpT10_ENKUlT_T0_E_clISt17integral_constantIbLb0EES16_EEDaS11_S12_EUlS11_E_NS1_11comp_targetILNS1_3genE0ELNS1_11target_archE4294967295ELNS1_3gpuE0ELNS1_3repE0EEENS1_30default_config_static_selectorELNS0_4arch9wavefront6targetE1EEEvT1_,"axG",@progbits,_ZN7rocprim17ROCPRIM_400000_NS6detail17trampoline_kernelINS0_14default_configENS1_25partition_config_selectorILNS1_17partition_subalgoE8ElNS0_10empty_typeEbEEZZNS1_14partition_implILS5_8ELb0ES3_jPKlPS6_PKS6_NS0_5tupleIJPlS6_EEENSE_IJSB_SB_EEENS0_18inequality_wrapperIN6hipcub16HIPCUB_304000_NS8EqualityEEESF_JS6_EEE10hipError_tPvRmT3_T4_T5_T6_T7_T9_mT8_P12ihipStream_tbDpT10_ENKUlT_T0_E_clISt17integral_constantIbLb0EES16_EEDaS11_S12_EUlS11_E_NS1_11comp_targetILNS1_3genE0ELNS1_11target_archE4294967295ELNS1_3gpuE0ELNS1_3repE0EEENS1_30default_config_static_selectorELNS0_4arch9wavefront6targetE1EEEvT1_,comdat
	.protected	_ZN7rocprim17ROCPRIM_400000_NS6detail17trampoline_kernelINS0_14default_configENS1_25partition_config_selectorILNS1_17partition_subalgoE8ElNS0_10empty_typeEbEEZZNS1_14partition_implILS5_8ELb0ES3_jPKlPS6_PKS6_NS0_5tupleIJPlS6_EEENSE_IJSB_SB_EEENS0_18inequality_wrapperIN6hipcub16HIPCUB_304000_NS8EqualityEEESF_JS6_EEE10hipError_tPvRmT3_T4_T5_T6_T7_T9_mT8_P12ihipStream_tbDpT10_ENKUlT_T0_E_clISt17integral_constantIbLb0EES16_EEDaS11_S12_EUlS11_E_NS1_11comp_targetILNS1_3genE0ELNS1_11target_archE4294967295ELNS1_3gpuE0ELNS1_3repE0EEENS1_30default_config_static_selectorELNS0_4arch9wavefront6targetE1EEEvT1_ ; -- Begin function _ZN7rocprim17ROCPRIM_400000_NS6detail17trampoline_kernelINS0_14default_configENS1_25partition_config_selectorILNS1_17partition_subalgoE8ElNS0_10empty_typeEbEEZZNS1_14partition_implILS5_8ELb0ES3_jPKlPS6_PKS6_NS0_5tupleIJPlS6_EEENSE_IJSB_SB_EEENS0_18inequality_wrapperIN6hipcub16HIPCUB_304000_NS8EqualityEEESF_JS6_EEE10hipError_tPvRmT3_T4_T5_T6_T7_T9_mT8_P12ihipStream_tbDpT10_ENKUlT_T0_E_clISt17integral_constantIbLb0EES16_EEDaS11_S12_EUlS11_E_NS1_11comp_targetILNS1_3genE0ELNS1_11target_archE4294967295ELNS1_3gpuE0ELNS1_3repE0EEENS1_30default_config_static_selectorELNS0_4arch9wavefront6targetE1EEEvT1_
	.globl	_ZN7rocprim17ROCPRIM_400000_NS6detail17trampoline_kernelINS0_14default_configENS1_25partition_config_selectorILNS1_17partition_subalgoE8ElNS0_10empty_typeEbEEZZNS1_14partition_implILS5_8ELb0ES3_jPKlPS6_PKS6_NS0_5tupleIJPlS6_EEENSE_IJSB_SB_EEENS0_18inequality_wrapperIN6hipcub16HIPCUB_304000_NS8EqualityEEESF_JS6_EEE10hipError_tPvRmT3_T4_T5_T6_T7_T9_mT8_P12ihipStream_tbDpT10_ENKUlT_T0_E_clISt17integral_constantIbLb0EES16_EEDaS11_S12_EUlS11_E_NS1_11comp_targetILNS1_3genE0ELNS1_11target_archE4294967295ELNS1_3gpuE0ELNS1_3repE0EEENS1_30default_config_static_selectorELNS0_4arch9wavefront6targetE1EEEvT1_
	.p2align	8
	.type	_ZN7rocprim17ROCPRIM_400000_NS6detail17trampoline_kernelINS0_14default_configENS1_25partition_config_selectorILNS1_17partition_subalgoE8ElNS0_10empty_typeEbEEZZNS1_14partition_implILS5_8ELb0ES3_jPKlPS6_PKS6_NS0_5tupleIJPlS6_EEENSE_IJSB_SB_EEENS0_18inequality_wrapperIN6hipcub16HIPCUB_304000_NS8EqualityEEESF_JS6_EEE10hipError_tPvRmT3_T4_T5_T6_T7_T9_mT8_P12ihipStream_tbDpT10_ENKUlT_T0_E_clISt17integral_constantIbLb0EES16_EEDaS11_S12_EUlS11_E_NS1_11comp_targetILNS1_3genE0ELNS1_11target_archE4294967295ELNS1_3gpuE0ELNS1_3repE0EEENS1_30default_config_static_selectorELNS0_4arch9wavefront6targetE1EEEvT1_,@function
_ZN7rocprim17ROCPRIM_400000_NS6detail17trampoline_kernelINS0_14default_configENS1_25partition_config_selectorILNS1_17partition_subalgoE8ElNS0_10empty_typeEbEEZZNS1_14partition_implILS5_8ELb0ES3_jPKlPS6_PKS6_NS0_5tupleIJPlS6_EEENSE_IJSB_SB_EEENS0_18inequality_wrapperIN6hipcub16HIPCUB_304000_NS8EqualityEEESF_JS6_EEE10hipError_tPvRmT3_T4_T5_T6_T7_T9_mT8_P12ihipStream_tbDpT10_ENKUlT_T0_E_clISt17integral_constantIbLb0EES16_EEDaS11_S12_EUlS11_E_NS1_11comp_targetILNS1_3genE0ELNS1_11target_archE4294967295ELNS1_3gpuE0ELNS1_3repE0EEENS1_30default_config_static_selectorELNS0_4arch9wavefront6targetE1EEEvT1_: ; @_ZN7rocprim17ROCPRIM_400000_NS6detail17trampoline_kernelINS0_14default_configENS1_25partition_config_selectorILNS1_17partition_subalgoE8ElNS0_10empty_typeEbEEZZNS1_14partition_implILS5_8ELb0ES3_jPKlPS6_PKS6_NS0_5tupleIJPlS6_EEENSE_IJSB_SB_EEENS0_18inequality_wrapperIN6hipcub16HIPCUB_304000_NS8EqualityEEESF_JS6_EEE10hipError_tPvRmT3_T4_T5_T6_T7_T9_mT8_P12ihipStream_tbDpT10_ENKUlT_T0_E_clISt17integral_constantIbLb0EES16_EEDaS11_S12_EUlS11_E_NS1_11comp_targetILNS1_3genE0ELNS1_11target_archE4294967295ELNS1_3gpuE0ELNS1_3repE0EEENS1_30default_config_static_selectorELNS0_4arch9wavefront6targetE1EEEvT1_
; %bb.0:
	s_load_dwordx4 s[4:7], s[0:1], 0x8
	s_load_dwordx4 s[24:27], s[0:1], 0x40
	s_load_dwordx2 s[8:9], s[0:1], 0x50
	s_load_dword s3, s[0:1], 0x68
	v_lshlrev_b32_e32 v22, 3, v0
	s_waitcnt lgkmcnt(0)
	s_lshl_b64 s[10:11], s[6:7], 3
	s_add_u32 s12, s4, s10
	s_addc_u32 s13, s5, s11
	s_mul_i32 s10, s3, 0xe00
	s_add_i32 s14, s3, -1
	s_add_i32 s3, s10, s6
	s_sub_i32 s3, s8, s3
	s_add_u32 s10, s6, s10
	s_addc_u32 s11, s7, 0
	v_mov_b64_e32 v[2:3], s[10:11]
	s_cmp_eq_u32 s2, s14
	s_load_dwordx2 s[22:23], s[26:27], 0x0
	v_cmp_le_u64_e32 vcc, s[8:9], v[2:3]
	s_cselect_b64 s[26:27], -1, 0
	s_mul_i32 s4, s2, 0xe00
	s_mov_b32 s5, 0
	s_and_b64 s[18:19], s[26:27], vcc
	s_xor_b64 s[28:29], s[18:19], -1
	s_lshl_b64 s[4:5], s[4:5], 3
	s_add_u32 s4, s12, s4
	s_mov_b64 s[8:9], -1
	s_addc_u32 s5, s13, s5
	s_and_b64 vcc, exec, s[28:29]
	s_cbranch_vccz .LBB226_2
; %bb.1:
	v_lshlrev_b32_e32 v2, 3, v0
	v_mov_b32_e32 v3, 0
	v_lshl_add_u64 v[4:5], s[4:5], 0, v[2:3]
	v_add_co_u32_e32 v8, vcc, 0x1000, v4
	global_load_dwordx2 v[6:7], v2, s[4:5]
	s_nop 0
	v_addc_co_u32_e32 v9, vcc, 0, v5, vcc
	v_add_co_u32_e32 v10, vcc, 0x2000, v4
	s_mov_b64 s[8:9], 0
	s_nop 0
	v_addc_co_u32_e32 v11, vcc, 0, v5, vcc
	v_add_co_u32_e32 v12, vcc, 0x3000, v4
	s_nop 1
	v_addc_co_u32_e32 v13, vcc, 0, v5, vcc
	v_add_co_u32_e32 v14, vcc, 0x4000, v4
	s_nop 1
	v_addc_co_u32_e32 v15, vcc, 0, v5, vcc
	global_load_dwordx2 v[16:17], v[8:9], off
	global_load_dwordx2 v[18:19], v[10:11], off
	;; [unrolled: 1-line block ×4, first 2 shown]
	v_add_co_u32_e32 v8, vcc, 0x5000, v4
	s_nop 1
	v_addc_co_u32_e32 v9, vcc, 0, v5, vcc
	v_add_co_u32_e32 v4, vcc, 0x6000, v4
	s_nop 1
	v_addc_co_u32_e32 v5, vcc, 0, v5, vcc
	global_load_dwordx2 v[10:11], v[8:9], off
	global_load_dwordx2 v[12:13], v[4:5], off
	s_waitcnt vmcnt(5)
	ds_write2st64_b64 v2, v[6:7], v[16:17] offset1:8
	s_waitcnt vmcnt(3)
	ds_write2st64_b64 v2, v[18:19], v[20:21] offset0:16 offset1:24
	s_waitcnt vmcnt(1)
	ds_write2st64_b64 v2, v[24:25], v[10:11] offset0:32 offset1:40
	s_waitcnt vmcnt(0)
	ds_write_b64 v2, v[12:13] offset:24576
	s_waitcnt lgkmcnt(0)
	s_barrier
.LBB226_2:
	s_andn2_b64 vcc, exec, s[8:9]
	s_addk_i32 s3, 0xe00
	s_cbranch_vccnz .LBB226_18
; %bb.3:
	v_mov_b32_e32 v2, 0
	v_cmp_gt_u32_e32 vcc, s3, v0
	v_mov_b32_e32 v3, v2
	v_mov_b32_e32 v4, v2
	v_mov_b32_e32 v5, v2
	v_mov_b32_e32 v6, v2
	v_mov_b32_e32 v7, v2
	v_mov_b32_e32 v8, v2
	v_mov_b32_e32 v9, v2
	v_mov_b32_e32 v10, v2
	v_mov_b32_e32 v11, v2
	v_mov_b32_e32 v12, v2
	v_mov_b32_e32 v13, v2
	v_mov_b32_e32 v14, v2
	v_mov_b32_e32 v15, v2
	s_and_saveexec_b64 s[8:9], vcc
	s_cbranch_execz .LBB226_5
; %bb.4:
	v_lshlrev_b32_e32 v1, 3, v0
	global_load_dwordx2 v[4:5], v1, s[4:5]
	v_mov_b32_e32 v6, v2
	v_mov_b32_e32 v7, v2
	;; [unrolled: 1-line block ×12, first 2 shown]
	s_waitcnt vmcnt(0)
	v_mov_b64_e32 v[2:3], v[4:5]
	v_mov_b64_e32 v[4:5], v[6:7]
	;; [unrolled: 1-line block ×8, first 2 shown]
.LBB226_5:
	s_or_b64 exec, exec, s[8:9]
	v_or_b32_e32 v1, 0x200, v0
	v_cmp_gt_u32_e32 vcc, s3, v1
	s_and_saveexec_b64 s[8:9], vcc
	s_cbranch_execz .LBB226_7
; %bb.6:
	v_lshlrev_b32_e32 v1, 3, v1
	global_load_dwordx2 v[4:5], v1, s[4:5]
.LBB226_7:
	s_or_b64 exec, exec, s[8:9]
	v_or_b32_e32 v1, 0x400, v0
	v_cmp_gt_u32_e32 vcc, s3, v1
	s_and_saveexec_b64 s[8:9], vcc
	s_cbranch_execz .LBB226_9
; %bb.8:
	v_lshlrev_b32_e32 v1, 3, v1
	global_load_dwordx2 v[6:7], v1, s[4:5]
.LBB226_9:
	;; [unrolled: 9-line block ×6, first 2 shown]
	s_or_b64 exec, exec, s[8:9]
	v_lshlrev_b32_e32 v1, 3, v0
	s_waitcnt vmcnt(0)
	ds_write2st64_b64 v1, v[2:3], v[4:5] offset1:8
	ds_write2st64_b64 v1, v[6:7], v[8:9] offset0:16 offset1:24
	ds_write2st64_b64 v1, v[10:11], v[12:13] offset0:32 offset1:40
	ds_write_b64 v1, v[14:15] offset:24576
	s_waitcnt lgkmcnt(0)
	s_barrier
.LBB226_18:
	v_mul_u32_u24_e32 v28, 7, v0
	v_lshlrev_b32_e32 v33, 3, v28
	s_waitcnt lgkmcnt(0)
	ds_read2_b64 v[10:13], v33 offset0:2 offset1:3
	ds_read2_b64 v[6:9], v33 offset0:3 offset1:4
	ds_read2_b64 v[14:17], v33 offset1:1
	ds_read2_b64 v[18:21], v33 offset0:1 offset1:2
	ds_read2_b64 v[2:5], v33 offset0:5 offset1:6
	s_cmp_lg_u32 s2, 0
	s_cselect_b64 s[20:21], -1, 0
	s_cmp_lg_u64 s[6:7], 0
	s_cselect_b64 s[6:7], -1, 0
	s_or_b64 s[6:7], s[20:21], s[6:7]
	s_mov_b64 s[30:31], 0
	s_and_b64 vcc, exec, s[6:7]
	s_waitcnt lgkmcnt(0)
	s_barrier
	s_cbranch_vccz .LBB226_23
; %bb.19:
	s_add_u32 s4, s4, -8
	s_addc_u32 s5, s5, -1
	s_load_dwordx2 s[6:7], s[4:5], 0x0
	v_lshlrev_b32_e32 v26, 3, v0
	s_and_b64 vcc, exec, s[28:29]
	ds_write_b64 v26, v[4:5]
	s_cbranch_vccz .LBB226_25
; %bb.20:
	v_cmp_ne_u32_e32 vcc, 0, v0
	s_waitcnt lgkmcnt(0)
	v_mov_b64_e32 v[24:25], s[6:7]
	s_barrier
	s_and_saveexec_b64 s[4:5], vcc
; %bb.21:
	v_add_u32_e32 v1, -8, v26
	ds_read_b64 v[24:25], v1
; %bb.22:
	s_or_b64 exec, exec, s[4:5]
	v_cmp_ne_u64_e32 vcc, v[2:3], v[4:5]
	s_waitcnt lgkmcnt(0)
	v_cmp_ne_u64_e64 s[4:5], v[24:25], v[14:15]
	v_cndmask_b32_e64 v1, 0, 1, vcc
	v_cmp_ne_u64_e32 vcc, v[8:9], v[2:3]
	s_nop 1
	v_cndmask_b32_e64 v23, 0, 1, vcc
	v_cmp_ne_u64_e32 vcc, v[12:13], v[8:9]
	s_nop 1
	;; [unrolled: 3-line block ×3, first 2 shown]
	v_cndmask_b32_e64 v29, 0, 1, vcc
	v_cmp_ne_u64_e32 vcc, v[16:17], v[10:11]
	v_lshlrev_b16_e32 v24, 8, v29
	s_nop 0
	v_cndmask_b32_e64 v30, 0, 1, vcc
	v_cmp_ne_u64_e32 vcc, v[14:15], v[16:17]
	v_or_b32_sdwa v24, v30, v24 dst_sel:WORD_1 dst_unused:UNUSED_PAD src0_sel:DWORD src1_sel:DWORD
	s_nop 0
	v_cndmask_b32_e64 v31, 0, 1, vcc
	v_lshlrev_b16_e32 v25, 8, v31
	v_or_b32_e32 v29, v25, v24
	s_branch .LBB226_29
.LBB226_23:
                                        ; implicit-def: $sgpr4_sgpr5
                                        ; implicit-def: $vgpr1
                                        ; implicit-def: $vgpr23
                                        ; implicit-def: $vgpr27
                                        ; implicit-def: $vgpr29
	s_branch .LBB226_30
.LBB226_24:
                                        ; implicit-def: $vgpr24
                                        ; implicit-def: $vgpr41
                                        ; implicit-def: $vgpr40
                                        ; implicit-def: $vgpr26
	s_branch .LBB226_38
.LBB226_25:
                                        ; implicit-def: $sgpr4_sgpr5
                                        ; implicit-def: $vgpr1
                                        ; implicit-def: $vgpr23
                                        ; implicit-def: $vgpr27
                                        ; implicit-def: $vgpr29
	s_cbranch_execz .LBB226_29
; %bb.26:
	v_cmp_ne_u32_e32 vcc, 0, v0
	s_waitcnt lgkmcnt(0)
	v_mov_b64_e32 v[24:25], s[6:7]
	s_barrier
	s_and_saveexec_b64 s[4:5], vcc
; %bb.27:
	v_add_u32_e32 v1, -8, v26
	ds_read_b64 v[24:25], v1
; %bb.28:
	s_or_b64 exec, exec, s[4:5]
	v_add_u32_e32 v1, 6, v28
	v_cmp_gt_u32_e32 vcc, s3, v1
	v_cmp_ne_u64_e64 s[4:5], v[2:3], v[4:5]
	s_and_b64 s[4:5], vcc, s[4:5]
	v_add_u32_e32 v23, 5, v28
	v_cndmask_b32_e64 v1, 0, 1, s[4:5]
	v_cmp_gt_u32_e32 vcc, s3, v23
	v_cmp_ne_u64_e64 s[4:5], v[8:9], v[2:3]
	s_and_b64 s[4:5], vcc, s[4:5]
	v_add_u32_e32 v26, 4, v28
	v_cndmask_b32_e64 v23, 0, 1, s[4:5]
	;; [unrolled: 5-line block ×5, first 2 shown]
	v_cmp_gt_u32_e32 vcc, s3, v30
	v_cmp_ne_u64_e64 s[4:5], v[14:15], v[16:17]
	s_and_b64 s[4:5], vcc, s[4:5]
	v_cmp_gt_u32_e32 vcc, s3, v28
	v_cndmask_b32_e64 v30, 0, 1, s[4:5]
	s_waitcnt lgkmcnt(0)
	v_cmp_ne_u64_e64 s[4:5], v[24:25], v[14:15]
	v_lshlrev_b16_e32 v24, 8, v26
	v_or_b32_sdwa v24, v29, v24 dst_sel:WORD_1 dst_unused:UNUSED_PAD src0_sel:DWORD src1_sel:DWORD
	v_lshlrev_b16_e32 v25, 8, v30
	s_and_b64 s[4:5], vcc, s[4:5]
	v_or_b32_e32 v29, v25, v24
.LBB226_29:
	s_waitcnt lgkmcnt(0)
	s_mov_b64 s[30:31], -1
	s_cbranch_execnz .LBB226_24
.LBB226_30:
	s_movk_i32 s4, 0xffd0
	v_mad_i32_i24 v30, v0, s4, v33
	s_and_b64 vcc, exec, s[28:29]
	v_cmp_ne_u64_e64 s[4:5], v[2:3], v[4:5]
	ds_write_b64 v30, v[4:5]
	s_cbranch_vccz .LBB226_34
; %bb.31:
	v_cmp_ne_u64_e32 vcc, v[8:9], v[2:3]
	v_cndmask_b32_e64 v1, 0, 1, s[4:5]
	v_mov_b32_e32 v24, 1
	v_cndmask_b32_e64 v23, 0, 1, vcc
	v_cmp_ne_u64_e32 vcc, v[12:13], v[8:9]
	s_waitcnt lgkmcnt(0)
	s_barrier
	v_cndmask_b32_e64 v25, 0, 1, vcc
	v_cmp_ne_u64_e32 vcc, v[14:15], v[16:17]
                                        ; implicit-def: $sgpr4_sgpr5
                                        ; implicit-def: $vgpr29
	s_nop 1
	v_cndmask_b32_e64 v41, 0, 1, vcc
	v_cmp_ne_u64_e32 vcc, v[16:17], v[10:11]
	s_nop 1
	v_cndmask_b32_e64 v40, 0, 1, vcc
	v_cmp_ne_u64_e32 vcc, v[10:11], v[12:13]
	s_nop 1
	v_cndmask_b32_e64 v26, 0, 1, vcc
	v_cmp_ne_u32_e32 vcc, 0, v0
	s_and_saveexec_b64 s[6:7], vcc
	s_xor_b64 s[6:7], exec, s[6:7]
	s_cbranch_execz .LBB226_33
; %bb.32:
	v_add_u32_e32 v29, -8, v30
	ds_read_b64 v[34:35], v29
	v_lshlrev_b16_e32 v27, 8, v26
	v_lshlrev_b16_e32 v29, 8, v41
	v_or_b32_sdwa v27, v40, v27 dst_sel:WORD_1 dst_unused:UNUSED_PAD src0_sel:DWORD src1_sel:DWORD
	v_or_b32_e32 v29, 1, v29
	v_or_b32_sdwa v27, v29, v27 dst_sel:DWORD dst_unused:UNUSED_PAD src0_sel:WORD_0 src1_sel:DWORD
	s_mov_b32 s8, 0x3020104
	s_waitcnt lgkmcnt(0)
	v_cmp_ne_u64_e64 s[4:5], v[34:35], v[14:15]
	v_perm_b32 v29, v27, v27, s8
	s_or_b64 s[30:31], s[30:31], exec
.LBB226_33:
	s_or_b64 exec, exec, s[6:7]
	v_mov_b32_e32 v27, v25
	s_branch .LBB226_38
.LBB226_34:
                                        ; implicit-def: $sgpr4_sgpr5
                                        ; implicit-def: $vgpr1
                                        ; implicit-def: $vgpr23
                                        ; implicit-def: $vgpr27
                                        ; implicit-def: $vgpr29
                                        ; implicit-def: $vgpr24
                                        ; implicit-def: $vgpr41
                                        ; implicit-def: $vgpr40
                                        ; implicit-def: $vgpr26
	s_cbranch_execz .LBB226_38
; %bb.35:
	v_add_u32_e32 v1, 6, v28
	v_cmp_gt_u32_e32 vcc, s3, v1
	v_cmp_ne_u64_e64 s[4:5], v[2:3], v[4:5]
	s_and_b64 s[4:5], vcc, s[4:5]
	v_add_u32_e32 v23, 5, v28
	v_cndmask_b32_e64 v1, 0, 1, s[4:5]
	v_cmp_gt_u32_e32 vcc, s3, v23
	v_cmp_ne_u64_e64 s[4:5], v[8:9], v[2:3]
	s_and_b64 s[4:5], vcc, s[4:5]
	v_add_u32_e32 v26, 1, v28
	v_cndmask_b32_e64 v23, 0, 1, s[4:5]
	v_add_u32_e32 v25, 4, v28
	v_cmp_ne_u64_e64 s[4:5], v[14:15], v[18:19]
	v_cmp_gt_u32_e64 s[12:13], s3, v26
	v_add_u32_e32 v24, 3, v28
	v_cmp_ne_u64_e64 s[6:7], v[12:13], v[8:9]
	v_cmp_gt_u32_e64 s[14:15], s3, v25
	s_and_b64 s[4:5], s[12:13], s[4:5]
	v_add_u32_e32 v27, 2, v28
	v_cmp_ne_u64_e64 s[8:9], v[10:11], v[6:7]
	v_cmp_gt_u32_e64 s[16:17], s3, v24
	v_cndmask_b32_e64 v7, 0, 1, s[4:5]
	s_and_b64 s[4:5], s[14:15], s[6:7]
	v_cmp_ne_u64_e32 vcc, v[16:17], v[20:21]
	v_cmp_gt_u32_e64 s[10:11], s3, v27
	v_cndmask_b32_e64 v21, 0, 1, s[4:5]
	s_and_b64 s[4:5], s[16:17], s[8:9]
	s_and_b64 s[10:11], s[10:11], vcc
	v_lshlrev_b16_e32 v18, 8, v21
	v_cndmask_b32_e64 v25, 0, 1, s[4:5]
	v_cndmask_b32_e64 v20, 0, 1, s[10:11]
	v_or_b32_e32 v26, v25, v18
	v_lshlrev_b16_e32 v6, 8, v20
	v_lshlrev_b32_e32 v18, 16, v26
	v_or_b32_e32 v19, v6, v18
	v_mov_b32_e32 v24, 1
	v_cmp_ne_u32_e32 vcc, 0, v0
	s_waitcnt lgkmcnt(0)
	s_barrier
                                        ; implicit-def: $sgpr4_sgpr5
                                        ; implicit-def: $vgpr27
                                        ; implicit-def: $vgpr29
	s_and_saveexec_b64 s[6:7], vcc
	s_cbranch_execz .LBB226_37
; %bb.36:
	v_lshlrev_b16_e32 v27, 8, v23
	v_or_b32_e32 v21, v21, v27
	v_lshlrev_b16_e32 v25, 8, v25
	v_and_b32_e32 v21, 0xffff, v21
	v_mov_b32_e32 v31, 8
	v_lshl_or_b32 v27, v1, 16, v21
	v_lshrrev_b32_sdwa v21, v31, v25 dst_sel:BYTE_1 dst_unused:UNUSED_PAD src0_sel:DWORD src1_sel:DWORD
	v_lshlrev_b16_e32 v29, 8, v7
	v_or_b32_sdwa v25, v20, v21 dst_sel:WORD_1 dst_unused:UNUSED_PAD src0_sel:DWORD src1_sel:DWORD
	v_add_u32_e32 v20, -8, v30
	ds_read_b64 v[20:21], v20
	v_lshrrev_b32_sdwa v29, v31, v29 dst_sel:BYTE_1 dst_unused:UNUSED_PAD src0_sel:DWORD src1_sel:DWORD
	v_cmp_gt_u32_e32 vcc, s3, v28
	v_or_b32_e32 v29, 1, v29
	v_or_b32_sdwa v25, v29, v25 dst_sel:DWORD dst_unused:UNUSED_PAD src0_sel:WORD_0 src1_sel:DWORD
	s_waitcnt lgkmcnt(0)
	v_cmp_ne_u64_e64 s[4:5], v[20:21], v[14:15]
	s_mov_b32 s8, 0x3020104
	s_and_b64 s[4:5], vcc, s[4:5]
	v_perm_b32 v29, v25, v25, s8
	s_or_b64 s[30:31], s[30:31], exec
.LBB226_37:
	s_or_b64 exec, exec, s[6:7]
	v_or_b32_e32 v41, v7, v6
	v_lshrrev_b32_e32 v25, 24, v18
	v_lshrrev_b32_e32 v40, 8, v19
.LBB226_38:
	s_and_saveexec_b64 s[6:7], s[30:31]
; %bb.39:
	v_lshrrev_b32_e32 v26, 24, v29
	v_lshrrev_b32_e32 v40, 16, v29
	;; [unrolled: 1-line block ×3, first 2 shown]
	v_cndmask_b32_e64 v24, 0, 1, s[4:5]
	v_mov_b32_e32 v25, v27
; %bb.40:
	s_or_b64 exec, exec, s[6:7]
	s_load_dwordx2 s[30:31], s[0:1], 0x60
	s_andn2_b64 vcc, exec, s[18:19]
	s_cbranch_vccnz .LBB226_44
; %bb.41:
	s_mov_b32 s4, 0xc0c0004
	v_perm_b32 v7, v40, v26, s4
	v_perm_b32 v6, v24, v41, s4
	v_lshlrev_b32_e32 v7, 16, v7
	v_or_b32_e32 v6, v6, v7
	v_cmp_gt_u32_e32 vcc, s3, v28
	v_add_u32_e32 v20, 1, v28
	v_perm_b32 v18, v25, v23, s4
	v_cndmask_b32_e32 v7, v7, v6, vcc
	v_and_b32_e32 v7, 0xffff00ff, v7
	v_cmp_gt_u32_e32 vcc, s3, v20
	v_add_u32_e32 v20, 2, v28
	s_mov_b32 s4, 0x40c0100
	v_cndmask_b32_e32 v7, v7, v6, vcc
	v_lshrrev_b32_e32 v21, 24, v7
	v_and_b32_e32 v1, 0xff, v1
	v_perm_b32 v7, v21, v7, s4
	v_cmp_gt_u32_e32 vcc, s3, v20
	v_lshlrev_b32_e32 v1, 16, v1
	v_add_u32_e32 v20, 3, v28
	v_cndmask_b32_e32 v7, v7, v6, vcc
	s_mov_b32 s4, 0xffff00
	v_or_b32_e32 v19, v18, v1
	v_and_b32_e32 v7, 0xffffff, v7
	v_cmp_gt_u32_e32 vcc, s3, v20
	v_bitop3_b32 v1, v18, s4, v1 bitop3:0xc8
	v_add_u32_e32 v18, 4, v28
	v_cndmask_b32_e32 v7, v7, v6, vcc
	v_cmp_gt_u32_e32 vcc, s3, v18
	v_add_u32_e32 v18, 5, v28
	v_cmp_gt_u32_e64 s[4:5], s3, v18
	v_cndmask_b32_e32 v1, v1, v19, vcc
	v_and_b32_e32 v1, 0xffff00ff, v1
	s_or_b64 vcc, s[4:5], vcc
	v_cndmask_b32_e64 v25, v1, v19, s[4:5]
	v_cndmask_b32_e32 v24, v7, v6, vcc
	v_add_u32_e32 v6, 6, v28
	v_lshrrev_b32_e32 v40, 16, v24
	v_lshrrev_b32_e32 v41, 8, v24
	v_lshrrev_b64 v[26:27], 24, v[24:25]
	v_lshrrev_b32_e32 v1, 16, v25
	v_lshrrev_b32_e32 v23, 8, v25
	v_cmp_le_u32_e32 vcc, s3, v6
	s_and_saveexec_b64 s[4:5], vcc
; %bb.42:
	v_mov_b32_e32 v1, 0
; %bb.43:
	s_or_b64 exec, exec, s[4:5]
.LBB226_44:
	v_and_b32_e32 v27, 0xff, v24
	v_and_b32_e32 v35, 0xff, v41
	v_and_b32_e32 v37, 0xff, v40
	v_and_b32_e32 v39, 0xff, v26
	v_and_b32_e32 v42, 0xff, v25
	v_add3_u32 v7, v35, v27, v37
	v_and_b32_e32 v43, 0xff, v23
	v_and_b32_e32 v6, 0xff, v1
	v_add3_u32 v7, v7, v39, v42
	v_add3_u32 v46, v7, v43, v6
	v_mbcnt_lo_u32_b32 v6, -1, 0
	v_mbcnt_hi_u32_b32 v44, -1, v6
	v_and_b32_e32 v6, 15, v44
	v_cmp_eq_u32_e64 s[14:15], 0, v6
	v_cmp_lt_u32_e64 s[12:13], 1, v6
	v_cmp_lt_u32_e64 s[10:11], 3, v6
	;; [unrolled: 1-line block ×3, first 2 shown]
	v_and_b32_e32 v6, 16, v44
	v_cmp_eq_u32_e64 s[6:7], 0, v6
	v_or_b32_e32 v6, 63, v0
	v_cmp_lt_u32_e64 s[18:19], 31, v44
	v_lshrrev_b32_e32 v45, 6, v0
	v_cmp_eq_u32_e64 s[4:5], v0, v6
	s_and_b64 vcc, exec, s[20:21]
	s_waitcnt lgkmcnt(0)
	s_barrier
	s_cbranch_vccz .LBB226_66
; %bb.45:
	v_mov_b32_dpp v6, v46 row_shr:1 row_mask:0xf bank_mask:0xf
	v_cndmask_b32_e64 v6, v6, 0, s[14:15]
	v_add_u32_e32 v6, v6, v46
	s_nop 1
	v_mov_b32_dpp v7, v6 row_shr:2 row_mask:0xf bank_mask:0xf
	v_cndmask_b32_e64 v7, 0, v7, s[12:13]
	v_add_u32_e32 v6, v6, v7
	s_nop 1
	;; [unrolled: 4-line block ×4, first 2 shown]
	v_mov_b32_dpp v7, v6 row_bcast:15 row_mask:0xf bank_mask:0xf
	v_cndmask_b32_e64 v7, v7, 0, s[6:7]
	v_add_u32_e32 v6, v6, v7
	s_nop 1
	v_mov_b32_dpp v7, v6 row_bcast:31 row_mask:0xf bank_mask:0xf
	v_cndmask_b32_e64 v7, 0, v7, s[18:19]
	v_add_u32_e32 v6, v6, v7
	s_and_saveexec_b64 s[16:17], s[4:5]
; %bb.46:
	v_lshlrev_b32_e32 v7, 2, v45
	ds_write_b32 v7, v6
; %bb.47:
	s_or_b64 exec, exec, s[16:17]
	v_cmp_gt_u32_e32 vcc, 8, v0
	s_waitcnt lgkmcnt(0)
	s_barrier
	s_and_saveexec_b64 s[16:17], vcc
	s_cbranch_execz .LBB226_49
; %bb.48:
	v_lshlrev_b32_e32 v7, 2, v0
	ds_read_b32 v18, v7
	v_and_b32_e32 v19, 7, v44
	v_cmp_ne_u32_e32 vcc, 0, v19
	s_waitcnt lgkmcnt(0)
	v_mov_b32_dpp v20, v18 row_shr:1 row_mask:0xf bank_mask:0xf
	v_cndmask_b32_e32 v20, 0, v20, vcc
	v_add_u32_e32 v18, v20, v18
	v_cmp_lt_u32_e32 vcc, 1, v19
	s_nop 0
	v_mov_b32_dpp v20, v18 row_shr:2 row_mask:0xf bank_mask:0xf
	v_cndmask_b32_e32 v20, 0, v20, vcc
	v_add_u32_e32 v18, v18, v20
	v_cmp_lt_u32_e32 vcc, 3, v19
	s_nop 0
	v_mov_b32_dpp v20, v18 row_shr:4 row_mask:0xf bank_mask:0xf
	v_cndmask_b32_e32 v19, 0, v20, vcc
	v_add_u32_e32 v18, v18, v19
	ds_write_b32 v7, v18
.LBB226_49:
	s_or_b64 exec, exec, s[16:17]
	v_cmp_gt_u32_e32 vcc, 64, v0
	v_cmp_lt_u32_e64 s[16:17], 63, v0
	s_waitcnt lgkmcnt(0)
	s_barrier
                                        ; implicit-def: $vgpr32
	s_and_saveexec_b64 s[20:21], s[16:17]
	s_cbranch_execz .LBB226_51
; %bb.50:
	v_lshl_add_u32 v7, v45, 2, -4
	ds_read_b32 v32, v7
	s_waitcnt lgkmcnt(0)
	v_add_u32_e32 v6, v32, v6
.LBB226_51:
	s_or_b64 exec, exec, s[20:21]
	v_subrev_co_u32_e64 v7, s[16:17], 1, v44
	v_and_b32_e32 v18, 64, v44
	v_cmp_lt_i32_e64 s[20:21], v7, v18
	s_nop 1
	v_cndmask_b32_e64 v7, v7, v44, s[20:21]
	v_lshlrev_b32_e32 v7, 2, v7
	ds_bpermute_b32 v34, v7, v6
	s_and_saveexec_b64 s[20:21], vcc
	s_cbranch_execz .LBB226_71
; %bb.52:
	v_mov_b32_e32 v29, 0
	ds_read_b32 v6, v29 offset:28
	s_and_saveexec_b64 s[34:35], s[16:17]
	s_cbranch_execz .LBB226_54
; %bb.53:
	s_add_i32 s36, s2, 64
	s_mov_b32 s37, 0
	s_lshl_b64 s[36:37], s[36:37], 3
	s_add_u32 s36, s30, s36
	v_mov_b32_e32 v7, 1
	s_addc_u32 s37, s31, s37
	s_waitcnt lgkmcnt(0)
	global_store_dwordx2 v29, v[6:7], s[36:37] sc1
.LBB226_54:
	s_or_b64 exec, exec, s[34:35]
	v_xad_u32 v18, v44, -1, s2
	v_add_u32_e32 v28, 64, v18
	v_lshl_add_u64 v[30:31], v[28:29], 3, s[30:31]
	global_load_dwordx2 v[20:21], v[30:31], off sc1
	s_waitcnt vmcnt(0)
	v_cmp_eq_u16_sdwa s[36:37], v21, v29 src0_sel:BYTE_0 src1_sel:DWORD
	s_and_saveexec_b64 s[34:35], s[36:37]
	s_cbranch_execz .LBB226_58
; %bb.55:
	s_mov_b64 s[36:37], 0
	v_mov_b32_e32 v7, 0
.LBB226_56:                             ; =>This Inner Loop Header: Depth=1
	global_load_dwordx2 v[20:21], v[30:31], off sc1
	s_waitcnt vmcnt(0)
	v_cmp_ne_u16_sdwa s[38:39], v21, v7 src0_sel:BYTE_0 src1_sel:DWORD
	s_or_b64 s[36:37], s[38:39], s[36:37]
	s_andn2_b64 exec, exec, s[36:37]
	s_cbranch_execnz .LBB226_56
; %bb.57:
	s_or_b64 exec, exec, s[36:37]
.LBB226_58:
	s_or_b64 exec, exec, s[34:35]
	v_and_b32_e32 v38, 63, v44
	v_mov_b32_e32 v36, 2
	v_cmp_ne_u32_e32 vcc, 63, v38
	v_cmp_eq_u16_sdwa s[34:35], v21, v36 src0_sel:BYTE_0 src1_sel:DWORD
	v_lshlrev_b64 v[28:29], v44, -1
	v_addc_co_u32_e32 v30, vcc, 0, v44, vcc
	v_and_b32_e32 v7, s35, v29
	v_lshlrev_b32_e32 v47, 2, v30
	v_or_b32_e32 v7, 0x80000000, v7
	ds_bpermute_b32 v30, v47, v20
	v_and_b32_e32 v19, s34, v28
	v_ffbl_b32_e32 v7, v7
	v_add_u32_e32 v7, 32, v7
	v_ffbl_b32_e32 v19, v19
	v_min_u32_e32 v7, v19, v7
	v_cmp_lt_u32_e32 vcc, v38, v7
	v_add_u32_e32 v49, 2, v38
	v_add_u32_e32 v51, 4, v38
	s_waitcnt lgkmcnt(0)
	v_cndmask_b32_e32 v19, 0, v30, vcc
	v_cmp_gt_u32_e32 vcc, 62, v38
	v_add_u32_e32 v19, v19, v20
	v_add_u32_e32 v53, 8, v38
	v_cndmask_b32_e64 v20, 0, 2, vcc
	v_add_lshl_u32 v48, v20, v44, 2
	ds_bpermute_b32 v20, v48, v19
	v_cmp_le_u32_e32 vcc, v49, v7
	v_add_u32_e32 v55, 16, v38
	v_add_u32_e32 v57, 32, v38
	s_waitcnt lgkmcnt(0)
	v_cndmask_b32_e32 v20, 0, v20, vcc
	v_cmp_gt_u32_e32 vcc, 60, v38
	v_add_u32_e32 v19, v19, v20
	s_nop 0
	v_cndmask_b32_e64 v20, 0, 4, vcc
	v_add_lshl_u32 v50, v20, v44, 2
	ds_bpermute_b32 v20, v50, v19
	v_cmp_le_u32_e32 vcc, v51, v7
	s_waitcnt lgkmcnt(0)
	s_nop 0
	v_cndmask_b32_e32 v20, 0, v20, vcc
	v_cmp_gt_u32_e32 vcc, 56, v38
	v_add_u32_e32 v19, v19, v20
	s_nop 0
	v_cndmask_b32_e64 v20, 0, 8, vcc
	v_add_lshl_u32 v52, v20, v44, 2
	ds_bpermute_b32 v20, v52, v19
	v_cmp_le_u32_e32 vcc, v53, v7
	s_waitcnt lgkmcnt(0)
	s_nop 0
	;; [unrolled: 10-line block ×3, first 2 shown]
	v_cndmask_b32_e32 v20, 0, v20, vcc
	v_add_u32_e32 v19, v19, v20
	v_mov_b32_e32 v20, 0x80
	v_lshl_or_b32 v56, v44, 2, v20
	ds_bpermute_b32 v20, v56, v19
	v_cmp_le_u32_e32 vcc, v57, v7
	s_waitcnt lgkmcnt(0)
	s_nop 0
	v_cndmask_b32_e32 v7, 0, v20, vcc
	v_add_u32_e32 v20, v19, v7
	v_mov_b32_e32 v19, 0
	s_branch .LBB226_61
.LBB226_59:                             ;   in Loop: Header=BB226_61 Depth=1
	s_or_b64 exec, exec, s[34:35]
	v_cmp_eq_u16_sdwa s[34:35], v21, v36 src0_sel:BYTE_0 src1_sel:DWORD
	ds_bpermute_b32 v58, v47, v20
	v_subrev_u32_e32 v18, 64, v18
	v_and_b32_e32 v30, s35, v29
	v_or_b32_e32 v30, 0x80000000, v30
	v_and_b32_e32 v31, s34, v28
	v_ffbl_b32_e32 v30, v30
	v_add_u32_e32 v30, 32, v30
	v_ffbl_b32_e32 v31, v31
	v_min_u32_e32 v30, v31, v30
	v_cmp_lt_u32_e32 vcc, v38, v30
	s_mov_b64 s[34:35], 0
	s_waitcnt lgkmcnt(0)
	v_cndmask_b32_e32 v31, 0, v58, vcc
	v_add_u32_e32 v20, v31, v20
	ds_bpermute_b32 v31, v48, v20
	v_cmp_le_u32_e32 vcc, v49, v30
	s_waitcnt lgkmcnt(0)
	s_nop 0
	v_cndmask_b32_e32 v31, 0, v31, vcc
	v_add_u32_e32 v20, v20, v31
	ds_bpermute_b32 v31, v50, v20
	v_cmp_le_u32_e32 vcc, v51, v30
	s_waitcnt lgkmcnt(0)
	s_nop 0
	;; [unrolled: 6-line block ×5, first 2 shown]
	v_cndmask_b32_e32 v30, 0, v31, vcc
	v_add3_u32 v20, v30, v7, v20
.LBB226_60:                             ;   in Loop: Header=BB226_61 Depth=1
	s_and_b64 vcc, exec, s[34:35]
	s_cbranch_vccnz .LBB226_67
.LBB226_61:                             ; =>This Loop Header: Depth=1
                                        ;     Child Loop BB226_64 Depth 2
	v_cmp_ne_u16_sdwa s[34:35], v21, v36 src0_sel:BYTE_0 src1_sel:DWORD
	v_mov_b32_e32 v7, v20
	s_cmp_lg_u64 s[34:35], exec
	s_mov_b64 s[34:35], -1
                                        ; implicit-def: $vgpr20
                                        ; implicit-def: $vgpr21
	s_cbranch_scc1 .LBB226_60
; %bb.62:                               ;   in Loop: Header=BB226_61 Depth=1
	v_lshl_add_u64 v[30:31], v[18:19], 3, s[30:31]
	global_load_dwordx2 v[20:21], v[30:31], off sc1
	s_waitcnt vmcnt(0)
	v_cmp_eq_u16_sdwa s[36:37], v21, v19 src0_sel:BYTE_0 src1_sel:DWORD
	s_and_saveexec_b64 s[34:35], s[36:37]
	s_cbranch_execz .LBB226_59
; %bb.63:                               ;   in Loop: Header=BB226_61 Depth=1
	s_mov_b64 s[36:37], 0
.LBB226_64:                             ;   Parent Loop BB226_61 Depth=1
                                        ; =>  This Inner Loop Header: Depth=2
	global_load_dwordx2 v[20:21], v[30:31], off sc1
	s_waitcnt vmcnt(0)
	v_cmp_ne_u16_sdwa s[38:39], v21, v19 src0_sel:BYTE_0 src1_sel:DWORD
	s_or_b64 s[36:37], s[38:39], s[36:37]
	s_andn2_b64 exec, exec, s[36:37]
	s_cbranch_execnz .LBB226_64
; %bb.65:                               ;   in Loop: Header=BB226_61 Depth=1
	s_or_b64 exec, exec, s[36:37]
	s_branch .LBB226_59
.LBB226_66:
                                        ; implicit-def: $vgpr18
                                        ; implicit-def: $vgpr6
                                        ; implicit-def: $vgpr20
                                        ; implicit-def: $vgpr28
                                        ; implicit-def: $vgpr30
                                        ; implicit-def: $vgpr32
                                        ; implicit-def: $vgpr34
                                        ; implicit-def: $vgpr36
                                        ; implicit-def: $vgpr38
	s_load_dwordx2 s[2:3], s[0:1], 0x28
	s_cbranch_execnz .LBB226_72
	s_branch .LBB226_81
.LBB226_67:
	s_and_saveexec_b64 s[34:35], s[16:17]
	s_cbranch_execz .LBB226_69
; %bb.68:
	s_add_i32 s2, s2, 64
	s_mov_b32 s3, 0
	s_lshl_b64 s[2:3], s[2:3], 3
	s_add_u32 s2, s30, s2
	v_add_u32_e32 v18, v7, v6
	v_mov_b32_e32 v19, 2
	s_addc_u32 s3, s31, s3
	v_mov_b32_e32 v20, 0
	global_store_dwordx2 v20, v[18:19], s[2:3] sc1
	ds_write_b64 v20, v[6:7] offset:28672
.LBB226_69:
	s_or_b64 exec, exec, s[34:35]
	v_cmp_eq_u32_e32 vcc, 0, v0
	s_and_b64 exec, exec, vcc
; %bb.70:
	v_mov_b32_e32 v6, 0
	ds_write_b32 v6, v7 offset:28
.LBB226_71:
	s_or_b64 exec, exec, s[20:21]
	v_mov_b32_e32 v6, 0
	s_waitcnt lgkmcnt(0)
	s_barrier
	ds_read_b32 v7, v6 offset:28
	v_cndmask_b32_e64 v18, v34, v32, s[16:17]
	v_cmp_ne_u32_e32 vcc, 0, v0
	s_waitcnt lgkmcnt(0)
	s_barrier
	v_cndmask_b32_e32 v18, 0, v18, vcc
	v_add_u32_e32 v38, v7, v18
	v_add_u32_e32 v36, v38, v27
	ds_read_b64 v[6:7], v6 offset:28672
	v_add_u32_e32 v34, v36, v35
	v_add_u32_e32 v32, v34, v37
	;; [unrolled: 1-line block ×5, first 2 shown]
	s_waitcnt lgkmcnt(0)
	v_mov_b32_e32 v18, v7
	s_load_dwordx2 s[2:3], s[0:1], 0x28
	s_branch .LBB226_81
.LBB226_72:
	v_mov_b32_dpp v6, v46 row_shr:1 row_mask:0xf bank_mask:0xf
	v_cndmask_b32_e64 v6, v6, 0, s[14:15]
	v_add_u32_e32 v6, v6, v46
	s_nop 1
	v_mov_b32_dpp v7, v6 row_shr:2 row_mask:0xf bank_mask:0xf
	v_cndmask_b32_e64 v7, 0, v7, s[12:13]
	v_add_u32_e32 v6, v6, v7
	s_nop 1
	;; [unrolled: 4-line block ×4, first 2 shown]
	v_mov_b32_dpp v7, v6 row_bcast:15 row_mask:0xf bank_mask:0xf
	v_cndmask_b32_e64 v7, v7, 0, s[6:7]
	v_add_u32_e32 v6, v6, v7
	s_nop 1
	v_mov_b32_dpp v7, v6 row_bcast:31 row_mask:0xf bank_mask:0xf
	v_cndmask_b32_e64 v7, 0, v7, s[18:19]
	v_add_u32_e32 v6, v6, v7
	s_and_saveexec_b64 s[0:1], s[4:5]
; %bb.73:
	v_lshlrev_b32_e32 v7, 2, v45
	ds_write_b32 v7, v6
; %bb.74:
	s_or_b64 exec, exec, s[0:1]
	v_cmp_gt_u32_e32 vcc, 8, v0
	s_waitcnt lgkmcnt(0)
	s_barrier
	s_and_saveexec_b64 s[0:1], vcc
	s_cbranch_execz .LBB226_76
; %bb.75:
	s_movk_i32 s4, 0xffcc
	v_mad_i32_i24 v7, v0, s4, v33
	ds_read_b32 v18, v7
	v_and_b32_e32 v19, 7, v44
	v_cmp_ne_u32_e32 vcc, 0, v19
	s_waitcnt lgkmcnt(0)
	v_mov_b32_dpp v20, v18 row_shr:1 row_mask:0xf bank_mask:0xf
	v_cndmask_b32_e32 v20, 0, v20, vcc
	v_add_u32_e32 v18, v20, v18
	v_cmp_lt_u32_e32 vcc, 1, v19
	s_nop 0
	v_mov_b32_dpp v20, v18 row_shr:2 row_mask:0xf bank_mask:0xf
	v_cndmask_b32_e32 v20, 0, v20, vcc
	v_add_u32_e32 v18, v18, v20
	v_cmp_lt_u32_e32 vcc, 3, v19
	s_nop 0
	v_mov_b32_dpp v20, v18 row_shr:4 row_mask:0xf bank_mask:0xf
	v_cndmask_b32_e32 v19, 0, v20, vcc
	v_add_u32_e32 v18, v18, v19
	ds_write_b32 v7, v18
.LBB226_76:
	s_or_b64 exec, exec, s[0:1]
	v_cmp_lt_u32_e32 vcc, 63, v0
	v_mov_b32_e32 v7, 0
	v_mov_b32_e32 v18, 0
	s_waitcnt lgkmcnt(0)
	s_barrier
	s_and_saveexec_b64 s[0:1], vcc
; %bb.77:
	v_lshl_add_u32 v18, v45, 2, -4
	ds_read_b32 v18, v18
; %bb.78:
	s_or_b64 exec, exec, s[0:1]
	v_subrev_co_u32_e32 v19, vcc, 1, v44
	v_and_b32_e32 v20, 64, v44
	v_cmp_lt_i32_e64 s[0:1], v19, v20
	s_waitcnt lgkmcnt(0)
	v_add_u32_e32 v6, v18, v6
	v_cndmask_b32_e64 v19, v19, v44, s[0:1]
	v_lshlrev_b32_e32 v19, 2, v19
	ds_bpermute_b32 v19, v19, v6
	ds_read_b32 v6, v7 offset:28
	v_cmp_eq_u32_e64 s[0:1], 0, v0
	s_and_saveexec_b64 s[4:5], s[0:1]
	s_cbranch_execz .LBB226_80
; %bb.79:
	v_mov_b32_e32 v20, 0
	v_mov_b32_e32 v7, 2
	s_waitcnt lgkmcnt(0)
	global_store_dwordx2 v20, v[6:7], s[30:31] offset:512 sc1
.LBB226_80:
	s_or_b64 exec, exec, s[4:5]
	s_waitcnt lgkmcnt(1)
	v_cndmask_b32_e32 v7, v19, v18, vcc
	v_cndmask_b32_e64 v38, v7, 0, s[0:1]
	v_add_u32_e32 v36, v38, v27
	v_add_u32_e32 v34, v36, v35
	;; [unrolled: 1-line block ×6, first 2 shown]
	s_waitcnt lgkmcnt(0)
	s_barrier
	v_mov_b32_e32 v18, 0
.LBB226_81:
	s_movk_i32 s0, 0x201
	v_cmp_gt_u32_e32 vcc, s0, v6
	v_and_b32_e32 v7, 1, v24
	s_mov_b64 s[4:5], -1
	v_cmp_eq_u32_e64 s[0:1], 1, v7
	s_cbranch_vccnz .LBB226_85
; %bb.82:
	s_and_b64 vcc, exec, s[4:5]
	s_cbranch_vccnz .LBB226_100
.LBB226_83:
	v_cmp_eq_u32_e32 vcc, 0, v0
	s_and_b64 s[0:1], vcc, s[26:27]
	s_waitcnt lgkmcnt(0)
	s_and_saveexec_b64 s[2:3], s[0:1]
	s_cbranch_execnz .LBB226_117
.LBB226_84:
	s_endpgm
.LBB226_85:
	v_add_u32_e32 v19, v18, v6
	v_cmp_lt_u32_e32 vcc, v38, v19
	s_or_b64 s[4:5], s[28:29], vcc
	s_and_b64 s[4:5], s[4:5], s[0:1]
	s_and_saveexec_b64 s[0:1], s[4:5]
	s_cbranch_execz .LBB226_87
; %bb.86:
	s_lshl_b64 s[4:5], s[22:23], 3
	s_waitcnt lgkmcnt(0)
	s_add_u32 s4, s2, s4
	s_addc_u32 s5, s3, s5
	v_mov_b32_e32 v39, 0
	v_lshl_add_u64 v[42:43], v[38:39], 3, s[4:5]
	global_store_dwordx2 v[42:43], v[14:15], off
.LBB226_87:
	s_or_b64 exec, exec, s[0:1]
	v_cmp_lt_u32_e32 vcc, v36, v19
	v_and_b32_e32 v21, 1, v41
	s_or_b64 s[0:1], s[28:29], vcc
	v_cmp_eq_u32_e32 vcc, 1, v21
	s_and_b64 s[4:5], s[0:1], vcc
	s_and_saveexec_b64 s[0:1], s[4:5]
	s_cbranch_execz .LBB226_89
; %bb.88:
	s_lshl_b64 s[4:5], s[22:23], 3
	s_waitcnt lgkmcnt(0)
	s_add_u32 s4, s2, s4
	s_addc_u32 s5, s3, s5
	v_mov_b32_e32 v37, 0
	v_lshl_add_u64 v[42:43], v[36:37], 3, s[4:5]
	global_store_dwordx2 v[42:43], v[16:17], off
.LBB226_89:
	s_or_b64 exec, exec, s[0:1]
	v_cmp_lt_u32_e32 vcc, v34, v19
	v_and_b32_e32 v21, 1, v40
	s_or_b64 s[0:1], s[28:29], vcc
	v_cmp_eq_u32_e32 vcc, 1, v21
	s_and_b64 s[4:5], s[0:1], vcc
	s_and_saveexec_b64 s[0:1], s[4:5]
	s_cbranch_execz .LBB226_91
; %bb.90:
	s_lshl_b64 s[4:5], s[22:23], 3
	s_waitcnt lgkmcnt(0)
	s_add_u32 s4, s2, s4
	s_addc_u32 s5, s3, s5
	v_mov_b32_e32 v35, 0
	v_lshl_add_u64 v[42:43], v[34:35], 3, s[4:5]
	global_store_dwordx2 v[42:43], v[10:11], off
.LBB226_91:
	s_or_b64 exec, exec, s[0:1]
	v_cmp_lt_u32_e32 vcc, v32, v19
	v_and_b32_e32 v21, 1, v26
	s_or_b64 s[0:1], s[28:29], vcc
	v_cmp_eq_u32_e32 vcc, 1, v21
	s_and_b64 s[4:5], s[0:1], vcc
	s_and_saveexec_b64 s[0:1], s[4:5]
	s_cbranch_execz .LBB226_93
; %bb.92:
	s_lshl_b64 s[4:5], s[22:23], 3
	s_waitcnt lgkmcnt(0)
	s_add_u32 s4, s2, s4
	s_addc_u32 s5, s3, s5
	v_mov_b32_e32 v33, 0
	v_lshl_add_u64 v[42:43], v[32:33], 3, s[4:5]
	global_store_dwordx2 v[42:43], v[12:13], off
.LBB226_93:
	s_or_b64 exec, exec, s[0:1]
	v_cmp_lt_u32_e32 vcc, v30, v19
	v_and_b32_e32 v21, 1, v25
	s_or_b64 s[0:1], s[28:29], vcc
	v_cmp_eq_u32_e32 vcc, 1, v21
	s_and_b64 s[4:5], s[0:1], vcc
	s_and_saveexec_b64 s[0:1], s[4:5]
	s_cbranch_execz .LBB226_95
; %bb.94:
	s_lshl_b64 s[4:5], s[22:23], 3
	s_waitcnt lgkmcnt(0)
	s_add_u32 s4, s2, s4
	s_addc_u32 s5, s3, s5
	v_mov_b32_e32 v31, 0
	v_lshl_add_u64 v[42:43], v[30:31], 3, s[4:5]
	global_store_dwordx2 v[42:43], v[8:9], off
.LBB226_95:
	s_or_b64 exec, exec, s[0:1]
	v_cmp_lt_u32_e32 vcc, v28, v19
	v_and_b32_e32 v21, 1, v23
	s_or_b64 s[0:1], s[28:29], vcc
	v_cmp_eq_u32_e32 vcc, 1, v21
	s_and_b64 s[4:5], s[0:1], vcc
	s_and_saveexec_b64 s[0:1], s[4:5]
	s_cbranch_execz .LBB226_97
; %bb.96:
	s_lshl_b64 s[4:5], s[22:23], 3
	s_waitcnt lgkmcnt(0)
	s_add_u32 s4, s2, s4
	s_addc_u32 s5, s3, s5
	v_mov_b32_e32 v29, 0
	v_lshl_add_u64 v[42:43], v[28:29], 3, s[4:5]
	global_store_dwordx2 v[42:43], v[2:3], off
.LBB226_97:
	s_or_b64 exec, exec, s[0:1]
	v_cmp_lt_u32_e32 vcc, v20, v19
	v_and_b32_e32 v19, 1, v1
	s_or_b64 s[0:1], s[28:29], vcc
	v_cmp_eq_u32_e32 vcc, 1, v19
	s_and_b64 s[4:5], s[0:1], vcc
	s_and_saveexec_b64 s[0:1], s[4:5]
	s_cbranch_execz .LBB226_99
; %bb.98:
	s_lshl_b64 s[4:5], s[22:23], 3
	s_waitcnt lgkmcnt(0)
	s_add_u32 s4, s2, s4
	s_addc_u32 s5, s3, s5
	v_mov_b32_e32 v21, 0
	v_lshl_add_u64 v[42:43], v[20:21], 3, s[4:5]
	global_store_dwordx2 v[42:43], v[4:5], off
.LBB226_99:
	s_or_b64 exec, exec, s[0:1]
	s_branch .LBB226_83
.LBB226_100:
	v_cmp_eq_u32_e32 vcc, 1, v7
	s_and_saveexec_b64 s[0:1], vcc
; %bb.101:
	v_sub_u32_e32 v7, v38, v18
	v_lshlrev_b32_e32 v7, 3, v7
	ds_write_b64 v7, v[14:15]
; %bb.102:
	s_or_b64 exec, exec, s[0:1]
	v_and_b32_e32 v7, 1, v41
	v_cmp_eq_u32_e32 vcc, 1, v7
	s_and_saveexec_b64 s[0:1], vcc
; %bb.103:
	v_sub_u32_e32 v7, v36, v18
	v_lshlrev_b32_e32 v7, 3, v7
	ds_write_b64 v7, v[16:17]
; %bb.104:
	s_or_b64 exec, exec, s[0:1]
	v_and_b32_e32 v7, 1, v40
	;; [unrolled: 9-line block ×6, first 2 shown]
	v_cmp_eq_u32_e32 vcc, 1, v1
	s_and_saveexec_b64 s[0:1], vcc
; %bb.113:
	v_sub_u32_e32 v1, v20, v18
	v_lshlrev_b32_e32 v1, 3, v1
	ds_write_b64 v1, v[4:5]
; %bb.114:
	s_or_b64 exec, exec, s[0:1]
	v_mov_b32_e32 v19, 0
	s_lshl_b64 s[0:1], s[22:23], 3
	v_lshlrev_b64 v[2:3], 3, v[18:19]
	v_lshl_add_u64 v[2:3], s[0:1], 0, v[2:3]
	v_mov_b32_e32 v23, v19
	s_waitcnt lgkmcnt(0)
	v_lshl_add_u64 v[2:3], s[2:3], 0, v[2:3]
	v_lshl_add_u64 v[2:3], v[2:3], 0, v[22:23]
	s_mov_b64 s[0:1], 0
	s_mov_b64 s[2:3], 0x1000
	v_mov_b32_e32 v1, v0
	s_barrier
.LBB226_115:                            ; =>This Inner Loop Header: Depth=1
	ds_read_b64 v[4:5], v22
	v_add_u32_e32 v1, 0x200, v1
	v_cmp_ge_u32_e32 vcc, v1, v6
	v_add_u32_e32 v22, 0x1000, v22
	s_or_b64 s[0:1], vcc, s[0:1]
	s_waitcnt lgkmcnt(0)
	global_store_dwordx2 v[2:3], v[4:5], off
	v_lshl_add_u64 v[2:3], v[2:3], 0, s[2:3]
	s_andn2_b64 exec, exec, s[0:1]
	s_cbranch_execnz .LBB226_115
; %bb.116:
	s_or_b64 exec, exec, s[0:1]
	v_cmp_eq_u32_e32 vcc, 0, v0
	s_and_b64 s[0:1], vcc, s[26:27]
	s_and_saveexec_b64 s[2:3], s[0:1]
	s_cbranch_execz .LBB226_84
.LBB226_117:
	v_mov_b32_e32 v7, 0
	v_lshl_add_u64 v[0:1], s[22:23], 0, v[6:7]
	v_mov_b32_e32 v19, v7
	v_lshl_add_u64 v[0:1], v[0:1], 0, v[18:19]
	global_store_dwordx2 v7, v[0:1], s[24:25]
	s_endpgm
	.section	.rodata,"a",@progbits
	.p2align	6, 0x0
	.amdhsa_kernel _ZN7rocprim17ROCPRIM_400000_NS6detail17trampoline_kernelINS0_14default_configENS1_25partition_config_selectorILNS1_17partition_subalgoE8ElNS0_10empty_typeEbEEZZNS1_14partition_implILS5_8ELb0ES3_jPKlPS6_PKS6_NS0_5tupleIJPlS6_EEENSE_IJSB_SB_EEENS0_18inequality_wrapperIN6hipcub16HIPCUB_304000_NS8EqualityEEESF_JS6_EEE10hipError_tPvRmT3_T4_T5_T6_T7_T9_mT8_P12ihipStream_tbDpT10_ENKUlT_T0_E_clISt17integral_constantIbLb0EES16_EEDaS11_S12_EUlS11_E_NS1_11comp_targetILNS1_3genE0ELNS1_11target_archE4294967295ELNS1_3gpuE0ELNS1_3repE0EEENS1_30default_config_static_selectorELNS0_4arch9wavefront6targetE1EEEvT1_
		.amdhsa_group_segment_fixed_size 28680
		.amdhsa_private_segment_fixed_size 0
		.amdhsa_kernarg_size 112
		.amdhsa_user_sgpr_count 2
		.amdhsa_user_sgpr_dispatch_ptr 0
		.amdhsa_user_sgpr_queue_ptr 0
		.amdhsa_user_sgpr_kernarg_segment_ptr 1
		.amdhsa_user_sgpr_dispatch_id 0
		.amdhsa_user_sgpr_kernarg_preload_length 0
		.amdhsa_user_sgpr_kernarg_preload_offset 0
		.amdhsa_user_sgpr_private_segment_size 0
		.amdhsa_uses_dynamic_stack 0
		.amdhsa_enable_private_segment 0
		.amdhsa_system_sgpr_workgroup_id_x 1
		.amdhsa_system_sgpr_workgroup_id_y 0
		.amdhsa_system_sgpr_workgroup_id_z 0
		.amdhsa_system_sgpr_workgroup_info 0
		.amdhsa_system_vgpr_workitem_id 0
		.amdhsa_next_free_vgpr 59
		.amdhsa_next_free_sgpr 40
		.amdhsa_accum_offset 60
		.amdhsa_reserve_vcc 1
		.amdhsa_float_round_mode_32 0
		.amdhsa_float_round_mode_16_64 0
		.amdhsa_float_denorm_mode_32 3
		.amdhsa_float_denorm_mode_16_64 3
		.amdhsa_dx10_clamp 1
		.amdhsa_ieee_mode 1
		.amdhsa_fp16_overflow 0
		.amdhsa_tg_split 0
		.amdhsa_exception_fp_ieee_invalid_op 0
		.amdhsa_exception_fp_denorm_src 0
		.amdhsa_exception_fp_ieee_div_zero 0
		.amdhsa_exception_fp_ieee_overflow 0
		.amdhsa_exception_fp_ieee_underflow 0
		.amdhsa_exception_fp_ieee_inexact 0
		.amdhsa_exception_int_div_zero 0
	.end_amdhsa_kernel
	.section	.text._ZN7rocprim17ROCPRIM_400000_NS6detail17trampoline_kernelINS0_14default_configENS1_25partition_config_selectorILNS1_17partition_subalgoE8ElNS0_10empty_typeEbEEZZNS1_14partition_implILS5_8ELb0ES3_jPKlPS6_PKS6_NS0_5tupleIJPlS6_EEENSE_IJSB_SB_EEENS0_18inequality_wrapperIN6hipcub16HIPCUB_304000_NS8EqualityEEESF_JS6_EEE10hipError_tPvRmT3_T4_T5_T6_T7_T9_mT8_P12ihipStream_tbDpT10_ENKUlT_T0_E_clISt17integral_constantIbLb0EES16_EEDaS11_S12_EUlS11_E_NS1_11comp_targetILNS1_3genE0ELNS1_11target_archE4294967295ELNS1_3gpuE0ELNS1_3repE0EEENS1_30default_config_static_selectorELNS0_4arch9wavefront6targetE1EEEvT1_,"axG",@progbits,_ZN7rocprim17ROCPRIM_400000_NS6detail17trampoline_kernelINS0_14default_configENS1_25partition_config_selectorILNS1_17partition_subalgoE8ElNS0_10empty_typeEbEEZZNS1_14partition_implILS5_8ELb0ES3_jPKlPS6_PKS6_NS0_5tupleIJPlS6_EEENSE_IJSB_SB_EEENS0_18inequality_wrapperIN6hipcub16HIPCUB_304000_NS8EqualityEEESF_JS6_EEE10hipError_tPvRmT3_T4_T5_T6_T7_T9_mT8_P12ihipStream_tbDpT10_ENKUlT_T0_E_clISt17integral_constantIbLb0EES16_EEDaS11_S12_EUlS11_E_NS1_11comp_targetILNS1_3genE0ELNS1_11target_archE4294967295ELNS1_3gpuE0ELNS1_3repE0EEENS1_30default_config_static_selectorELNS0_4arch9wavefront6targetE1EEEvT1_,comdat
.Lfunc_end226:
	.size	_ZN7rocprim17ROCPRIM_400000_NS6detail17trampoline_kernelINS0_14default_configENS1_25partition_config_selectorILNS1_17partition_subalgoE8ElNS0_10empty_typeEbEEZZNS1_14partition_implILS5_8ELb0ES3_jPKlPS6_PKS6_NS0_5tupleIJPlS6_EEENSE_IJSB_SB_EEENS0_18inequality_wrapperIN6hipcub16HIPCUB_304000_NS8EqualityEEESF_JS6_EEE10hipError_tPvRmT3_T4_T5_T6_T7_T9_mT8_P12ihipStream_tbDpT10_ENKUlT_T0_E_clISt17integral_constantIbLb0EES16_EEDaS11_S12_EUlS11_E_NS1_11comp_targetILNS1_3genE0ELNS1_11target_archE4294967295ELNS1_3gpuE0ELNS1_3repE0EEENS1_30default_config_static_selectorELNS0_4arch9wavefront6targetE1EEEvT1_, .Lfunc_end226-_ZN7rocprim17ROCPRIM_400000_NS6detail17trampoline_kernelINS0_14default_configENS1_25partition_config_selectorILNS1_17partition_subalgoE8ElNS0_10empty_typeEbEEZZNS1_14partition_implILS5_8ELb0ES3_jPKlPS6_PKS6_NS0_5tupleIJPlS6_EEENSE_IJSB_SB_EEENS0_18inequality_wrapperIN6hipcub16HIPCUB_304000_NS8EqualityEEESF_JS6_EEE10hipError_tPvRmT3_T4_T5_T6_T7_T9_mT8_P12ihipStream_tbDpT10_ENKUlT_T0_E_clISt17integral_constantIbLb0EES16_EEDaS11_S12_EUlS11_E_NS1_11comp_targetILNS1_3genE0ELNS1_11target_archE4294967295ELNS1_3gpuE0ELNS1_3repE0EEENS1_30default_config_static_selectorELNS0_4arch9wavefront6targetE1EEEvT1_
                                        ; -- End function
	.set _ZN7rocprim17ROCPRIM_400000_NS6detail17trampoline_kernelINS0_14default_configENS1_25partition_config_selectorILNS1_17partition_subalgoE8ElNS0_10empty_typeEbEEZZNS1_14partition_implILS5_8ELb0ES3_jPKlPS6_PKS6_NS0_5tupleIJPlS6_EEENSE_IJSB_SB_EEENS0_18inequality_wrapperIN6hipcub16HIPCUB_304000_NS8EqualityEEESF_JS6_EEE10hipError_tPvRmT3_T4_T5_T6_T7_T9_mT8_P12ihipStream_tbDpT10_ENKUlT_T0_E_clISt17integral_constantIbLb0EES16_EEDaS11_S12_EUlS11_E_NS1_11comp_targetILNS1_3genE0ELNS1_11target_archE4294967295ELNS1_3gpuE0ELNS1_3repE0EEENS1_30default_config_static_selectorELNS0_4arch9wavefront6targetE1EEEvT1_.num_vgpr, 59
	.set _ZN7rocprim17ROCPRIM_400000_NS6detail17trampoline_kernelINS0_14default_configENS1_25partition_config_selectorILNS1_17partition_subalgoE8ElNS0_10empty_typeEbEEZZNS1_14partition_implILS5_8ELb0ES3_jPKlPS6_PKS6_NS0_5tupleIJPlS6_EEENSE_IJSB_SB_EEENS0_18inequality_wrapperIN6hipcub16HIPCUB_304000_NS8EqualityEEESF_JS6_EEE10hipError_tPvRmT3_T4_T5_T6_T7_T9_mT8_P12ihipStream_tbDpT10_ENKUlT_T0_E_clISt17integral_constantIbLb0EES16_EEDaS11_S12_EUlS11_E_NS1_11comp_targetILNS1_3genE0ELNS1_11target_archE4294967295ELNS1_3gpuE0ELNS1_3repE0EEENS1_30default_config_static_selectorELNS0_4arch9wavefront6targetE1EEEvT1_.num_agpr, 0
	.set _ZN7rocprim17ROCPRIM_400000_NS6detail17trampoline_kernelINS0_14default_configENS1_25partition_config_selectorILNS1_17partition_subalgoE8ElNS0_10empty_typeEbEEZZNS1_14partition_implILS5_8ELb0ES3_jPKlPS6_PKS6_NS0_5tupleIJPlS6_EEENSE_IJSB_SB_EEENS0_18inequality_wrapperIN6hipcub16HIPCUB_304000_NS8EqualityEEESF_JS6_EEE10hipError_tPvRmT3_T4_T5_T6_T7_T9_mT8_P12ihipStream_tbDpT10_ENKUlT_T0_E_clISt17integral_constantIbLb0EES16_EEDaS11_S12_EUlS11_E_NS1_11comp_targetILNS1_3genE0ELNS1_11target_archE4294967295ELNS1_3gpuE0ELNS1_3repE0EEENS1_30default_config_static_selectorELNS0_4arch9wavefront6targetE1EEEvT1_.numbered_sgpr, 40
	.set _ZN7rocprim17ROCPRIM_400000_NS6detail17trampoline_kernelINS0_14default_configENS1_25partition_config_selectorILNS1_17partition_subalgoE8ElNS0_10empty_typeEbEEZZNS1_14partition_implILS5_8ELb0ES3_jPKlPS6_PKS6_NS0_5tupleIJPlS6_EEENSE_IJSB_SB_EEENS0_18inequality_wrapperIN6hipcub16HIPCUB_304000_NS8EqualityEEESF_JS6_EEE10hipError_tPvRmT3_T4_T5_T6_T7_T9_mT8_P12ihipStream_tbDpT10_ENKUlT_T0_E_clISt17integral_constantIbLb0EES16_EEDaS11_S12_EUlS11_E_NS1_11comp_targetILNS1_3genE0ELNS1_11target_archE4294967295ELNS1_3gpuE0ELNS1_3repE0EEENS1_30default_config_static_selectorELNS0_4arch9wavefront6targetE1EEEvT1_.num_named_barrier, 0
	.set _ZN7rocprim17ROCPRIM_400000_NS6detail17trampoline_kernelINS0_14default_configENS1_25partition_config_selectorILNS1_17partition_subalgoE8ElNS0_10empty_typeEbEEZZNS1_14partition_implILS5_8ELb0ES3_jPKlPS6_PKS6_NS0_5tupleIJPlS6_EEENSE_IJSB_SB_EEENS0_18inequality_wrapperIN6hipcub16HIPCUB_304000_NS8EqualityEEESF_JS6_EEE10hipError_tPvRmT3_T4_T5_T6_T7_T9_mT8_P12ihipStream_tbDpT10_ENKUlT_T0_E_clISt17integral_constantIbLb0EES16_EEDaS11_S12_EUlS11_E_NS1_11comp_targetILNS1_3genE0ELNS1_11target_archE4294967295ELNS1_3gpuE0ELNS1_3repE0EEENS1_30default_config_static_selectorELNS0_4arch9wavefront6targetE1EEEvT1_.private_seg_size, 0
	.set _ZN7rocprim17ROCPRIM_400000_NS6detail17trampoline_kernelINS0_14default_configENS1_25partition_config_selectorILNS1_17partition_subalgoE8ElNS0_10empty_typeEbEEZZNS1_14partition_implILS5_8ELb0ES3_jPKlPS6_PKS6_NS0_5tupleIJPlS6_EEENSE_IJSB_SB_EEENS0_18inequality_wrapperIN6hipcub16HIPCUB_304000_NS8EqualityEEESF_JS6_EEE10hipError_tPvRmT3_T4_T5_T6_T7_T9_mT8_P12ihipStream_tbDpT10_ENKUlT_T0_E_clISt17integral_constantIbLb0EES16_EEDaS11_S12_EUlS11_E_NS1_11comp_targetILNS1_3genE0ELNS1_11target_archE4294967295ELNS1_3gpuE0ELNS1_3repE0EEENS1_30default_config_static_selectorELNS0_4arch9wavefront6targetE1EEEvT1_.uses_vcc, 1
	.set _ZN7rocprim17ROCPRIM_400000_NS6detail17trampoline_kernelINS0_14default_configENS1_25partition_config_selectorILNS1_17partition_subalgoE8ElNS0_10empty_typeEbEEZZNS1_14partition_implILS5_8ELb0ES3_jPKlPS6_PKS6_NS0_5tupleIJPlS6_EEENSE_IJSB_SB_EEENS0_18inequality_wrapperIN6hipcub16HIPCUB_304000_NS8EqualityEEESF_JS6_EEE10hipError_tPvRmT3_T4_T5_T6_T7_T9_mT8_P12ihipStream_tbDpT10_ENKUlT_T0_E_clISt17integral_constantIbLb0EES16_EEDaS11_S12_EUlS11_E_NS1_11comp_targetILNS1_3genE0ELNS1_11target_archE4294967295ELNS1_3gpuE0ELNS1_3repE0EEENS1_30default_config_static_selectorELNS0_4arch9wavefront6targetE1EEEvT1_.uses_flat_scratch, 0
	.set _ZN7rocprim17ROCPRIM_400000_NS6detail17trampoline_kernelINS0_14default_configENS1_25partition_config_selectorILNS1_17partition_subalgoE8ElNS0_10empty_typeEbEEZZNS1_14partition_implILS5_8ELb0ES3_jPKlPS6_PKS6_NS0_5tupleIJPlS6_EEENSE_IJSB_SB_EEENS0_18inequality_wrapperIN6hipcub16HIPCUB_304000_NS8EqualityEEESF_JS6_EEE10hipError_tPvRmT3_T4_T5_T6_T7_T9_mT8_P12ihipStream_tbDpT10_ENKUlT_T0_E_clISt17integral_constantIbLb0EES16_EEDaS11_S12_EUlS11_E_NS1_11comp_targetILNS1_3genE0ELNS1_11target_archE4294967295ELNS1_3gpuE0ELNS1_3repE0EEENS1_30default_config_static_selectorELNS0_4arch9wavefront6targetE1EEEvT1_.has_dyn_sized_stack, 0
	.set _ZN7rocprim17ROCPRIM_400000_NS6detail17trampoline_kernelINS0_14default_configENS1_25partition_config_selectorILNS1_17partition_subalgoE8ElNS0_10empty_typeEbEEZZNS1_14partition_implILS5_8ELb0ES3_jPKlPS6_PKS6_NS0_5tupleIJPlS6_EEENSE_IJSB_SB_EEENS0_18inequality_wrapperIN6hipcub16HIPCUB_304000_NS8EqualityEEESF_JS6_EEE10hipError_tPvRmT3_T4_T5_T6_T7_T9_mT8_P12ihipStream_tbDpT10_ENKUlT_T0_E_clISt17integral_constantIbLb0EES16_EEDaS11_S12_EUlS11_E_NS1_11comp_targetILNS1_3genE0ELNS1_11target_archE4294967295ELNS1_3gpuE0ELNS1_3repE0EEENS1_30default_config_static_selectorELNS0_4arch9wavefront6targetE1EEEvT1_.has_recursion, 0
	.set _ZN7rocprim17ROCPRIM_400000_NS6detail17trampoline_kernelINS0_14default_configENS1_25partition_config_selectorILNS1_17partition_subalgoE8ElNS0_10empty_typeEbEEZZNS1_14partition_implILS5_8ELb0ES3_jPKlPS6_PKS6_NS0_5tupleIJPlS6_EEENSE_IJSB_SB_EEENS0_18inequality_wrapperIN6hipcub16HIPCUB_304000_NS8EqualityEEESF_JS6_EEE10hipError_tPvRmT3_T4_T5_T6_T7_T9_mT8_P12ihipStream_tbDpT10_ENKUlT_T0_E_clISt17integral_constantIbLb0EES16_EEDaS11_S12_EUlS11_E_NS1_11comp_targetILNS1_3genE0ELNS1_11target_archE4294967295ELNS1_3gpuE0ELNS1_3repE0EEENS1_30default_config_static_selectorELNS0_4arch9wavefront6targetE1EEEvT1_.has_indirect_call, 0
	.section	.AMDGPU.csdata,"",@progbits
; Kernel info:
; codeLenInByte = 5308
; TotalNumSgprs: 46
; NumVgprs: 59
; NumAgprs: 0
; TotalNumVgprs: 59
; ScratchSize: 0
; MemoryBound: 0
; FloatMode: 240
; IeeeMode: 1
; LDSByteSize: 28680 bytes/workgroup (compile time only)
; SGPRBlocks: 5
; VGPRBlocks: 7
; NumSGPRsForWavesPerEU: 46
; NumVGPRsForWavesPerEU: 59
; AccumOffset: 60
; Occupancy: 8
; WaveLimiterHint : 1
; COMPUTE_PGM_RSRC2:SCRATCH_EN: 0
; COMPUTE_PGM_RSRC2:USER_SGPR: 2
; COMPUTE_PGM_RSRC2:TRAP_HANDLER: 0
; COMPUTE_PGM_RSRC2:TGID_X_EN: 1
; COMPUTE_PGM_RSRC2:TGID_Y_EN: 0
; COMPUTE_PGM_RSRC2:TGID_Z_EN: 0
; COMPUTE_PGM_RSRC2:TIDIG_COMP_CNT: 0
; COMPUTE_PGM_RSRC3_GFX90A:ACCUM_OFFSET: 14
; COMPUTE_PGM_RSRC3_GFX90A:TG_SPLIT: 0
	.section	.text._ZN7rocprim17ROCPRIM_400000_NS6detail17trampoline_kernelINS0_14default_configENS1_25partition_config_selectorILNS1_17partition_subalgoE8ElNS0_10empty_typeEbEEZZNS1_14partition_implILS5_8ELb0ES3_jPKlPS6_PKS6_NS0_5tupleIJPlS6_EEENSE_IJSB_SB_EEENS0_18inequality_wrapperIN6hipcub16HIPCUB_304000_NS8EqualityEEESF_JS6_EEE10hipError_tPvRmT3_T4_T5_T6_T7_T9_mT8_P12ihipStream_tbDpT10_ENKUlT_T0_E_clISt17integral_constantIbLb0EES16_EEDaS11_S12_EUlS11_E_NS1_11comp_targetILNS1_3genE5ELNS1_11target_archE942ELNS1_3gpuE9ELNS1_3repE0EEENS1_30default_config_static_selectorELNS0_4arch9wavefront6targetE1EEEvT1_,"axG",@progbits,_ZN7rocprim17ROCPRIM_400000_NS6detail17trampoline_kernelINS0_14default_configENS1_25partition_config_selectorILNS1_17partition_subalgoE8ElNS0_10empty_typeEbEEZZNS1_14partition_implILS5_8ELb0ES3_jPKlPS6_PKS6_NS0_5tupleIJPlS6_EEENSE_IJSB_SB_EEENS0_18inequality_wrapperIN6hipcub16HIPCUB_304000_NS8EqualityEEESF_JS6_EEE10hipError_tPvRmT3_T4_T5_T6_T7_T9_mT8_P12ihipStream_tbDpT10_ENKUlT_T0_E_clISt17integral_constantIbLb0EES16_EEDaS11_S12_EUlS11_E_NS1_11comp_targetILNS1_3genE5ELNS1_11target_archE942ELNS1_3gpuE9ELNS1_3repE0EEENS1_30default_config_static_selectorELNS0_4arch9wavefront6targetE1EEEvT1_,comdat
	.protected	_ZN7rocprim17ROCPRIM_400000_NS6detail17trampoline_kernelINS0_14default_configENS1_25partition_config_selectorILNS1_17partition_subalgoE8ElNS0_10empty_typeEbEEZZNS1_14partition_implILS5_8ELb0ES3_jPKlPS6_PKS6_NS0_5tupleIJPlS6_EEENSE_IJSB_SB_EEENS0_18inequality_wrapperIN6hipcub16HIPCUB_304000_NS8EqualityEEESF_JS6_EEE10hipError_tPvRmT3_T4_T5_T6_T7_T9_mT8_P12ihipStream_tbDpT10_ENKUlT_T0_E_clISt17integral_constantIbLb0EES16_EEDaS11_S12_EUlS11_E_NS1_11comp_targetILNS1_3genE5ELNS1_11target_archE942ELNS1_3gpuE9ELNS1_3repE0EEENS1_30default_config_static_selectorELNS0_4arch9wavefront6targetE1EEEvT1_ ; -- Begin function _ZN7rocprim17ROCPRIM_400000_NS6detail17trampoline_kernelINS0_14default_configENS1_25partition_config_selectorILNS1_17partition_subalgoE8ElNS0_10empty_typeEbEEZZNS1_14partition_implILS5_8ELb0ES3_jPKlPS6_PKS6_NS0_5tupleIJPlS6_EEENSE_IJSB_SB_EEENS0_18inequality_wrapperIN6hipcub16HIPCUB_304000_NS8EqualityEEESF_JS6_EEE10hipError_tPvRmT3_T4_T5_T6_T7_T9_mT8_P12ihipStream_tbDpT10_ENKUlT_T0_E_clISt17integral_constantIbLb0EES16_EEDaS11_S12_EUlS11_E_NS1_11comp_targetILNS1_3genE5ELNS1_11target_archE942ELNS1_3gpuE9ELNS1_3repE0EEENS1_30default_config_static_selectorELNS0_4arch9wavefront6targetE1EEEvT1_
	.globl	_ZN7rocprim17ROCPRIM_400000_NS6detail17trampoline_kernelINS0_14default_configENS1_25partition_config_selectorILNS1_17partition_subalgoE8ElNS0_10empty_typeEbEEZZNS1_14partition_implILS5_8ELb0ES3_jPKlPS6_PKS6_NS0_5tupleIJPlS6_EEENSE_IJSB_SB_EEENS0_18inequality_wrapperIN6hipcub16HIPCUB_304000_NS8EqualityEEESF_JS6_EEE10hipError_tPvRmT3_T4_T5_T6_T7_T9_mT8_P12ihipStream_tbDpT10_ENKUlT_T0_E_clISt17integral_constantIbLb0EES16_EEDaS11_S12_EUlS11_E_NS1_11comp_targetILNS1_3genE5ELNS1_11target_archE942ELNS1_3gpuE9ELNS1_3repE0EEENS1_30default_config_static_selectorELNS0_4arch9wavefront6targetE1EEEvT1_
	.p2align	8
	.type	_ZN7rocprim17ROCPRIM_400000_NS6detail17trampoline_kernelINS0_14default_configENS1_25partition_config_selectorILNS1_17partition_subalgoE8ElNS0_10empty_typeEbEEZZNS1_14partition_implILS5_8ELb0ES3_jPKlPS6_PKS6_NS0_5tupleIJPlS6_EEENSE_IJSB_SB_EEENS0_18inequality_wrapperIN6hipcub16HIPCUB_304000_NS8EqualityEEESF_JS6_EEE10hipError_tPvRmT3_T4_T5_T6_T7_T9_mT8_P12ihipStream_tbDpT10_ENKUlT_T0_E_clISt17integral_constantIbLb0EES16_EEDaS11_S12_EUlS11_E_NS1_11comp_targetILNS1_3genE5ELNS1_11target_archE942ELNS1_3gpuE9ELNS1_3repE0EEENS1_30default_config_static_selectorELNS0_4arch9wavefront6targetE1EEEvT1_,@function
_ZN7rocprim17ROCPRIM_400000_NS6detail17trampoline_kernelINS0_14default_configENS1_25partition_config_selectorILNS1_17partition_subalgoE8ElNS0_10empty_typeEbEEZZNS1_14partition_implILS5_8ELb0ES3_jPKlPS6_PKS6_NS0_5tupleIJPlS6_EEENSE_IJSB_SB_EEENS0_18inequality_wrapperIN6hipcub16HIPCUB_304000_NS8EqualityEEESF_JS6_EEE10hipError_tPvRmT3_T4_T5_T6_T7_T9_mT8_P12ihipStream_tbDpT10_ENKUlT_T0_E_clISt17integral_constantIbLb0EES16_EEDaS11_S12_EUlS11_E_NS1_11comp_targetILNS1_3genE5ELNS1_11target_archE942ELNS1_3gpuE9ELNS1_3repE0EEENS1_30default_config_static_selectorELNS0_4arch9wavefront6targetE1EEEvT1_: ; @_ZN7rocprim17ROCPRIM_400000_NS6detail17trampoline_kernelINS0_14default_configENS1_25partition_config_selectorILNS1_17partition_subalgoE8ElNS0_10empty_typeEbEEZZNS1_14partition_implILS5_8ELb0ES3_jPKlPS6_PKS6_NS0_5tupleIJPlS6_EEENSE_IJSB_SB_EEENS0_18inequality_wrapperIN6hipcub16HIPCUB_304000_NS8EqualityEEESF_JS6_EEE10hipError_tPvRmT3_T4_T5_T6_T7_T9_mT8_P12ihipStream_tbDpT10_ENKUlT_T0_E_clISt17integral_constantIbLb0EES16_EEDaS11_S12_EUlS11_E_NS1_11comp_targetILNS1_3genE5ELNS1_11target_archE942ELNS1_3gpuE9ELNS1_3repE0EEENS1_30default_config_static_selectorELNS0_4arch9wavefront6targetE1EEEvT1_
; %bb.0:
	.section	.rodata,"a",@progbits
	.p2align	6, 0x0
	.amdhsa_kernel _ZN7rocprim17ROCPRIM_400000_NS6detail17trampoline_kernelINS0_14default_configENS1_25partition_config_selectorILNS1_17partition_subalgoE8ElNS0_10empty_typeEbEEZZNS1_14partition_implILS5_8ELb0ES3_jPKlPS6_PKS6_NS0_5tupleIJPlS6_EEENSE_IJSB_SB_EEENS0_18inequality_wrapperIN6hipcub16HIPCUB_304000_NS8EqualityEEESF_JS6_EEE10hipError_tPvRmT3_T4_T5_T6_T7_T9_mT8_P12ihipStream_tbDpT10_ENKUlT_T0_E_clISt17integral_constantIbLb0EES16_EEDaS11_S12_EUlS11_E_NS1_11comp_targetILNS1_3genE5ELNS1_11target_archE942ELNS1_3gpuE9ELNS1_3repE0EEENS1_30default_config_static_selectorELNS0_4arch9wavefront6targetE1EEEvT1_
		.amdhsa_group_segment_fixed_size 0
		.amdhsa_private_segment_fixed_size 0
		.amdhsa_kernarg_size 112
		.amdhsa_user_sgpr_count 2
		.amdhsa_user_sgpr_dispatch_ptr 0
		.amdhsa_user_sgpr_queue_ptr 0
		.amdhsa_user_sgpr_kernarg_segment_ptr 1
		.amdhsa_user_sgpr_dispatch_id 0
		.amdhsa_user_sgpr_kernarg_preload_length 0
		.amdhsa_user_sgpr_kernarg_preload_offset 0
		.amdhsa_user_sgpr_private_segment_size 0
		.amdhsa_uses_dynamic_stack 0
		.amdhsa_enable_private_segment 0
		.amdhsa_system_sgpr_workgroup_id_x 1
		.amdhsa_system_sgpr_workgroup_id_y 0
		.amdhsa_system_sgpr_workgroup_id_z 0
		.amdhsa_system_sgpr_workgroup_info 0
		.amdhsa_system_vgpr_workitem_id 0
		.amdhsa_next_free_vgpr 1
		.amdhsa_next_free_sgpr 0
		.amdhsa_accum_offset 4
		.amdhsa_reserve_vcc 0
		.amdhsa_float_round_mode_32 0
		.amdhsa_float_round_mode_16_64 0
		.amdhsa_float_denorm_mode_32 3
		.amdhsa_float_denorm_mode_16_64 3
		.amdhsa_dx10_clamp 1
		.amdhsa_ieee_mode 1
		.amdhsa_fp16_overflow 0
		.amdhsa_tg_split 0
		.amdhsa_exception_fp_ieee_invalid_op 0
		.amdhsa_exception_fp_denorm_src 0
		.amdhsa_exception_fp_ieee_div_zero 0
		.amdhsa_exception_fp_ieee_overflow 0
		.amdhsa_exception_fp_ieee_underflow 0
		.amdhsa_exception_fp_ieee_inexact 0
		.amdhsa_exception_int_div_zero 0
	.end_amdhsa_kernel
	.section	.text._ZN7rocprim17ROCPRIM_400000_NS6detail17trampoline_kernelINS0_14default_configENS1_25partition_config_selectorILNS1_17partition_subalgoE8ElNS0_10empty_typeEbEEZZNS1_14partition_implILS5_8ELb0ES3_jPKlPS6_PKS6_NS0_5tupleIJPlS6_EEENSE_IJSB_SB_EEENS0_18inequality_wrapperIN6hipcub16HIPCUB_304000_NS8EqualityEEESF_JS6_EEE10hipError_tPvRmT3_T4_T5_T6_T7_T9_mT8_P12ihipStream_tbDpT10_ENKUlT_T0_E_clISt17integral_constantIbLb0EES16_EEDaS11_S12_EUlS11_E_NS1_11comp_targetILNS1_3genE5ELNS1_11target_archE942ELNS1_3gpuE9ELNS1_3repE0EEENS1_30default_config_static_selectorELNS0_4arch9wavefront6targetE1EEEvT1_,"axG",@progbits,_ZN7rocprim17ROCPRIM_400000_NS6detail17trampoline_kernelINS0_14default_configENS1_25partition_config_selectorILNS1_17partition_subalgoE8ElNS0_10empty_typeEbEEZZNS1_14partition_implILS5_8ELb0ES3_jPKlPS6_PKS6_NS0_5tupleIJPlS6_EEENSE_IJSB_SB_EEENS0_18inequality_wrapperIN6hipcub16HIPCUB_304000_NS8EqualityEEESF_JS6_EEE10hipError_tPvRmT3_T4_T5_T6_T7_T9_mT8_P12ihipStream_tbDpT10_ENKUlT_T0_E_clISt17integral_constantIbLb0EES16_EEDaS11_S12_EUlS11_E_NS1_11comp_targetILNS1_3genE5ELNS1_11target_archE942ELNS1_3gpuE9ELNS1_3repE0EEENS1_30default_config_static_selectorELNS0_4arch9wavefront6targetE1EEEvT1_,comdat
.Lfunc_end227:
	.size	_ZN7rocprim17ROCPRIM_400000_NS6detail17trampoline_kernelINS0_14default_configENS1_25partition_config_selectorILNS1_17partition_subalgoE8ElNS0_10empty_typeEbEEZZNS1_14partition_implILS5_8ELb0ES3_jPKlPS6_PKS6_NS0_5tupleIJPlS6_EEENSE_IJSB_SB_EEENS0_18inequality_wrapperIN6hipcub16HIPCUB_304000_NS8EqualityEEESF_JS6_EEE10hipError_tPvRmT3_T4_T5_T6_T7_T9_mT8_P12ihipStream_tbDpT10_ENKUlT_T0_E_clISt17integral_constantIbLb0EES16_EEDaS11_S12_EUlS11_E_NS1_11comp_targetILNS1_3genE5ELNS1_11target_archE942ELNS1_3gpuE9ELNS1_3repE0EEENS1_30default_config_static_selectorELNS0_4arch9wavefront6targetE1EEEvT1_, .Lfunc_end227-_ZN7rocprim17ROCPRIM_400000_NS6detail17trampoline_kernelINS0_14default_configENS1_25partition_config_selectorILNS1_17partition_subalgoE8ElNS0_10empty_typeEbEEZZNS1_14partition_implILS5_8ELb0ES3_jPKlPS6_PKS6_NS0_5tupleIJPlS6_EEENSE_IJSB_SB_EEENS0_18inequality_wrapperIN6hipcub16HIPCUB_304000_NS8EqualityEEESF_JS6_EEE10hipError_tPvRmT3_T4_T5_T6_T7_T9_mT8_P12ihipStream_tbDpT10_ENKUlT_T0_E_clISt17integral_constantIbLb0EES16_EEDaS11_S12_EUlS11_E_NS1_11comp_targetILNS1_3genE5ELNS1_11target_archE942ELNS1_3gpuE9ELNS1_3repE0EEENS1_30default_config_static_selectorELNS0_4arch9wavefront6targetE1EEEvT1_
                                        ; -- End function
	.set _ZN7rocprim17ROCPRIM_400000_NS6detail17trampoline_kernelINS0_14default_configENS1_25partition_config_selectorILNS1_17partition_subalgoE8ElNS0_10empty_typeEbEEZZNS1_14partition_implILS5_8ELb0ES3_jPKlPS6_PKS6_NS0_5tupleIJPlS6_EEENSE_IJSB_SB_EEENS0_18inequality_wrapperIN6hipcub16HIPCUB_304000_NS8EqualityEEESF_JS6_EEE10hipError_tPvRmT3_T4_T5_T6_T7_T9_mT8_P12ihipStream_tbDpT10_ENKUlT_T0_E_clISt17integral_constantIbLb0EES16_EEDaS11_S12_EUlS11_E_NS1_11comp_targetILNS1_3genE5ELNS1_11target_archE942ELNS1_3gpuE9ELNS1_3repE0EEENS1_30default_config_static_selectorELNS0_4arch9wavefront6targetE1EEEvT1_.num_vgpr, 0
	.set _ZN7rocprim17ROCPRIM_400000_NS6detail17trampoline_kernelINS0_14default_configENS1_25partition_config_selectorILNS1_17partition_subalgoE8ElNS0_10empty_typeEbEEZZNS1_14partition_implILS5_8ELb0ES3_jPKlPS6_PKS6_NS0_5tupleIJPlS6_EEENSE_IJSB_SB_EEENS0_18inequality_wrapperIN6hipcub16HIPCUB_304000_NS8EqualityEEESF_JS6_EEE10hipError_tPvRmT3_T4_T5_T6_T7_T9_mT8_P12ihipStream_tbDpT10_ENKUlT_T0_E_clISt17integral_constantIbLb0EES16_EEDaS11_S12_EUlS11_E_NS1_11comp_targetILNS1_3genE5ELNS1_11target_archE942ELNS1_3gpuE9ELNS1_3repE0EEENS1_30default_config_static_selectorELNS0_4arch9wavefront6targetE1EEEvT1_.num_agpr, 0
	.set _ZN7rocprim17ROCPRIM_400000_NS6detail17trampoline_kernelINS0_14default_configENS1_25partition_config_selectorILNS1_17partition_subalgoE8ElNS0_10empty_typeEbEEZZNS1_14partition_implILS5_8ELb0ES3_jPKlPS6_PKS6_NS0_5tupleIJPlS6_EEENSE_IJSB_SB_EEENS0_18inequality_wrapperIN6hipcub16HIPCUB_304000_NS8EqualityEEESF_JS6_EEE10hipError_tPvRmT3_T4_T5_T6_T7_T9_mT8_P12ihipStream_tbDpT10_ENKUlT_T0_E_clISt17integral_constantIbLb0EES16_EEDaS11_S12_EUlS11_E_NS1_11comp_targetILNS1_3genE5ELNS1_11target_archE942ELNS1_3gpuE9ELNS1_3repE0EEENS1_30default_config_static_selectorELNS0_4arch9wavefront6targetE1EEEvT1_.numbered_sgpr, 0
	.set _ZN7rocprim17ROCPRIM_400000_NS6detail17trampoline_kernelINS0_14default_configENS1_25partition_config_selectorILNS1_17partition_subalgoE8ElNS0_10empty_typeEbEEZZNS1_14partition_implILS5_8ELb0ES3_jPKlPS6_PKS6_NS0_5tupleIJPlS6_EEENSE_IJSB_SB_EEENS0_18inequality_wrapperIN6hipcub16HIPCUB_304000_NS8EqualityEEESF_JS6_EEE10hipError_tPvRmT3_T4_T5_T6_T7_T9_mT8_P12ihipStream_tbDpT10_ENKUlT_T0_E_clISt17integral_constantIbLb0EES16_EEDaS11_S12_EUlS11_E_NS1_11comp_targetILNS1_3genE5ELNS1_11target_archE942ELNS1_3gpuE9ELNS1_3repE0EEENS1_30default_config_static_selectorELNS0_4arch9wavefront6targetE1EEEvT1_.num_named_barrier, 0
	.set _ZN7rocprim17ROCPRIM_400000_NS6detail17trampoline_kernelINS0_14default_configENS1_25partition_config_selectorILNS1_17partition_subalgoE8ElNS0_10empty_typeEbEEZZNS1_14partition_implILS5_8ELb0ES3_jPKlPS6_PKS6_NS0_5tupleIJPlS6_EEENSE_IJSB_SB_EEENS0_18inequality_wrapperIN6hipcub16HIPCUB_304000_NS8EqualityEEESF_JS6_EEE10hipError_tPvRmT3_T4_T5_T6_T7_T9_mT8_P12ihipStream_tbDpT10_ENKUlT_T0_E_clISt17integral_constantIbLb0EES16_EEDaS11_S12_EUlS11_E_NS1_11comp_targetILNS1_3genE5ELNS1_11target_archE942ELNS1_3gpuE9ELNS1_3repE0EEENS1_30default_config_static_selectorELNS0_4arch9wavefront6targetE1EEEvT1_.private_seg_size, 0
	.set _ZN7rocprim17ROCPRIM_400000_NS6detail17trampoline_kernelINS0_14default_configENS1_25partition_config_selectorILNS1_17partition_subalgoE8ElNS0_10empty_typeEbEEZZNS1_14partition_implILS5_8ELb0ES3_jPKlPS6_PKS6_NS0_5tupleIJPlS6_EEENSE_IJSB_SB_EEENS0_18inequality_wrapperIN6hipcub16HIPCUB_304000_NS8EqualityEEESF_JS6_EEE10hipError_tPvRmT3_T4_T5_T6_T7_T9_mT8_P12ihipStream_tbDpT10_ENKUlT_T0_E_clISt17integral_constantIbLb0EES16_EEDaS11_S12_EUlS11_E_NS1_11comp_targetILNS1_3genE5ELNS1_11target_archE942ELNS1_3gpuE9ELNS1_3repE0EEENS1_30default_config_static_selectorELNS0_4arch9wavefront6targetE1EEEvT1_.uses_vcc, 0
	.set _ZN7rocprim17ROCPRIM_400000_NS6detail17trampoline_kernelINS0_14default_configENS1_25partition_config_selectorILNS1_17partition_subalgoE8ElNS0_10empty_typeEbEEZZNS1_14partition_implILS5_8ELb0ES3_jPKlPS6_PKS6_NS0_5tupleIJPlS6_EEENSE_IJSB_SB_EEENS0_18inequality_wrapperIN6hipcub16HIPCUB_304000_NS8EqualityEEESF_JS6_EEE10hipError_tPvRmT3_T4_T5_T6_T7_T9_mT8_P12ihipStream_tbDpT10_ENKUlT_T0_E_clISt17integral_constantIbLb0EES16_EEDaS11_S12_EUlS11_E_NS1_11comp_targetILNS1_3genE5ELNS1_11target_archE942ELNS1_3gpuE9ELNS1_3repE0EEENS1_30default_config_static_selectorELNS0_4arch9wavefront6targetE1EEEvT1_.uses_flat_scratch, 0
	.set _ZN7rocprim17ROCPRIM_400000_NS6detail17trampoline_kernelINS0_14default_configENS1_25partition_config_selectorILNS1_17partition_subalgoE8ElNS0_10empty_typeEbEEZZNS1_14partition_implILS5_8ELb0ES3_jPKlPS6_PKS6_NS0_5tupleIJPlS6_EEENSE_IJSB_SB_EEENS0_18inequality_wrapperIN6hipcub16HIPCUB_304000_NS8EqualityEEESF_JS6_EEE10hipError_tPvRmT3_T4_T5_T6_T7_T9_mT8_P12ihipStream_tbDpT10_ENKUlT_T0_E_clISt17integral_constantIbLb0EES16_EEDaS11_S12_EUlS11_E_NS1_11comp_targetILNS1_3genE5ELNS1_11target_archE942ELNS1_3gpuE9ELNS1_3repE0EEENS1_30default_config_static_selectorELNS0_4arch9wavefront6targetE1EEEvT1_.has_dyn_sized_stack, 0
	.set _ZN7rocprim17ROCPRIM_400000_NS6detail17trampoline_kernelINS0_14default_configENS1_25partition_config_selectorILNS1_17partition_subalgoE8ElNS0_10empty_typeEbEEZZNS1_14partition_implILS5_8ELb0ES3_jPKlPS6_PKS6_NS0_5tupleIJPlS6_EEENSE_IJSB_SB_EEENS0_18inequality_wrapperIN6hipcub16HIPCUB_304000_NS8EqualityEEESF_JS6_EEE10hipError_tPvRmT3_T4_T5_T6_T7_T9_mT8_P12ihipStream_tbDpT10_ENKUlT_T0_E_clISt17integral_constantIbLb0EES16_EEDaS11_S12_EUlS11_E_NS1_11comp_targetILNS1_3genE5ELNS1_11target_archE942ELNS1_3gpuE9ELNS1_3repE0EEENS1_30default_config_static_selectorELNS0_4arch9wavefront6targetE1EEEvT1_.has_recursion, 0
	.set _ZN7rocprim17ROCPRIM_400000_NS6detail17trampoline_kernelINS0_14default_configENS1_25partition_config_selectorILNS1_17partition_subalgoE8ElNS0_10empty_typeEbEEZZNS1_14partition_implILS5_8ELb0ES3_jPKlPS6_PKS6_NS0_5tupleIJPlS6_EEENSE_IJSB_SB_EEENS0_18inequality_wrapperIN6hipcub16HIPCUB_304000_NS8EqualityEEESF_JS6_EEE10hipError_tPvRmT3_T4_T5_T6_T7_T9_mT8_P12ihipStream_tbDpT10_ENKUlT_T0_E_clISt17integral_constantIbLb0EES16_EEDaS11_S12_EUlS11_E_NS1_11comp_targetILNS1_3genE5ELNS1_11target_archE942ELNS1_3gpuE9ELNS1_3repE0EEENS1_30default_config_static_selectorELNS0_4arch9wavefront6targetE1EEEvT1_.has_indirect_call, 0
	.section	.AMDGPU.csdata,"",@progbits
; Kernel info:
; codeLenInByte = 0
; TotalNumSgprs: 6
; NumVgprs: 0
; NumAgprs: 0
; TotalNumVgprs: 0
; ScratchSize: 0
; MemoryBound: 0
; FloatMode: 240
; IeeeMode: 1
; LDSByteSize: 0 bytes/workgroup (compile time only)
; SGPRBlocks: 0
; VGPRBlocks: 0
; NumSGPRsForWavesPerEU: 6
; NumVGPRsForWavesPerEU: 1
; AccumOffset: 4
; Occupancy: 8
; WaveLimiterHint : 0
; COMPUTE_PGM_RSRC2:SCRATCH_EN: 0
; COMPUTE_PGM_RSRC2:USER_SGPR: 2
; COMPUTE_PGM_RSRC2:TRAP_HANDLER: 0
; COMPUTE_PGM_RSRC2:TGID_X_EN: 1
; COMPUTE_PGM_RSRC2:TGID_Y_EN: 0
; COMPUTE_PGM_RSRC2:TGID_Z_EN: 0
; COMPUTE_PGM_RSRC2:TIDIG_COMP_CNT: 0
; COMPUTE_PGM_RSRC3_GFX90A:ACCUM_OFFSET: 0
; COMPUTE_PGM_RSRC3_GFX90A:TG_SPLIT: 0
	.section	.text._ZN7rocprim17ROCPRIM_400000_NS6detail17trampoline_kernelINS0_14default_configENS1_25partition_config_selectorILNS1_17partition_subalgoE8ElNS0_10empty_typeEbEEZZNS1_14partition_implILS5_8ELb0ES3_jPKlPS6_PKS6_NS0_5tupleIJPlS6_EEENSE_IJSB_SB_EEENS0_18inequality_wrapperIN6hipcub16HIPCUB_304000_NS8EqualityEEESF_JS6_EEE10hipError_tPvRmT3_T4_T5_T6_T7_T9_mT8_P12ihipStream_tbDpT10_ENKUlT_T0_E_clISt17integral_constantIbLb0EES16_EEDaS11_S12_EUlS11_E_NS1_11comp_targetILNS1_3genE4ELNS1_11target_archE910ELNS1_3gpuE8ELNS1_3repE0EEENS1_30default_config_static_selectorELNS0_4arch9wavefront6targetE1EEEvT1_,"axG",@progbits,_ZN7rocprim17ROCPRIM_400000_NS6detail17trampoline_kernelINS0_14default_configENS1_25partition_config_selectorILNS1_17partition_subalgoE8ElNS0_10empty_typeEbEEZZNS1_14partition_implILS5_8ELb0ES3_jPKlPS6_PKS6_NS0_5tupleIJPlS6_EEENSE_IJSB_SB_EEENS0_18inequality_wrapperIN6hipcub16HIPCUB_304000_NS8EqualityEEESF_JS6_EEE10hipError_tPvRmT3_T4_T5_T6_T7_T9_mT8_P12ihipStream_tbDpT10_ENKUlT_T0_E_clISt17integral_constantIbLb0EES16_EEDaS11_S12_EUlS11_E_NS1_11comp_targetILNS1_3genE4ELNS1_11target_archE910ELNS1_3gpuE8ELNS1_3repE0EEENS1_30default_config_static_selectorELNS0_4arch9wavefront6targetE1EEEvT1_,comdat
	.protected	_ZN7rocprim17ROCPRIM_400000_NS6detail17trampoline_kernelINS0_14default_configENS1_25partition_config_selectorILNS1_17partition_subalgoE8ElNS0_10empty_typeEbEEZZNS1_14partition_implILS5_8ELb0ES3_jPKlPS6_PKS6_NS0_5tupleIJPlS6_EEENSE_IJSB_SB_EEENS0_18inequality_wrapperIN6hipcub16HIPCUB_304000_NS8EqualityEEESF_JS6_EEE10hipError_tPvRmT3_T4_T5_T6_T7_T9_mT8_P12ihipStream_tbDpT10_ENKUlT_T0_E_clISt17integral_constantIbLb0EES16_EEDaS11_S12_EUlS11_E_NS1_11comp_targetILNS1_3genE4ELNS1_11target_archE910ELNS1_3gpuE8ELNS1_3repE0EEENS1_30default_config_static_selectorELNS0_4arch9wavefront6targetE1EEEvT1_ ; -- Begin function _ZN7rocprim17ROCPRIM_400000_NS6detail17trampoline_kernelINS0_14default_configENS1_25partition_config_selectorILNS1_17partition_subalgoE8ElNS0_10empty_typeEbEEZZNS1_14partition_implILS5_8ELb0ES3_jPKlPS6_PKS6_NS0_5tupleIJPlS6_EEENSE_IJSB_SB_EEENS0_18inequality_wrapperIN6hipcub16HIPCUB_304000_NS8EqualityEEESF_JS6_EEE10hipError_tPvRmT3_T4_T5_T6_T7_T9_mT8_P12ihipStream_tbDpT10_ENKUlT_T0_E_clISt17integral_constantIbLb0EES16_EEDaS11_S12_EUlS11_E_NS1_11comp_targetILNS1_3genE4ELNS1_11target_archE910ELNS1_3gpuE8ELNS1_3repE0EEENS1_30default_config_static_selectorELNS0_4arch9wavefront6targetE1EEEvT1_
	.globl	_ZN7rocprim17ROCPRIM_400000_NS6detail17trampoline_kernelINS0_14default_configENS1_25partition_config_selectorILNS1_17partition_subalgoE8ElNS0_10empty_typeEbEEZZNS1_14partition_implILS5_8ELb0ES3_jPKlPS6_PKS6_NS0_5tupleIJPlS6_EEENSE_IJSB_SB_EEENS0_18inequality_wrapperIN6hipcub16HIPCUB_304000_NS8EqualityEEESF_JS6_EEE10hipError_tPvRmT3_T4_T5_T6_T7_T9_mT8_P12ihipStream_tbDpT10_ENKUlT_T0_E_clISt17integral_constantIbLb0EES16_EEDaS11_S12_EUlS11_E_NS1_11comp_targetILNS1_3genE4ELNS1_11target_archE910ELNS1_3gpuE8ELNS1_3repE0EEENS1_30default_config_static_selectorELNS0_4arch9wavefront6targetE1EEEvT1_
	.p2align	8
	.type	_ZN7rocprim17ROCPRIM_400000_NS6detail17trampoline_kernelINS0_14default_configENS1_25partition_config_selectorILNS1_17partition_subalgoE8ElNS0_10empty_typeEbEEZZNS1_14partition_implILS5_8ELb0ES3_jPKlPS6_PKS6_NS0_5tupleIJPlS6_EEENSE_IJSB_SB_EEENS0_18inequality_wrapperIN6hipcub16HIPCUB_304000_NS8EqualityEEESF_JS6_EEE10hipError_tPvRmT3_T4_T5_T6_T7_T9_mT8_P12ihipStream_tbDpT10_ENKUlT_T0_E_clISt17integral_constantIbLb0EES16_EEDaS11_S12_EUlS11_E_NS1_11comp_targetILNS1_3genE4ELNS1_11target_archE910ELNS1_3gpuE8ELNS1_3repE0EEENS1_30default_config_static_selectorELNS0_4arch9wavefront6targetE1EEEvT1_,@function
_ZN7rocprim17ROCPRIM_400000_NS6detail17trampoline_kernelINS0_14default_configENS1_25partition_config_selectorILNS1_17partition_subalgoE8ElNS0_10empty_typeEbEEZZNS1_14partition_implILS5_8ELb0ES3_jPKlPS6_PKS6_NS0_5tupleIJPlS6_EEENSE_IJSB_SB_EEENS0_18inequality_wrapperIN6hipcub16HIPCUB_304000_NS8EqualityEEESF_JS6_EEE10hipError_tPvRmT3_T4_T5_T6_T7_T9_mT8_P12ihipStream_tbDpT10_ENKUlT_T0_E_clISt17integral_constantIbLb0EES16_EEDaS11_S12_EUlS11_E_NS1_11comp_targetILNS1_3genE4ELNS1_11target_archE910ELNS1_3gpuE8ELNS1_3repE0EEENS1_30default_config_static_selectorELNS0_4arch9wavefront6targetE1EEEvT1_: ; @_ZN7rocprim17ROCPRIM_400000_NS6detail17trampoline_kernelINS0_14default_configENS1_25partition_config_selectorILNS1_17partition_subalgoE8ElNS0_10empty_typeEbEEZZNS1_14partition_implILS5_8ELb0ES3_jPKlPS6_PKS6_NS0_5tupleIJPlS6_EEENSE_IJSB_SB_EEENS0_18inequality_wrapperIN6hipcub16HIPCUB_304000_NS8EqualityEEESF_JS6_EEE10hipError_tPvRmT3_T4_T5_T6_T7_T9_mT8_P12ihipStream_tbDpT10_ENKUlT_T0_E_clISt17integral_constantIbLb0EES16_EEDaS11_S12_EUlS11_E_NS1_11comp_targetILNS1_3genE4ELNS1_11target_archE910ELNS1_3gpuE8ELNS1_3repE0EEENS1_30default_config_static_selectorELNS0_4arch9wavefront6targetE1EEEvT1_
; %bb.0:
	.section	.rodata,"a",@progbits
	.p2align	6, 0x0
	.amdhsa_kernel _ZN7rocprim17ROCPRIM_400000_NS6detail17trampoline_kernelINS0_14default_configENS1_25partition_config_selectorILNS1_17partition_subalgoE8ElNS0_10empty_typeEbEEZZNS1_14partition_implILS5_8ELb0ES3_jPKlPS6_PKS6_NS0_5tupleIJPlS6_EEENSE_IJSB_SB_EEENS0_18inequality_wrapperIN6hipcub16HIPCUB_304000_NS8EqualityEEESF_JS6_EEE10hipError_tPvRmT3_T4_T5_T6_T7_T9_mT8_P12ihipStream_tbDpT10_ENKUlT_T0_E_clISt17integral_constantIbLb0EES16_EEDaS11_S12_EUlS11_E_NS1_11comp_targetILNS1_3genE4ELNS1_11target_archE910ELNS1_3gpuE8ELNS1_3repE0EEENS1_30default_config_static_selectorELNS0_4arch9wavefront6targetE1EEEvT1_
		.amdhsa_group_segment_fixed_size 0
		.amdhsa_private_segment_fixed_size 0
		.amdhsa_kernarg_size 112
		.amdhsa_user_sgpr_count 2
		.amdhsa_user_sgpr_dispatch_ptr 0
		.amdhsa_user_sgpr_queue_ptr 0
		.amdhsa_user_sgpr_kernarg_segment_ptr 1
		.amdhsa_user_sgpr_dispatch_id 0
		.amdhsa_user_sgpr_kernarg_preload_length 0
		.amdhsa_user_sgpr_kernarg_preload_offset 0
		.amdhsa_user_sgpr_private_segment_size 0
		.amdhsa_uses_dynamic_stack 0
		.amdhsa_enable_private_segment 0
		.amdhsa_system_sgpr_workgroup_id_x 1
		.amdhsa_system_sgpr_workgroup_id_y 0
		.amdhsa_system_sgpr_workgroup_id_z 0
		.amdhsa_system_sgpr_workgroup_info 0
		.amdhsa_system_vgpr_workitem_id 0
		.amdhsa_next_free_vgpr 1
		.amdhsa_next_free_sgpr 0
		.amdhsa_accum_offset 4
		.amdhsa_reserve_vcc 0
		.amdhsa_float_round_mode_32 0
		.amdhsa_float_round_mode_16_64 0
		.amdhsa_float_denorm_mode_32 3
		.amdhsa_float_denorm_mode_16_64 3
		.amdhsa_dx10_clamp 1
		.amdhsa_ieee_mode 1
		.amdhsa_fp16_overflow 0
		.amdhsa_tg_split 0
		.amdhsa_exception_fp_ieee_invalid_op 0
		.amdhsa_exception_fp_denorm_src 0
		.amdhsa_exception_fp_ieee_div_zero 0
		.amdhsa_exception_fp_ieee_overflow 0
		.amdhsa_exception_fp_ieee_underflow 0
		.amdhsa_exception_fp_ieee_inexact 0
		.amdhsa_exception_int_div_zero 0
	.end_amdhsa_kernel
	.section	.text._ZN7rocprim17ROCPRIM_400000_NS6detail17trampoline_kernelINS0_14default_configENS1_25partition_config_selectorILNS1_17partition_subalgoE8ElNS0_10empty_typeEbEEZZNS1_14partition_implILS5_8ELb0ES3_jPKlPS6_PKS6_NS0_5tupleIJPlS6_EEENSE_IJSB_SB_EEENS0_18inequality_wrapperIN6hipcub16HIPCUB_304000_NS8EqualityEEESF_JS6_EEE10hipError_tPvRmT3_T4_T5_T6_T7_T9_mT8_P12ihipStream_tbDpT10_ENKUlT_T0_E_clISt17integral_constantIbLb0EES16_EEDaS11_S12_EUlS11_E_NS1_11comp_targetILNS1_3genE4ELNS1_11target_archE910ELNS1_3gpuE8ELNS1_3repE0EEENS1_30default_config_static_selectorELNS0_4arch9wavefront6targetE1EEEvT1_,"axG",@progbits,_ZN7rocprim17ROCPRIM_400000_NS6detail17trampoline_kernelINS0_14default_configENS1_25partition_config_selectorILNS1_17partition_subalgoE8ElNS0_10empty_typeEbEEZZNS1_14partition_implILS5_8ELb0ES3_jPKlPS6_PKS6_NS0_5tupleIJPlS6_EEENSE_IJSB_SB_EEENS0_18inequality_wrapperIN6hipcub16HIPCUB_304000_NS8EqualityEEESF_JS6_EEE10hipError_tPvRmT3_T4_T5_T6_T7_T9_mT8_P12ihipStream_tbDpT10_ENKUlT_T0_E_clISt17integral_constantIbLb0EES16_EEDaS11_S12_EUlS11_E_NS1_11comp_targetILNS1_3genE4ELNS1_11target_archE910ELNS1_3gpuE8ELNS1_3repE0EEENS1_30default_config_static_selectorELNS0_4arch9wavefront6targetE1EEEvT1_,comdat
.Lfunc_end228:
	.size	_ZN7rocprim17ROCPRIM_400000_NS6detail17trampoline_kernelINS0_14default_configENS1_25partition_config_selectorILNS1_17partition_subalgoE8ElNS0_10empty_typeEbEEZZNS1_14partition_implILS5_8ELb0ES3_jPKlPS6_PKS6_NS0_5tupleIJPlS6_EEENSE_IJSB_SB_EEENS0_18inequality_wrapperIN6hipcub16HIPCUB_304000_NS8EqualityEEESF_JS6_EEE10hipError_tPvRmT3_T4_T5_T6_T7_T9_mT8_P12ihipStream_tbDpT10_ENKUlT_T0_E_clISt17integral_constantIbLb0EES16_EEDaS11_S12_EUlS11_E_NS1_11comp_targetILNS1_3genE4ELNS1_11target_archE910ELNS1_3gpuE8ELNS1_3repE0EEENS1_30default_config_static_selectorELNS0_4arch9wavefront6targetE1EEEvT1_, .Lfunc_end228-_ZN7rocprim17ROCPRIM_400000_NS6detail17trampoline_kernelINS0_14default_configENS1_25partition_config_selectorILNS1_17partition_subalgoE8ElNS0_10empty_typeEbEEZZNS1_14partition_implILS5_8ELb0ES3_jPKlPS6_PKS6_NS0_5tupleIJPlS6_EEENSE_IJSB_SB_EEENS0_18inequality_wrapperIN6hipcub16HIPCUB_304000_NS8EqualityEEESF_JS6_EEE10hipError_tPvRmT3_T4_T5_T6_T7_T9_mT8_P12ihipStream_tbDpT10_ENKUlT_T0_E_clISt17integral_constantIbLb0EES16_EEDaS11_S12_EUlS11_E_NS1_11comp_targetILNS1_3genE4ELNS1_11target_archE910ELNS1_3gpuE8ELNS1_3repE0EEENS1_30default_config_static_selectorELNS0_4arch9wavefront6targetE1EEEvT1_
                                        ; -- End function
	.set _ZN7rocprim17ROCPRIM_400000_NS6detail17trampoline_kernelINS0_14default_configENS1_25partition_config_selectorILNS1_17partition_subalgoE8ElNS0_10empty_typeEbEEZZNS1_14partition_implILS5_8ELb0ES3_jPKlPS6_PKS6_NS0_5tupleIJPlS6_EEENSE_IJSB_SB_EEENS0_18inequality_wrapperIN6hipcub16HIPCUB_304000_NS8EqualityEEESF_JS6_EEE10hipError_tPvRmT3_T4_T5_T6_T7_T9_mT8_P12ihipStream_tbDpT10_ENKUlT_T0_E_clISt17integral_constantIbLb0EES16_EEDaS11_S12_EUlS11_E_NS1_11comp_targetILNS1_3genE4ELNS1_11target_archE910ELNS1_3gpuE8ELNS1_3repE0EEENS1_30default_config_static_selectorELNS0_4arch9wavefront6targetE1EEEvT1_.num_vgpr, 0
	.set _ZN7rocprim17ROCPRIM_400000_NS6detail17trampoline_kernelINS0_14default_configENS1_25partition_config_selectorILNS1_17partition_subalgoE8ElNS0_10empty_typeEbEEZZNS1_14partition_implILS5_8ELb0ES3_jPKlPS6_PKS6_NS0_5tupleIJPlS6_EEENSE_IJSB_SB_EEENS0_18inequality_wrapperIN6hipcub16HIPCUB_304000_NS8EqualityEEESF_JS6_EEE10hipError_tPvRmT3_T4_T5_T6_T7_T9_mT8_P12ihipStream_tbDpT10_ENKUlT_T0_E_clISt17integral_constantIbLb0EES16_EEDaS11_S12_EUlS11_E_NS1_11comp_targetILNS1_3genE4ELNS1_11target_archE910ELNS1_3gpuE8ELNS1_3repE0EEENS1_30default_config_static_selectorELNS0_4arch9wavefront6targetE1EEEvT1_.num_agpr, 0
	.set _ZN7rocprim17ROCPRIM_400000_NS6detail17trampoline_kernelINS0_14default_configENS1_25partition_config_selectorILNS1_17partition_subalgoE8ElNS0_10empty_typeEbEEZZNS1_14partition_implILS5_8ELb0ES3_jPKlPS6_PKS6_NS0_5tupleIJPlS6_EEENSE_IJSB_SB_EEENS0_18inequality_wrapperIN6hipcub16HIPCUB_304000_NS8EqualityEEESF_JS6_EEE10hipError_tPvRmT3_T4_T5_T6_T7_T9_mT8_P12ihipStream_tbDpT10_ENKUlT_T0_E_clISt17integral_constantIbLb0EES16_EEDaS11_S12_EUlS11_E_NS1_11comp_targetILNS1_3genE4ELNS1_11target_archE910ELNS1_3gpuE8ELNS1_3repE0EEENS1_30default_config_static_selectorELNS0_4arch9wavefront6targetE1EEEvT1_.numbered_sgpr, 0
	.set _ZN7rocprim17ROCPRIM_400000_NS6detail17trampoline_kernelINS0_14default_configENS1_25partition_config_selectorILNS1_17partition_subalgoE8ElNS0_10empty_typeEbEEZZNS1_14partition_implILS5_8ELb0ES3_jPKlPS6_PKS6_NS0_5tupleIJPlS6_EEENSE_IJSB_SB_EEENS0_18inequality_wrapperIN6hipcub16HIPCUB_304000_NS8EqualityEEESF_JS6_EEE10hipError_tPvRmT3_T4_T5_T6_T7_T9_mT8_P12ihipStream_tbDpT10_ENKUlT_T0_E_clISt17integral_constantIbLb0EES16_EEDaS11_S12_EUlS11_E_NS1_11comp_targetILNS1_3genE4ELNS1_11target_archE910ELNS1_3gpuE8ELNS1_3repE0EEENS1_30default_config_static_selectorELNS0_4arch9wavefront6targetE1EEEvT1_.num_named_barrier, 0
	.set _ZN7rocprim17ROCPRIM_400000_NS6detail17trampoline_kernelINS0_14default_configENS1_25partition_config_selectorILNS1_17partition_subalgoE8ElNS0_10empty_typeEbEEZZNS1_14partition_implILS5_8ELb0ES3_jPKlPS6_PKS6_NS0_5tupleIJPlS6_EEENSE_IJSB_SB_EEENS0_18inequality_wrapperIN6hipcub16HIPCUB_304000_NS8EqualityEEESF_JS6_EEE10hipError_tPvRmT3_T4_T5_T6_T7_T9_mT8_P12ihipStream_tbDpT10_ENKUlT_T0_E_clISt17integral_constantIbLb0EES16_EEDaS11_S12_EUlS11_E_NS1_11comp_targetILNS1_3genE4ELNS1_11target_archE910ELNS1_3gpuE8ELNS1_3repE0EEENS1_30default_config_static_selectorELNS0_4arch9wavefront6targetE1EEEvT1_.private_seg_size, 0
	.set _ZN7rocprim17ROCPRIM_400000_NS6detail17trampoline_kernelINS0_14default_configENS1_25partition_config_selectorILNS1_17partition_subalgoE8ElNS0_10empty_typeEbEEZZNS1_14partition_implILS5_8ELb0ES3_jPKlPS6_PKS6_NS0_5tupleIJPlS6_EEENSE_IJSB_SB_EEENS0_18inequality_wrapperIN6hipcub16HIPCUB_304000_NS8EqualityEEESF_JS6_EEE10hipError_tPvRmT3_T4_T5_T6_T7_T9_mT8_P12ihipStream_tbDpT10_ENKUlT_T0_E_clISt17integral_constantIbLb0EES16_EEDaS11_S12_EUlS11_E_NS1_11comp_targetILNS1_3genE4ELNS1_11target_archE910ELNS1_3gpuE8ELNS1_3repE0EEENS1_30default_config_static_selectorELNS0_4arch9wavefront6targetE1EEEvT1_.uses_vcc, 0
	.set _ZN7rocprim17ROCPRIM_400000_NS6detail17trampoline_kernelINS0_14default_configENS1_25partition_config_selectorILNS1_17partition_subalgoE8ElNS0_10empty_typeEbEEZZNS1_14partition_implILS5_8ELb0ES3_jPKlPS6_PKS6_NS0_5tupleIJPlS6_EEENSE_IJSB_SB_EEENS0_18inequality_wrapperIN6hipcub16HIPCUB_304000_NS8EqualityEEESF_JS6_EEE10hipError_tPvRmT3_T4_T5_T6_T7_T9_mT8_P12ihipStream_tbDpT10_ENKUlT_T0_E_clISt17integral_constantIbLb0EES16_EEDaS11_S12_EUlS11_E_NS1_11comp_targetILNS1_3genE4ELNS1_11target_archE910ELNS1_3gpuE8ELNS1_3repE0EEENS1_30default_config_static_selectorELNS0_4arch9wavefront6targetE1EEEvT1_.uses_flat_scratch, 0
	.set _ZN7rocprim17ROCPRIM_400000_NS6detail17trampoline_kernelINS0_14default_configENS1_25partition_config_selectorILNS1_17partition_subalgoE8ElNS0_10empty_typeEbEEZZNS1_14partition_implILS5_8ELb0ES3_jPKlPS6_PKS6_NS0_5tupleIJPlS6_EEENSE_IJSB_SB_EEENS0_18inequality_wrapperIN6hipcub16HIPCUB_304000_NS8EqualityEEESF_JS6_EEE10hipError_tPvRmT3_T4_T5_T6_T7_T9_mT8_P12ihipStream_tbDpT10_ENKUlT_T0_E_clISt17integral_constantIbLb0EES16_EEDaS11_S12_EUlS11_E_NS1_11comp_targetILNS1_3genE4ELNS1_11target_archE910ELNS1_3gpuE8ELNS1_3repE0EEENS1_30default_config_static_selectorELNS0_4arch9wavefront6targetE1EEEvT1_.has_dyn_sized_stack, 0
	.set _ZN7rocprim17ROCPRIM_400000_NS6detail17trampoline_kernelINS0_14default_configENS1_25partition_config_selectorILNS1_17partition_subalgoE8ElNS0_10empty_typeEbEEZZNS1_14partition_implILS5_8ELb0ES3_jPKlPS6_PKS6_NS0_5tupleIJPlS6_EEENSE_IJSB_SB_EEENS0_18inequality_wrapperIN6hipcub16HIPCUB_304000_NS8EqualityEEESF_JS6_EEE10hipError_tPvRmT3_T4_T5_T6_T7_T9_mT8_P12ihipStream_tbDpT10_ENKUlT_T0_E_clISt17integral_constantIbLb0EES16_EEDaS11_S12_EUlS11_E_NS1_11comp_targetILNS1_3genE4ELNS1_11target_archE910ELNS1_3gpuE8ELNS1_3repE0EEENS1_30default_config_static_selectorELNS0_4arch9wavefront6targetE1EEEvT1_.has_recursion, 0
	.set _ZN7rocprim17ROCPRIM_400000_NS6detail17trampoline_kernelINS0_14default_configENS1_25partition_config_selectorILNS1_17partition_subalgoE8ElNS0_10empty_typeEbEEZZNS1_14partition_implILS5_8ELb0ES3_jPKlPS6_PKS6_NS0_5tupleIJPlS6_EEENSE_IJSB_SB_EEENS0_18inequality_wrapperIN6hipcub16HIPCUB_304000_NS8EqualityEEESF_JS6_EEE10hipError_tPvRmT3_T4_T5_T6_T7_T9_mT8_P12ihipStream_tbDpT10_ENKUlT_T0_E_clISt17integral_constantIbLb0EES16_EEDaS11_S12_EUlS11_E_NS1_11comp_targetILNS1_3genE4ELNS1_11target_archE910ELNS1_3gpuE8ELNS1_3repE0EEENS1_30default_config_static_selectorELNS0_4arch9wavefront6targetE1EEEvT1_.has_indirect_call, 0
	.section	.AMDGPU.csdata,"",@progbits
; Kernel info:
; codeLenInByte = 0
; TotalNumSgprs: 6
; NumVgprs: 0
; NumAgprs: 0
; TotalNumVgprs: 0
; ScratchSize: 0
; MemoryBound: 0
; FloatMode: 240
; IeeeMode: 1
; LDSByteSize: 0 bytes/workgroup (compile time only)
; SGPRBlocks: 0
; VGPRBlocks: 0
; NumSGPRsForWavesPerEU: 6
; NumVGPRsForWavesPerEU: 1
; AccumOffset: 4
; Occupancy: 8
; WaveLimiterHint : 0
; COMPUTE_PGM_RSRC2:SCRATCH_EN: 0
; COMPUTE_PGM_RSRC2:USER_SGPR: 2
; COMPUTE_PGM_RSRC2:TRAP_HANDLER: 0
; COMPUTE_PGM_RSRC2:TGID_X_EN: 1
; COMPUTE_PGM_RSRC2:TGID_Y_EN: 0
; COMPUTE_PGM_RSRC2:TGID_Z_EN: 0
; COMPUTE_PGM_RSRC2:TIDIG_COMP_CNT: 0
; COMPUTE_PGM_RSRC3_GFX90A:ACCUM_OFFSET: 0
; COMPUTE_PGM_RSRC3_GFX90A:TG_SPLIT: 0
	.section	.text._ZN7rocprim17ROCPRIM_400000_NS6detail17trampoline_kernelINS0_14default_configENS1_25partition_config_selectorILNS1_17partition_subalgoE8ElNS0_10empty_typeEbEEZZNS1_14partition_implILS5_8ELb0ES3_jPKlPS6_PKS6_NS0_5tupleIJPlS6_EEENSE_IJSB_SB_EEENS0_18inequality_wrapperIN6hipcub16HIPCUB_304000_NS8EqualityEEESF_JS6_EEE10hipError_tPvRmT3_T4_T5_T6_T7_T9_mT8_P12ihipStream_tbDpT10_ENKUlT_T0_E_clISt17integral_constantIbLb0EES16_EEDaS11_S12_EUlS11_E_NS1_11comp_targetILNS1_3genE3ELNS1_11target_archE908ELNS1_3gpuE7ELNS1_3repE0EEENS1_30default_config_static_selectorELNS0_4arch9wavefront6targetE1EEEvT1_,"axG",@progbits,_ZN7rocprim17ROCPRIM_400000_NS6detail17trampoline_kernelINS0_14default_configENS1_25partition_config_selectorILNS1_17partition_subalgoE8ElNS0_10empty_typeEbEEZZNS1_14partition_implILS5_8ELb0ES3_jPKlPS6_PKS6_NS0_5tupleIJPlS6_EEENSE_IJSB_SB_EEENS0_18inequality_wrapperIN6hipcub16HIPCUB_304000_NS8EqualityEEESF_JS6_EEE10hipError_tPvRmT3_T4_T5_T6_T7_T9_mT8_P12ihipStream_tbDpT10_ENKUlT_T0_E_clISt17integral_constantIbLb0EES16_EEDaS11_S12_EUlS11_E_NS1_11comp_targetILNS1_3genE3ELNS1_11target_archE908ELNS1_3gpuE7ELNS1_3repE0EEENS1_30default_config_static_selectorELNS0_4arch9wavefront6targetE1EEEvT1_,comdat
	.protected	_ZN7rocprim17ROCPRIM_400000_NS6detail17trampoline_kernelINS0_14default_configENS1_25partition_config_selectorILNS1_17partition_subalgoE8ElNS0_10empty_typeEbEEZZNS1_14partition_implILS5_8ELb0ES3_jPKlPS6_PKS6_NS0_5tupleIJPlS6_EEENSE_IJSB_SB_EEENS0_18inequality_wrapperIN6hipcub16HIPCUB_304000_NS8EqualityEEESF_JS6_EEE10hipError_tPvRmT3_T4_T5_T6_T7_T9_mT8_P12ihipStream_tbDpT10_ENKUlT_T0_E_clISt17integral_constantIbLb0EES16_EEDaS11_S12_EUlS11_E_NS1_11comp_targetILNS1_3genE3ELNS1_11target_archE908ELNS1_3gpuE7ELNS1_3repE0EEENS1_30default_config_static_selectorELNS0_4arch9wavefront6targetE1EEEvT1_ ; -- Begin function _ZN7rocprim17ROCPRIM_400000_NS6detail17trampoline_kernelINS0_14default_configENS1_25partition_config_selectorILNS1_17partition_subalgoE8ElNS0_10empty_typeEbEEZZNS1_14partition_implILS5_8ELb0ES3_jPKlPS6_PKS6_NS0_5tupleIJPlS6_EEENSE_IJSB_SB_EEENS0_18inequality_wrapperIN6hipcub16HIPCUB_304000_NS8EqualityEEESF_JS6_EEE10hipError_tPvRmT3_T4_T5_T6_T7_T9_mT8_P12ihipStream_tbDpT10_ENKUlT_T0_E_clISt17integral_constantIbLb0EES16_EEDaS11_S12_EUlS11_E_NS1_11comp_targetILNS1_3genE3ELNS1_11target_archE908ELNS1_3gpuE7ELNS1_3repE0EEENS1_30default_config_static_selectorELNS0_4arch9wavefront6targetE1EEEvT1_
	.globl	_ZN7rocprim17ROCPRIM_400000_NS6detail17trampoline_kernelINS0_14default_configENS1_25partition_config_selectorILNS1_17partition_subalgoE8ElNS0_10empty_typeEbEEZZNS1_14partition_implILS5_8ELb0ES3_jPKlPS6_PKS6_NS0_5tupleIJPlS6_EEENSE_IJSB_SB_EEENS0_18inequality_wrapperIN6hipcub16HIPCUB_304000_NS8EqualityEEESF_JS6_EEE10hipError_tPvRmT3_T4_T5_T6_T7_T9_mT8_P12ihipStream_tbDpT10_ENKUlT_T0_E_clISt17integral_constantIbLb0EES16_EEDaS11_S12_EUlS11_E_NS1_11comp_targetILNS1_3genE3ELNS1_11target_archE908ELNS1_3gpuE7ELNS1_3repE0EEENS1_30default_config_static_selectorELNS0_4arch9wavefront6targetE1EEEvT1_
	.p2align	8
	.type	_ZN7rocprim17ROCPRIM_400000_NS6detail17trampoline_kernelINS0_14default_configENS1_25partition_config_selectorILNS1_17partition_subalgoE8ElNS0_10empty_typeEbEEZZNS1_14partition_implILS5_8ELb0ES3_jPKlPS6_PKS6_NS0_5tupleIJPlS6_EEENSE_IJSB_SB_EEENS0_18inequality_wrapperIN6hipcub16HIPCUB_304000_NS8EqualityEEESF_JS6_EEE10hipError_tPvRmT3_T4_T5_T6_T7_T9_mT8_P12ihipStream_tbDpT10_ENKUlT_T0_E_clISt17integral_constantIbLb0EES16_EEDaS11_S12_EUlS11_E_NS1_11comp_targetILNS1_3genE3ELNS1_11target_archE908ELNS1_3gpuE7ELNS1_3repE0EEENS1_30default_config_static_selectorELNS0_4arch9wavefront6targetE1EEEvT1_,@function
_ZN7rocprim17ROCPRIM_400000_NS6detail17trampoline_kernelINS0_14default_configENS1_25partition_config_selectorILNS1_17partition_subalgoE8ElNS0_10empty_typeEbEEZZNS1_14partition_implILS5_8ELb0ES3_jPKlPS6_PKS6_NS0_5tupleIJPlS6_EEENSE_IJSB_SB_EEENS0_18inequality_wrapperIN6hipcub16HIPCUB_304000_NS8EqualityEEESF_JS6_EEE10hipError_tPvRmT3_T4_T5_T6_T7_T9_mT8_P12ihipStream_tbDpT10_ENKUlT_T0_E_clISt17integral_constantIbLb0EES16_EEDaS11_S12_EUlS11_E_NS1_11comp_targetILNS1_3genE3ELNS1_11target_archE908ELNS1_3gpuE7ELNS1_3repE0EEENS1_30default_config_static_selectorELNS0_4arch9wavefront6targetE1EEEvT1_: ; @_ZN7rocprim17ROCPRIM_400000_NS6detail17trampoline_kernelINS0_14default_configENS1_25partition_config_selectorILNS1_17partition_subalgoE8ElNS0_10empty_typeEbEEZZNS1_14partition_implILS5_8ELb0ES3_jPKlPS6_PKS6_NS0_5tupleIJPlS6_EEENSE_IJSB_SB_EEENS0_18inequality_wrapperIN6hipcub16HIPCUB_304000_NS8EqualityEEESF_JS6_EEE10hipError_tPvRmT3_T4_T5_T6_T7_T9_mT8_P12ihipStream_tbDpT10_ENKUlT_T0_E_clISt17integral_constantIbLb0EES16_EEDaS11_S12_EUlS11_E_NS1_11comp_targetILNS1_3genE3ELNS1_11target_archE908ELNS1_3gpuE7ELNS1_3repE0EEENS1_30default_config_static_selectorELNS0_4arch9wavefront6targetE1EEEvT1_
; %bb.0:
	.section	.rodata,"a",@progbits
	.p2align	6, 0x0
	.amdhsa_kernel _ZN7rocprim17ROCPRIM_400000_NS6detail17trampoline_kernelINS0_14default_configENS1_25partition_config_selectorILNS1_17partition_subalgoE8ElNS0_10empty_typeEbEEZZNS1_14partition_implILS5_8ELb0ES3_jPKlPS6_PKS6_NS0_5tupleIJPlS6_EEENSE_IJSB_SB_EEENS0_18inequality_wrapperIN6hipcub16HIPCUB_304000_NS8EqualityEEESF_JS6_EEE10hipError_tPvRmT3_T4_T5_T6_T7_T9_mT8_P12ihipStream_tbDpT10_ENKUlT_T0_E_clISt17integral_constantIbLb0EES16_EEDaS11_S12_EUlS11_E_NS1_11comp_targetILNS1_3genE3ELNS1_11target_archE908ELNS1_3gpuE7ELNS1_3repE0EEENS1_30default_config_static_selectorELNS0_4arch9wavefront6targetE1EEEvT1_
		.amdhsa_group_segment_fixed_size 0
		.amdhsa_private_segment_fixed_size 0
		.amdhsa_kernarg_size 112
		.amdhsa_user_sgpr_count 2
		.amdhsa_user_sgpr_dispatch_ptr 0
		.amdhsa_user_sgpr_queue_ptr 0
		.amdhsa_user_sgpr_kernarg_segment_ptr 1
		.amdhsa_user_sgpr_dispatch_id 0
		.amdhsa_user_sgpr_kernarg_preload_length 0
		.amdhsa_user_sgpr_kernarg_preload_offset 0
		.amdhsa_user_sgpr_private_segment_size 0
		.amdhsa_uses_dynamic_stack 0
		.amdhsa_enable_private_segment 0
		.amdhsa_system_sgpr_workgroup_id_x 1
		.amdhsa_system_sgpr_workgroup_id_y 0
		.amdhsa_system_sgpr_workgroup_id_z 0
		.amdhsa_system_sgpr_workgroup_info 0
		.amdhsa_system_vgpr_workitem_id 0
		.amdhsa_next_free_vgpr 1
		.amdhsa_next_free_sgpr 0
		.amdhsa_accum_offset 4
		.amdhsa_reserve_vcc 0
		.amdhsa_float_round_mode_32 0
		.amdhsa_float_round_mode_16_64 0
		.amdhsa_float_denorm_mode_32 3
		.amdhsa_float_denorm_mode_16_64 3
		.amdhsa_dx10_clamp 1
		.amdhsa_ieee_mode 1
		.amdhsa_fp16_overflow 0
		.amdhsa_tg_split 0
		.amdhsa_exception_fp_ieee_invalid_op 0
		.amdhsa_exception_fp_denorm_src 0
		.amdhsa_exception_fp_ieee_div_zero 0
		.amdhsa_exception_fp_ieee_overflow 0
		.amdhsa_exception_fp_ieee_underflow 0
		.amdhsa_exception_fp_ieee_inexact 0
		.amdhsa_exception_int_div_zero 0
	.end_amdhsa_kernel
	.section	.text._ZN7rocprim17ROCPRIM_400000_NS6detail17trampoline_kernelINS0_14default_configENS1_25partition_config_selectorILNS1_17partition_subalgoE8ElNS0_10empty_typeEbEEZZNS1_14partition_implILS5_8ELb0ES3_jPKlPS6_PKS6_NS0_5tupleIJPlS6_EEENSE_IJSB_SB_EEENS0_18inequality_wrapperIN6hipcub16HIPCUB_304000_NS8EqualityEEESF_JS6_EEE10hipError_tPvRmT3_T4_T5_T6_T7_T9_mT8_P12ihipStream_tbDpT10_ENKUlT_T0_E_clISt17integral_constantIbLb0EES16_EEDaS11_S12_EUlS11_E_NS1_11comp_targetILNS1_3genE3ELNS1_11target_archE908ELNS1_3gpuE7ELNS1_3repE0EEENS1_30default_config_static_selectorELNS0_4arch9wavefront6targetE1EEEvT1_,"axG",@progbits,_ZN7rocprim17ROCPRIM_400000_NS6detail17trampoline_kernelINS0_14default_configENS1_25partition_config_selectorILNS1_17partition_subalgoE8ElNS0_10empty_typeEbEEZZNS1_14partition_implILS5_8ELb0ES3_jPKlPS6_PKS6_NS0_5tupleIJPlS6_EEENSE_IJSB_SB_EEENS0_18inequality_wrapperIN6hipcub16HIPCUB_304000_NS8EqualityEEESF_JS6_EEE10hipError_tPvRmT3_T4_T5_T6_T7_T9_mT8_P12ihipStream_tbDpT10_ENKUlT_T0_E_clISt17integral_constantIbLb0EES16_EEDaS11_S12_EUlS11_E_NS1_11comp_targetILNS1_3genE3ELNS1_11target_archE908ELNS1_3gpuE7ELNS1_3repE0EEENS1_30default_config_static_selectorELNS0_4arch9wavefront6targetE1EEEvT1_,comdat
.Lfunc_end229:
	.size	_ZN7rocprim17ROCPRIM_400000_NS6detail17trampoline_kernelINS0_14default_configENS1_25partition_config_selectorILNS1_17partition_subalgoE8ElNS0_10empty_typeEbEEZZNS1_14partition_implILS5_8ELb0ES3_jPKlPS6_PKS6_NS0_5tupleIJPlS6_EEENSE_IJSB_SB_EEENS0_18inequality_wrapperIN6hipcub16HIPCUB_304000_NS8EqualityEEESF_JS6_EEE10hipError_tPvRmT3_T4_T5_T6_T7_T9_mT8_P12ihipStream_tbDpT10_ENKUlT_T0_E_clISt17integral_constantIbLb0EES16_EEDaS11_S12_EUlS11_E_NS1_11comp_targetILNS1_3genE3ELNS1_11target_archE908ELNS1_3gpuE7ELNS1_3repE0EEENS1_30default_config_static_selectorELNS0_4arch9wavefront6targetE1EEEvT1_, .Lfunc_end229-_ZN7rocprim17ROCPRIM_400000_NS6detail17trampoline_kernelINS0_14default_configENS1_25partition_config_selectorILNS1_17partition_subalgoE8ElNS0_10empty_typeEbEEZZNS1_14partition_implILS5_8ELb0ES3_jPKlPS6_PKS6_NS0_5tupleIJPlS6_EEENSE_IJSB_SB_EEENS0_18inequality_wrapperIN6hipcub16HIPCUB_304000_NS8EqualityEEESF_JS6_EEE10hipError_tPvRmT3_T4_T5_T6_T7_T9_mT8_P12ihipStream_tbDpT10_ENKUlT_T0_E_clISt17integral_constantIbLb0EES16_EEDaS11_S12_EUlS11_E_NS1_11comp_targetILNS1_3genE3ELNS1_11target_archE908ELNS1_3gpuE7ELNS1_3repE0EEENS1_30default_config_static_selectorELNS0_4arch9wavefront6targetE1EEEvT1_
                                        ; -- End function
	.set _ZN7rocprim17ROCPRIM_400000_NS6detail17trampoline_kernelINS0_14default_configENS1_25partition_config_selectorILNS1_17partition_subalgoE8ElNS0_10empty_typeEbEEZZNS1_14partition_implILS5_8ELb0ES3_jPKlPS6_PKS6_NS0_5tupleIJPlS6_EEENSE_IJSB_SB_EEENS0_18inequality_wrapperIN6hipcub16HIPCUB_304000_NS8EqualityEEESF_JS6_EEE10hipError_tPvRmT3_T4_T5_T6_T7_T9_mT8_P12ihipStream_tbDpT10_ENKUlT_T0_E_clISt17integral_constantIbLb0EES16_EEDaS11_S12_EUlS11_E_NS1_11comp_targetILNS1_3genE3ELNS1_11target_archE908ELNS1_3gpuE7ELNS1_3repE0EEENS1_30default_config_static_selectorELNS0_4arch9wavefront6targetE1EEEvT1_.num_vgpr, 0
	.set _ZN7rocprim17ROCPRIM_400000_NS6detail17trampoline_kernelINS0_14default_configENS1_25partition_config_selectorILNS1_17partition_subalgoE8ElNS0_10empty_typeEbEEZZNS1_14partition_implILS5_8ELb0ES3_jPKlPS6_PKS6_NS0_5tupleIJPlS6_EEENSE_IJSB_SB_EEENS0_18inequality_wrapperIN6hipcub16HIPCUB_304000_NS8EqualityEEESF_JS6_EEE10hipError_tPvRmT3_T4_T5_T6_T7_T9_mT8_P12ihipStream_tbDpT10_ENKUlT_T0_E_clISt17integral_constantIbLb0EES16_EEDaS11_S12_EUlS11_E_NS1_11comp_targetILNS1_3genE3ELNS1_11target_archE908ELNS1_3gpuE7ELNS1_3repE0EEENS1_30default_config_static_selectorELNS0_4arch9wavefront6targetE1EEEvT1_.num_agpr, 0
	.set _ZN7rocprim17ROCPRIM_400000_NS6detail17trampoline_kernelINS0_14default_configENS1_25partition_config_selectorILNS1_17partition_subalgoE8ElNS0_10empty_typeEbEEZZNS1_14partition_implILS5_8ELb0ES3_jPKlPS6_PKS6_NS0_5tupleIJPlS6_EEENSE_IJSB_SB_EEENS0_18inequality_wrapperIN6hipcub16HIPCUB_304000_NS8EqualityEEESF_JS6_EEE10hipError_tPvRmT3_T4_T5_T6_T7_T9_mT8_P12ihipStream_tbDpT10_ENKUlT_T0_E_clISt17integral_constantIbLb0EES16_EEDaS11_S12_EUlS11_E_NS1_11comp_targetILNS1_3genE3ELNS1_11target_archE908ELNS1_3gpuE7ELNS1_3repE0EEENS1_30default_config_static_selectorELNS0_4arch9wavefront6targetE1EEEvT1_.numbered_sgpr, 0
	.set _ZN7rocprim17ROCPRIM_400000_NS6detail17trampoline_kernelINS0_14default_configENS1_25partition_config_selectorILNS1_17partition_subalgoE8ElNS0_10empty_typeEbEEZZNS1_14partition_implILS5_8ELb0ES3_jPKlPS6_PKS6_NS0_5tupleIJPlS6_EEENSE_IJSB_SB_EEENS0_18inequality_wrapperIN6hipcub16HIPCUB_304000_NS8EqualityEEESF_JS6_EEE10hipError_tPvRmT3_T4_T5_T6_T7_T9_mT8_P12ihipStream_tbDpT10_ENKUlT_T0_E_clISt17integral_constantIbLb0EES16_EEDaS11_S12_EUlS11_E_NS1_11comp_targetILNS1_3genE3ELNS1_11target_archE908ELNS1_3gpuE7ELNS1_3repE0EEENS1_30default_config_static_selectorELNS0_4arch9wavefront6targetE1EEEvT1_.num_named_barrier, 0
	.set _ZN7rocprim17ROCPRIM_400000_NS6detail17trampoline_kernelINS0_14default_configENS1_25partition_config_selectorILNS1_17partition_subalgoE8ElNS0_10empty_typeEbEEZZNS1_14partition_implILS5_8ELb0ES3_jPKlPS6_PKS6_NS0_5tupleIJPlS6_EEENSE_IJSB_SB_EEENS0_18inequality_wrapperIN6hipcub16HIPCUB_304000_NS8EqualityEEESF_JS6_EEE10hipError_tPvRmT3_T4_T5_T6_T7_T9_mT8_P12ihipStream_tbDpT10_ENKUlT_T0_E_clISt17integral_constantIbLb0EES16_EEDaS11_S12_EUlS11_E_NS1_11comp_targetILNS1_3genE3ELNS1_11target_archE908ELNS1_3gpuE7ELNS1_3repE0EEENS1_30default_config_static_selectorELNS0_4arch9wavefront6targetE1EEEvT1_.private_seg_size, 0
	.set _ZN7rocprim17ROCPRIM_400000_NS6detail17trampoline_kernelINS0_14default_configENS1_25partition_config_selectorILNS1_17partition_subalgoE8ElNS0_10empty_typeEbEEZZNS1_14partition_implILS5_8ELb0ES3_jPKlPS6_PKS6_NS0_5tupleIJPlS6_EEENSE_IJSB_SB_EEENS0_18inequality_wrapperIN6hipcub16HIPCUB_304000_NS8EqualityEEESF_JS6_EEE10hipError_tPvRmT3_T4_T5_T6_T7_T9_mT8_P12ihipStream_tbDpT10_ENKUlT_T0_E_clISt17integral_constantIbLb0EES16_EEDaS11_S12_EUlS11_E_NS1_11comp_targetILNS1_3genE3ELNS1_11target_archE908ELNS1_3gpuE7ELNS1_3repE0EEENS1_30default_config_static_selectorELNS0_4arch9wavefront6targetE1EEEvT1_.uses_vcc, 0
	.set _ZN7rocprim17ROCPRIM_400000_NS6detail17trampoline_kernelINS0_14default_configENS1_25partition_config_selectorILNS1_17partition_subalgoE8ElNS0_10empty_typeEbEEZZNS1_14partition_implILS5_8ELb0ES3_jPKlPS6_PKS6_NS0_5tupleIJPlS6_EEENSE_IJSB_SB_EEENS0_18inequality_wrapperIN6hipcub16HIPCUB_304000_NS8EqualityEEESF_JS6_EEE10hipError_tPvRmT3_T4_T5_T6_T7_T9_mT8_P12ihipStream_tbDpT10_ENKUlT_T0_E_clISt17integral_constantIbLb0EES16_EEDaS11_S12_EUlS11_E_NS1_11comp_targetILNS1_3genE3ELNS1_11target_archE908ELNS1_3gpuE7ELNS1_3repE0EEENS1_30default_config_static_selectorELNS0_4arch9wavefront6targetE1EEEvT1_.uses_flat_scratch, 0
	.set _ZN7rocprim17ROCPRIM_400000_NS6detail17trampoline_kernelINS0_14default_configENS1_25partition_config_selectorILNS1_17partition_subalgoE8ElNS0_10empty_typeEbEEZZNS1_14partition_implILS5_8ELb0ES3_jPKlPS6_PKS6_NS0_5tupleIJPlS6_EEENSE_IJSB_SB_EEENS0_18inequality_wrapperIN6hipcub16HIPCUB_304000_NS8EqualityEEESF_JS6_EEE10hipError_tPvRmT3_T4_T5_T6_T7_T9_mT8_P12ihipStream_tbDpT10_ENKUlT_T0_E_clISt17integral_constantIbLb0EES16_EEDaS11_S12_EUlS11_E_NS1_11comp_targetILNS1_3genE3ELNS1_11target_archE908ELNS1_3gpuE7ELNS1_3repE0EEENS1_30default_config_static_selectorELNS0_4arch9wavefront6targetE1EEEvT1_.has_dyn_sized_stack, 0
	.set _ZN7rocprim17ROCPRIM_400000_NS6detail17trampoline_kernelINS0_14default_configENS1_25partition_config_selectorILNS1_17partition_subalgoE8ElNS0_10empty_typeEbEEZZNS1_14partition_implILS5_8ELb0ES3_jPKlPS6_PKS6_NS0_5tupleIJPlS6_EEENSE_IJSB_SB_EEENS0_18inequality_wrapperIN6hipcub16HIPCUB_304000_NS8EqualityEEESF_JS6_EEE10hipError_tPvRmT3_T4_T5_T6_T7_T9_mT8_P12ihipStream_tbDpT10_ENKUlT_T0_E_clISt17integral_constantIbLb0EES16_EEDaS11_S12_EUlS11_E_NS1_11comp_targetILNS1_3genE3ELNS1_11target_archE908ELNS1_3gpuE7ELNS1_3repE0EEENS1_30default_config_static_selectorELNS0_4arch9wavefront6targetE1EEEvT1_.has_recursion, 0
	.set _ZN7rocprim17ROCPRIM_400000_NS6detail17trampoline_kernelINS0_14default_configENS1_25partition_config_selectorILNS1_17partition_subalgoE8ElNS0_10empty_typeEbEEZZNS1_14partition_implILS5_8ELb0ES3_jPKlPS6_PKS6_NS0_5tupleIJPlS6_EEENSE_IJSB_SB_EEENS0_18inequality_wrapperIN6hipcub16HIPCUB_304000_NS8EqualityEEESF_JS6_EEE10hipError_tPvRmT3_T4_T5_T6_T7_T9_mT8_P12ihipStream_tbDpT10_ENKUlT_T0_E_clISt17integral_constantIbLb0EES16_EEDaS11_S12_EUlS11_E_NS1_11comp_targetILNS1_3genE3ELNS1_11target_archE908ELNS1_3gpuE7ELNS1_3repE0EEENS1_30default_config_static_selectorELNS0_4arch9wavefront6targetE1EEEvT1_.has_indirect_call, 0
	.section	.AMDGPU.csdata,"",@progbits
; Kernel info:
; codeLenInByte = 0
; TotalNumSgprs: 6
; NumVgprs: 0
; NumAgprs: 0
; TotalNumVgprs: 0
; ScratchSize: 0
; MemoryBound: 0
; FloatMode: 240
; IeeeMode: 1
; LDSByteSize: 0 bytes/workgroup (compile time only)
; SGPRBlocks: 0
; VGPRBlocks: 0
; NumSGPRsForWavesPerEU: 6
; NumVGPRsForWavesPerEU: 1
; AccumOffset: 4
; Occupancy: 8
; WaveLimiterHint : 0
; COMPUTE_PGM_RSRC2:SCRATCH_EN: 0
; COMPUTE_PGM_RSRC2:USER_SGPR: 2
; COMPUTE_PGM_RSRC2:TRAP_HANDLER: 0
; COMPUTE_PGM_RSRC2:TGID_X_EN: 1
; COMPUTE_PGM_RSRC2:TGID_Y_EN: 0
; COMPUTE_PGM_RSRC2:TGID_Z_EN: 0
; COMPUTE_PGM_RSRC2:TIDIG_COMP_CNT: 0
; COMPUTE_PGM_RSRC3_GFX90A:ACCUM_OFFSET: 0
; COMPUTE_PGM_RSRC3_GFX90A:TG_SPLIT: 0
	.section	.text._ZN7rocprim17ROCPRIM_400000_NS6detail17trampoline_kernelINS0_14default_configENS1_25partition_config_selectorILNS1_17partition_subalgoE8ElNS0_10empty_typeEbEEZZNS1_14partition_implILS5_8ELb0ES3_jPKlPS6_PKS6_NS0_5tupleIJPlS6_EEENSE_IJSB_SB_EEENS0_18inequality_wrapperIN6hipcub16HIPCUB_304000_NS8EqualityEEESF_JS6_EEE10hipError_tPvRmT3_T4_T5_T6_T7_T9_mT8_P12ihipStream_tbDpT10_ENKUlT_T0_E_clISt17integral_constantIbLb0EES16_EEDaS11_S12_EUlS11_E_NS1_11comp_targetILNS1_3genE2ELNS1_11target_archE906ELNS1_3gpuE6ELNS1_3repE0EEENS1_30default_config_static_selectorELNS0_4arch9wavefront6targetE1EEEvT1_,"axG",@progbits,_ZN7rocprim17ROCPRIM_400000_NS6detail17trampoline_kernelINS0_14default_configENS1_25partition_config_selectorILNS1_17partition_subalgoE8ElNS0_10empty_typeEbEEZZNS1_14partition_implILS5_8ELb0ES3_jPKlPS6_PKS6_NS0_5tupleIJPlS6_EEENSE_IJSB_SB_EEENS0_18inequality_wrapperIN6hipcub16HIPCUB_304000_NS8EqualityEEESF_JS6_EEE10hipError_tPvRmT3_T4_T5_T6_T7_T9_mT8_P12ihipStream_tbDpT10_ENKUlT_T0_E_clISt17integral_constantIbLb0EES16_EEDaS11_S12_EUlS11_E_NS1_11comp_targetILNS1_3genE2ELNS1_11target_archE906ELNS1_3gpuE6ELNS1_3repE0EEENS1_30default_config_static_selectorELNS0_4arch9wavefront6targetE1EEEvT1_,comdat
	.protected	_ZN7rocprim17ROCPRIM_400000_NS6detail17trampoline_kernelINS0_14default_configENS1_25partition_config_selectorILNS1_17partition_subalgoE8ElNS0_10empty_typeEbEEZZNS1_14partition_implILS5_8ELb0ES3_jPKlPS6_PKS6_NS0_5tupleIJPlS6_EEENSE_IJSB_SB_EEENS0_18inequality_wrapperIN6hipcub16HIPCUB_304000_NS8EqualityEEESF_JS6_EEE10hipError_tPvRmT3_T4_T5_T6_T7_T9_mT8_P12ihipStream_tbDpT10_ENKUlT_T0_E_clISt17integral_constantIbLb0EES16_EEDaS11_S12_EUlS11_E_NS1_11comp_targetILNS1_3genE2ELNS1_11target_archE906ELNS1_3gpuE6ELNS1_3repE0EEENS1_30default_config_static_selectorELNS0_4arch9wavefront6targetE1EEEvT1_ ; -- Begin function _ZN7rocprim17ROCPRIM_400000_NS6detail17trampoline_kernelINS0_14default_configENS1_25partition_config_selectorILNS1_17partition_subalgoE8ElNS0_10empty_typeEbEEZZNS1_14partition_implILS5_8ELb0ES3_jPKlPS6_PKS6_NS0_5tupleIJPlS6_EEENSE_IJSB_SB_EEENS0_18inequality_wrapperIN6hipcub16HIPCUB_304000_NS8EqualityEEESF_JS6_EEE10hipError_tPvRmT3_T4_T5_T6_T7_T9_mT8_P12ihipStream_tbDpT10_ENKUlT_T0_E_clISt17integral_constantIbLb0EES16_EEDaS11_S12_EUlS11_E_NS1_11comp_targetILNS1_3genE2ELNS1_11target_archE906ELNS1_3gpuE6ELNS1_3repE0EEENS1_30default_config_static_selectorELNS0_4arch9wavefront6targetE1EEEvT1_
	.globl	_ZN7rocprim17ROCPRIM_400000_NS6detail17trampoline_kernelINS0_14default_configENS1_25partition_config_selectorILNS1_17partition_subalgoE8ElNS0_10empty_typeEbEEZZNS1_14partition_implILS5_8ELb0ES3_jPKlPS6_PKS6_NS0_5tupleIJPlS6_EEENSE_IJSB_SB_EEENS0_18inequality_wrapperIN6hipcub16HIPCUB_304000_NS8EqualityEEESF_JS6_EEE10hipError_tPvRmT3_T4_T5_T6_T7_T9_mT8_P12ihipStream_tbDpT10_ENKUlT_T0_E_clISt17integral_constantIbLb0EES16_EEDaS11_S12_EUlS11_E_NS1_11comp_targetILNS1_3genE2ELNS1_11target_archE906ELNS1_3gpuE6ELNS1_3repE0EEENS1_30default_config_static_selectorELNS0_4arch9wavefront6targetE1EEEvT1_
	.p2align	8
	.type	_ZN7rocprim17ROCPRIM_400000_NS6detail17trampoline_kernelINS0_14default_configENS1_25partition_config_selectorILNS1_17partition_subalgoE8ElNS0_10empty_typeEbEEZZNS1_14partition_implILS5_8ELb0ES3_jPKlPS6_PKS6_NS0_5tupleIJPlS6_EEENSE_IJSB_SB_EEENS0_18inequality_wrapperIN6hipcub16HIPCUB_304000_NS8EqualityEEESF_JS6_EEE10hipError_tPvRmT3_T4_T5_T6_T7_T9_mT8_P12ihipStream_tbDpT10_ENKUlT_T0_E_clISt17integral_constantIbLb0EES16_EEDaS11_S12_EUlS11_E_NS1_11comp_targetILNS1_3genE2ELNS1_11target_archE906ELNS1_3gpuE6ELNS1_3repE0EEENS1_30default_config_static_selectorELNS0_4arch9wavefront6targetE1EEEvT1_,@function
_ZN7rocprim17ROCPRIM_400000_NS6detail17trampoline_kernelINS0_14default_configENS1_25partition_config_selectorILNS1_17partition_subalgoE8ElNS0_10empty_typeEbEEZZNS1_14partition_implILS5_8ELb0ES3_jPKlPS6_PKS6_NS0_5tupleIJPlS6_EEENSE_IJSB_SB_EEENS0_18inequality_wrapperIN6hipcub16HIPCUB_304000_NS8EqualityEEESF_JS6_EEE10hipError_tPvRmT3_T4_T5_T6_T7_T9_mT8_P12ihipStream_tbDpT10_ENKUlT_T0_E_clISt17integral_constantIbLb0EES16_EEDaS11_S12_EUlS11_E_NS1_11comp_targetILNS1_3genE2ELNS1_11target_archE906ELNS1_3gpuE6ELNS1_3repE0EEENS1_30default_config_static_selectorELNS0_4arch9wavefront6targetE1EEEvT1_: ; @_ZN7rocprim17ROCPRIM_400000_NS6detail17trampoline_kernelINS0_14default_configENS1_25partition_config_selectorILNS1_17partition_subalgoE8ElNS0_10empty_typeEbEEZZNS1_14partition_implILS5_8ELb0ES3_jPKlPS6_PKS6_NS0_5tupleIJPlS6_EEENSE_IJSB_SB_EEENS0_18inequality_wrapperIN6hipcub16HIPCUB_304000_NS8EqualityEEESF_JS6_EEE10hipError_tPvRmT3_T4_T5_T6_T7_T9_mT8_P12ihipStream_tbDpT10_ENKUlT_T0_E_clISt17integral_constantIbLb0EES16_EEDaS11_S12_EUlS11_E_NS1_11comp_targetILNS1_3genE2ELNS1_11target_archE906ELNS1_3gpuE6ELNS1_3repE0EEENS1_30default_config_static_selectorELNS0_4arch9wavefront6targetE1EEEvT1_
; %bb.0:
	.section	.rodata,"a",@progbits
	.p2align	6, 0x0
	.amdhsa_kernel _ZN7rocprim17ROCPRIM_400000_NS6detail17trampoline_kernelINS0_14default_configENS1_25partition_config_selectorILNS1_17partition_subalgoE8ElNS0_10empty_typeEbEEZZNS1_14partition_implILS5_8ELb0ES3_jPKlPS6_PKS6_NS0_5tupleIJPlS6_EEENSE_IJSB_SB_EEENS0_18inequality_wrapperIN6hipcub16HIPCUB_304000_NS8EqualityEEESF_JS6_EEE10hipError_tPvRmT3_T4_T5_T6_T7_T9_mT8_P12ihipStream_tbDpT10_ENKUlT_T0_E_clISt17integral_constantIbLb0EES16_EEDaS11_S12_EUlS11_E_NS1_11comp_targetILNS1_3genE2ELNS1_11target_archE906ELNS1_3gpuE6ELNS1_3repE0EEENS1_30default_config_static_selectorELNS0_4arch9wavefront6targetE1EEEvT1_
		.amdhsa_group_segment_fixed_size 0
		.amdhsa_private_segment_fixed_size 0
		.amdhsa_kernarg_size 112
		.amdhsa_user_sgpr_count 2
		.amdhsa_user_sgpr_dispatch_ptr 0
		.amdhsa_user_sgpr_queue_ptr 0
		.amdhsa_user_sgpr_kernarg_segment_ptr 1
		.amdhsa_user_sgpr_dispatch_id 0
		.amdhsa_user_sgpr_kernarg_preload_length 0
		.amdhsa_user_sgpr_kernarg_preload_offset 0
		.amdhsa_user_sgpr_private_segment_size 0
		.amdhsa_uses_dynamic_stack 0
		.amdhsa_enable_private_segment 0
		.amdhsa_system_sgpr_workgroup_id_x 1
		.amdhsa_system_sgpr_workgroup_id_y 0
		.amdhsa_system_sgpr_workgroup_id_z 0
		.amdhsa_system_sgpr_workgroup_info 0
		.amdhsa_system_vgpr_workitem_id 0
		.amdhsa_next_free_vgpr 1
		.amdhsa_next_free_sgpr 0
		.amdhsa_accum_offset 4
		.amdhsa_reserve_vcc 0
		.amdhsa_float_round_mode_32 0
		.amdhsa_float_round_mode_16_64 0
		.amdhsa_float_denorm_mode_32 3
		.amdhsa_float_denorm_mode_16_64 3
		.amdhsa_dx10_clamp 1
		.amdhsa_ieee_mode 1
		.amdhsa_fp16_overflow 0
		.amdhsa_tg_split 0
		.amdhsa_exception_fp_ieee_invalid_op 0
		.amdhsa_exception_fp_denorm_src 0
		.amdhsa_exception_fp_ieee_div_zero 0
		.amdhsa_exception_fp_ieee_overflow 0
		.amdhsa_exception_fp_ieee_underflow 0
		.amdhsa_exception_fp_ieee_inexact 0
		.amdhsa_exception_int_div_zero 0
	.end_amdhsa_kernel
	.section	.text._ZN7rocprim17ROCPRIM_400000_NS6detail17trampoline_kernelINS0_14default_configENS1_25partition_config_selectorILNS1_17partition_subalgoE8ElNS0_10empty_typeEbEEZZNS1_14partition_implILS5_8ELb0ES3_jPKlPS6_PKS6_NS0_5tupleIJPlS6_EEENSE_IJSB_SB_EEENS0_18inequality_wrapperIN6hipcub16HIPCUB_304000_NS8EqualityEEESF_JS6_EEE10hipError_tPvRmT3_T4_T5_T6_T7_T9_mT8_P12ihipStream_tbDpT10_ENKUlT_T0_E_clISt17integral_constantIbLb0EES16_EEDaS11_S12_EUlS11_E_NS1_11comp_targetILNS1_3genE2ELNS1_11target_archE906ELNS1_3gpuE6ELNS1_3repE0EEENS1_30default_config_static_selectorELNS0_4arch9wavefront6targetE1EEEvT1_,"axG",@progbits,_ZN7rocprim17ROCPRIM_400000_NS6detail17trampoline_kernelINS0_14default_configENS1_25partition_config_selectorILNS1_17partition_subalgoE8ElNS0_10empty_typeEbEEZZNS1_14partition_implILS5_8ELb0ES3_jPKlPS6_PKS6_NS0_5tupleIJPlS6_EEENSE_IJSB_SB_EEENS0_18inequality_wrapperIN6hipcub16HIPCUB_304000_NS8EqualityEEESF_JS6_EEE10hipError_tPvRmT3_T4_T5_T6_T7_T9_mT8_P12ihipStream_tbDpT10_ENKUlT_T0_E_clISt17integral_constantIbLb0EES16_EEDaS11_S12_EUlS11_E_NS1_11comp_targetILNS1_3genE2ELNS1_11target_archE906ELNS1_3gpuE6ELNS1_3repE0EEENS1_30default_config_static_selectorELNS0_4arch9wavefront6targetE1EEEvT1_,comdat
.Lfunc_end230:
	.size	_ZN7rocprim17ROCPRIM_400000_NS6detail17trampoline_kernelINS0_14default_configENS1_25partition_config_selectorILNS1_17partition_subalgoE8ElNS0_10empty_typeEbEEZZNS1_14partition_implILS5_8ELb0ES3_jPKlPS6_PKS6_NS0_5tupleIJPlS6_EEENSE_IJSB_SB_EEENS0_18inequality_wrapperIN6hipcub16HIPCUB_304000_NS8EqualityEEESF_JS6_EEE10hipError_tPvRmT3_T4_T5_T6_T7_T9_mT8_P12ihipStream_tbDpT10_ENKUlT_T0_E_clISt17integral_constantIbLb0EES16_EEDaS11_S12_EUlS11_E_NS1_11comp_targetILNS1_3genE2ELNS1_11target_archE906ELNS1_3gpuE6ELNS1_3repE0EEENS1_30default_config_static_selectorELNS0_4arch9wavefront6targetE1EEEvT1_, .Lfunc_end230-_ZN7rocprim17ROCPRIM_400000_NS6detail17trampoline_kernelINS0_14default_configENS1_25partition_config_selectorILNS1_17partition_subalgoE8ElNS0_10empty_typeEbEEZZNS1_14partition_implILS5_8ELb0ES3_jPKlPS6_PKS6_NS0_5tupleIJPlS6_EEENSE_IJSB_SB_EEENS0_18inequality_wrapperIN6hipcub16HIPCUB_304000_NS8EqualityEEESF_JS6_EEE10hipError_tPvRmT3_T4_T5_T6_T7_T9_mT8_P12ihipStream_tbDpT10_ENKUlT_T0_E_clISt17integral_constantIbLb0EES16_EEDaS11_S12_EUlS11_E_NS1_11comp_targetILNS1_3genE2ELNS1_11target_archE906ELNS1_3gpuE6ELNS1_3repE0EEENS1_30default_config_static_selectorELNS0_4arch9wavefront6targetE1EEEvT1_
                                        ; -- End function
	.set _ZN7rocprim17ROCPRIM_400000_NS6detail17trampoline_kernelINS0_14default_configENS1_25partition_config_selectorILNS1_17partition_subalgoE8ElNS0_10empty_typeEbEEZZNS1_14partition_implILS5_8ELb0ES3_jPKlPS6_PKS6_NS0_5tupleIJPlS6_EEENSE_IJSB_SB_EEENS0_18inequality_wrapperIN6hipcub16HIPCUB_304000_NS8EqualityEEESF_JS6_EEE10hipError_tPvRmT3_T4_T5_T6_T7_T9_mT8_P12ihipStream_tbDpT10_ENKUlT_T0_E_clISt17integral_constantIbLb0EES16_EEDaS11_S12_EUlS11_E_NS1_11comp_targetILNS1_3genE2ELNS1_11target_archE906ELNS1_3gpuE6ELNS1_3repE0EEENS1_30default_config_static_selectorELNS0_4arch9wavefront6targetE1EEEvT1_.num_vgpr, 0
	.set _ZN7rocprim17ROCPRIM_400000_NS6detail17trampoline_kernelINS0_14default_configENS1_25partition_config_selectorILNS1_17partition_subalgoE8ElNS0_10empty_typeEbEEZZNS1_14partition_implILS5_8ELb0ES3_jPKlPS6_PKS6_NS0_5tupleIJPlS6_EEENSE_IJSB_SB_EEENS0_18inequality_wrapperIN6hipcub16HIPCUB_304000_NS8EqualityEEESF_JS6_EEE10hipError_tPvRmT3_T4_T5_T6_T7_T9_mT8_P12ihipStream_tbDpT10_ENKUlT_T0_E_clISt17integral_constantIbLb0EES16_EEDaS11_S12_EUlS11_E_NS1_11comp_targetILNS1_3genE2ELNS1_11target_archE906ELNS1_3gpuE6ELNS1_3repE0EEENS1_30default_config_static_selectorELNS0_4arch9wavefront6targetE1EEEvT1_.num_agpr, 0
	.set _ZN7rocprim17ROCPRIM_400000_NS6detail17trampoline_kernelINS0_14default_configENS1_25partition_config_selectorILNS1_17partition_subalgoE8ElNS0_10empty_typeEbEEZZNS1_14partition_implILS5_8ELb0ES3_jPKlPS6_PKS6_NS0_5tupleIJPlS6_EEENSE_IJSB_SB_EEENS0_18inequality_wrapperIN6hipcub16HIPCUB_304000_NS8EqualityEEESF_JS6_EEE10hipError_tPvRmT3_T4_T5_T6_T7_T9_mT8_P12ihipStream_tbDpT10_ENKUlT_T0_E_clISt17integral_constantIbLb0EES16_EEDaS11_S12_EUlS11_E_NS1_11comp_targetILNS1_3genE2ELNS1_11target_archE906ELNS1_3gpuE6ELNS1_3repE0EEENS1_30default_config_static_selectorELNS0_4arch9wavefront6targetE1EEEvT1_.numbered_sgpr, 0
	.set _ZN7rocprim17ROCPRIM_400000_NS6detail17trampoline_kernelINS0_14default_configENS1_25partition_config_selectorILNS1_17partition_subalgoE8ElNS0_10empty_typeEbEEZZNS1_14partition_implILS5_8ELb0ES3_jPKlPS6_PKS6_NS0_5tupleIJPlS6_EEENSE_IJSB_SB_EEENS0_18inequality_wrapperIN6hipcub16HIPCUB_304000_NS8EqualityEEESF_JS6_EEE10hipError_tPvRmT3_T4_T5_T6_T7_T9_mT8_P12ihipStream_tbDpT10_ENKUlT_T0_E_clISt17integral_constantIbLb0EES16_EEDaS11_S12_EUlS11_E_NS1_11comp_targetILNS1_3genE2ELNS1_11target_archE906ELNS1_3gpuE6ELNS1_3repE0EEENS1_30default_config_static_selectorELNS0_4arch9wavefront6targetE1EEEvT1_.num_named_barrier, 0
	.set _ZN7rocprim17ROCPRIM_400000_NS6detail17trampoline_kernelINS0_14default_configENS1_25partition_config_selectorILNS1_17partition_subalgoE8ElNS0_10empty_typeEbEEZZNS1_14partition_implILS5_8ELb0ES3_jPKlPS6_PKS6_NS0_5tupleIJPlS6_EEENSE_IJSB_SB_EEENS0_18inequality_wrapperIN6hipcub16HIPCUB_304000_NS8EqualityEEESF_JS6_EEE10hipError_tPvRmT3_T4_T5_T6_T7_T9_mT8_P12ihipStream_tbDpT10_ENKUlT_T0_E_clISt17integral_constantIbLb0EES16_EEDaS11_S12_EUlS11_E_NS1_11comp_targetILNS1_3genE2ELNS1_11target_archE906ELNS1_3gpuE6ELNS1_3repE0EEENS1_30default_config_static_selectorELNS0_4arch9wavefront6targetE1EEEvT1_.private_seg_size, 0
	.set _ZN7rocprim17ROCPRIM_400000_NS6detail17trampoline_kernelINS0_14default_configENS1_25partition_config_selectorILNS1_17partition_subalgoE8ElNS0_10empty_typeEbEEZZNS1_14partition_implILS5_8ELb0ES3_jPKlPS6_PKS6_NS0_5tupleIJPlS6_EEENSE_IJSB_SB_EEENS0_18inequality_wrapperIN6hipcub16HIPCUB_304000_NS8EqualityEEESF_JS6_EEE10hipError_tPvRmT3_T4_T5_T6_T7_T9_mT8_P12ihipStream_tbDpT10_ENKUlT_T0_E_clISt17integral_constantIbLb0EES16_EEDaS11_S12_EUlS11_E_NS1_11comp_targetILNS1_3genE2ELNS1_11target_archE906ELNS1_3gpuE6ELNS1_3repE0EEENS1_30default_config_static_selectorELNS0_4arch9wavefront6targetE1EEEvT1_.uses_vcc, 0
	.set _ZN7rocprim17ROCPRIM_400000_NS6detail17trampoline_kernelINS0_14default_configENS1_25partition_config_selectorILNS1_17partition_subalgoE8ElNS0_10empty_typeEbEEZZNS1_14partition_implILS5_8ELb0ES3_jPKlPS6_PKS6_NS0_5tupleIJPlS6_EEENSE_IJSB_SB_EEENS0_18inequality_wrapperIN6hipcub16HIPCUB_304000_NS8EqualityEEESF_JS6_EEE10hipError_tPvRmT3_T4_T5_T6_T7_T9_mT8_P12ihipStream_tbDpT10_ENKUlT_T0_E_clISt17integral_constantIbLb0EES16_EEDaS11_S12_EUlS11_E_NS1_11comp_targetILNS1_3genE2ELNS1_11target_archE906ELNS1_3gpuE6ELNS1_3repE0EEENS1_30default_config_static_selectorELNS0_4arch9wavefront6targetE1EEEvT1_.uses_flat_scratch, 0
	.set _ZN7rocprim17ROCPRIM_400000_NS6detail17trampoline_kernelINS0_14default_configENS1_25partition_config_selectorILNS1_17partition_subalgoE8ElNS0_10empty_typeEbEEZZNS1_14partition_implILS5_8ELb0ES3_jPKlPS6_PKS6_NS0_5tupleIJPlS6_EEENSE_IJSB_SB_EEENS0_18inequality_wrapperIN6hipcub16HIPCUB_304000_NS8EqualityEEESF_JS6_EEE10hipError_tPvRmT3_T4_T5_T6_T7_T9_mT8_P12ihipStream_tbDpT10_ENKUlT_T0_E_clISt17integral_constantIbLb0EES16_EEDaS11_S12_EUlS11_E_NS1_11comp_targetILNS1_3genE2ELNS1_11target_archE906ELNS1_3gpuE6ELNS1_3repE0EEENS1_30default_config_static_selectorELNS0_4arch9wavefront6targetE1EEEvT1_.has_dyn_sized_stack, 0
	.set _ZN7rocprim17ROCPRIM_400000_NS6detail17trampoline_kernelINS0_14default_configENS1_25partition_config_selectorILNS1_17partition_subalgoE8ElNS0_10empty_typeEbEEZZNS1_14partition_implILS5_8ELb0ES3_jPKlPS6_PKS6_NS0_5tupleIJPlS6_EEENSE_IJSB_SB_EEENS0_18inequality_wrapperIN6hipcub16HIPCUB_304000_NS8EqualityEEESF_JS6_EEE10hipError_tPvRmT3_T4_T5_T6_T7_T9_mT8_P12ihipStream_tbDpT10_ENKUlT_T0_E_clISt17integral_constantIbLb0EES16_EEDaS11_S12_EUlS11_E_NS1_11comp_targetILNS1_3genE2ELNS1_11target_archE906ELNS1_3gpuE6ELNS1_3repE0EEENS1_30default_config_static_selectorELNS0_4arch9wavefront6targetE1EEEvT1_.has_recursion, 0
	.set _ZN7rocprim17ROCPRIM_400000_NS6detail17trampoline_kernelINS0_14default_configENS1_25partition_config_selectorILNS1_17partition_subalgoE8ElNS0_10empty_typeEbEEZZNS1_14partition_implILS5_8ELb0ES3_jPKlPS6_PKS6_NS0_5tupleIJPlS6_EEENSE_IJSB_SB_EEENS0_18inequality_wrapperIN6hipcub16HIPCUB_304000_NS8EqualityEEESF_JS6_EEE10hipError_tPvRmT3_T4_T5_T6_T7_T9_mT8_P12ihipStream_tbDpT10_ENKUlT_T0_E_clISt17integral_constantIbLb0EES16_EEDaS11_S12_EUlS11_E_NS1_11comp_targetILNS1_3genE2ELNS1_11target_archE906ELNS1_3gpuE6ELNS1_3repE0EEENS1_30default_config_static_selectorELNS0_4arch9wavefront6targetE1EEEvT1_.has_indirect_call, 0
	.section	.AMDGPU.csdata,"",@progbits
; Kernel info:
; codeLenInByte = 0
; TotalNumSgprs: 6
; NumVgprs: 0
; NumAgprs: 0
; TotalNumVgprs: 0
; ScratchSize: 0
; MemoryBound: 0
; FloatMode: 240
; IeeeMode: 1
; LDSByteSize: 0 bytes/workgroup (compile time only)
; SGPRBlocks: 0
; VGPRBlocks: 0
; NumSGPRsForWavesPerEU: 6
; NumVGPRsForWavesPerEU: 1
; AccumOffset: 4
; Occupancy: 8
; WaveLimiterHint : 0
; COMPUTE_PGM_RSRC2:SCRATCH_EN: 0
; COMPUTE_PGM_RSRC2:USER_SGPR: 2
; COMPUTE_PGM_RSRC2:TRAP_HANDLER: 0
; COMPUTE_PGM_RSRC2:TGID_X_EN: 1
; COMPUTE_PGM_RSRC2:TGID_Y_EN: 0
; COMPUTE_PGM_RSRC2:TGID_Z_EN: 0
; COMPUTE_PGM_RSRC2:TIDIG_COMP_CNT: 0
; COMPUTE_PGM_RSRC3_GFX90A:ACCUM_OFFSET: 0
; COMPUTE_PGM_RSRC3_GFX90A:TG_SPLIT: 0
	.section	.text._ZN7rocprim17ROCPRIM_400000_NS6detail17trampoline_kernelINS0_14default_configENS1_25partition_config_selectorILNS1_17partition_subalgoE8ElNS0_10empty_typeEbEEZZNS1_14partition_implILS5_8ELb0ES3_jPKlPS6_PKS6_NS0_5tupleIJPlS6_EEENSE_IJSB_SB_EEENS0_18inequality_wrapperIN6hipcub16HIPCUB_304000_NS8EqualityEEESF_JS6_EEE10hipError_tPvRmT3_T4_T5_T6_T7_T9_mT8_P12ihipStream_tbDpT10_ENKUlT_T0_E_clISt17integral_constantIbLb0EES16_EEDaS11_S12_EUlS11_E_NS1_11comp_targetILNS1_3genE10ELNS1_11target_archE1200ELNS1_3gpuE4ELNS1_3repE0EEENS1_30default_config_static_selectorELNS0_4arch9wavefront6targetE1EEEvT1_,"axG",@progbits,_ZN7rocprim17ROCPRIM_400000_NS6detail17trampoline_kernelINS0_14default_configENS1_25partition_config_selectorILNS1_17partition_subalgoE8ElNS0_10empty_typeEbEEZZNS1_14partition_implILS5_8ELb0ES3_jPKlPS6_PKS6_NS0_5tupleIJPlS6_EEENSE_IJSB_SB_EEENS0_18inequality_wrapperIN6hipcub16HIPCUB_304000_NS8EqualityEEESF_JS6_EEE10hipError_tPvRmT3_T4_T5_T6_T7_T9_mT8_P12ihipStream_tbDpT10_ENKUlT_T0_E_clISt17integral_constantIbLb0EES16_EEDaS11_S12_EUlS11_E_NS1_11comp_targetILNS1_3genE10ELNS1_11target_archE1200ELNS1_3gpuE4ELNS1_3repE0EEENS1_30default_config_static_selectorELNS0_4arch9wavefront6targetE1EEEvT1_,comdat
	.protected	_ZN7rocprim17ROCPRIM_400000_NS6detail17trampoline_kernelINS0_14default_configENS1_25partition_config_selectorILNS1_17partition_subalgoE8ElNS0_10empty_typeEbEEZZNS1_14partition_implILS5_8ELb0ES3_jPKlPS6_PKS6_NS0_5tupleIJPlS6_EEENSE_IJSB_SB_EEENS0_18inequality_wrapperIN6hipcub16HIPCUB_304000_NS8EqualityEEESF_JS6_EEE10hipError_tPvRmT3_T4_T5_T6_T7_T9_mT8_P12ihipStream_tbDpT10_ENKUlT_T0_E_clISt17integral_constantIbLb0EES16_EEDaS11_S12_EUlS11_E_NS1_11comp_targetILNS1_3genE10ELNS1_11target_archE1200ELNS1_3gpuE4ELNS1_3repE0EEENS1_30default_config_static_selectorELNS0_4arch9wavefront6targetE1EEEvT1_ ; -- Begin function _ZN7rocprim17ROCPRIM_400000_NS6detail17trampoline_kernelINS0_14default_configENS1_25partition_config_selectorILNS1_17partition_subalgoE8ElNS0_10empty_typeEbEEZZNS1_14partition_implILS5_8ELb0ES3_jPKlPS6_PKS6_NS0_5tupleIJPlS6_EEENSE_IJSB_SB_EEENS0_18inequality_wrapperIN6hipcub16HIPCUB_304000_NS8EqualityEEESF_JS6_EEE10hipError_tPvRmT3_T4_T5_T6_T7_T9_mT8_P12ihipStream_tbDpT10_ENKUlT_T0_E_clISt17integral_constantIbLb0EES16_EEDaS11_S12_EUlS11_E_NS1_11comp_targetILNS1_3genE10ELNS1_11target_archE1200ELNS1_3gpuE4ELNS1_3repE0EEENS1_30default_config_static_selectorELNS0_4arch9wavefront6targetE1EEEvT1_
	.globl	_ZN7rocprim17ROCPRIM_400000_NS6detail17trampoline_kernelINS0_14default_configENS1_25partition_config_selectorILNS1_17partition_subalgoE8ElNS0_10empty_typeEbEEZZNS1_14partition_implILS5_8ELb0ES3_jPKlPS6_PKS6_NS0_5tupleIJPlS6_EEENSE_IJSB_SB_EEENS0_18inequality_wrapperIN6hipcub16HIPCUB_304000_NS8EqualityEEESF_JS6_EEE10hipError_tPvRmT3_T4_T5_T6_T7_T9_mT8_P12ihipStream_tbDpT10_ENKUlT_T0_E_clISt17integral_constantIbLb0EES16_EEDaS11_S12_EUlS11_E_NS1_11comp_targetILNS1_3genE10ELNS1_11target_archE1200ELNS1_3gpuE4ELNS1_3repE0EEENS1_30default_config_static_selectorELNS0_4arch9wavefront6targetE1EEEvT1_
	.p2align	8
	.type	_ZN7rocprim17ROCPRIM_400000_NS6detail17trampoline_kernelINS0_14default_configENS1_25partition_config_selectorILNS1_17partition_subalgoE8ElNS0_10empty_typeEbEEZZNS1_14partition_implILS5_8ELb0ES3_jPKlPS6_PKS6_NS0_5tupleIJPlS6_EEENSE_IJSB_SB_EEENS0_18inequality_wrapperIN6hipcub16HIPCUB_304000_NS8EqualityEEESF_JS6_EEE10hipError_tPvRmT3_T4_T5_T6_T7_T9_mT8_P12ihipStream_tbDpT10_ENKUlT_T0_E_clISt17integral_constantIbLb0EES16_EEDaS11_S12_EUlS11_E_NS1_11comp_targetILNS1_3genE10ELNS1_11target_archE1200ELNS1_3gpuE4ELNS1_3repE0EEENS1_30default_config_static_selectorELNS0_4arch9wavefront6targetE1EEEvT1_,@function
_ZN7rocprim17ROCPRIM_400000_NS6detail17trampoline_kernelINS0_14default_configENS1_25partition_config_selectorILNS1_17partition_subalgoE8ElNS0_10empty_typeEbEEZZNS1_14partition_implILS5_8ELb0ES3_jPKlPS6_PKS6_NS0_5tupleIJPlS6_EEENSE_IJSB_SB_EEENS0_18inequality_wrapperIN6hipcub16HIPCUB_304000_NS8EqualityEEESF_JS6_EEE10hipError_tPvRmT3_T4_T5_T6_T7_T9_mT8_P12ihipStream_tbDpT10_ENKUlT_T0_E_clISt17integral_constantIbLb0EES16_EEDaS11_S12_EUlS11_E_NS1_11comp_targetILNS1_3genE10ELNS1_11target_archE1200ELNS1_3gpuE4ELNS1_3repE0EEENS1_30default_config_static_selectorELNS0_4arch9wavefront6targetE1EEEvT1_: ; @_ZN7rocprim17ROCPRIM_400000_NS6detail17trampoline_kernelINS0_14default_configENS1_25partition_config_selectorILNS1_17partition_subalgoE8ElNS0_10empty_typeEbEEZZNS1_14partition_implILS5_8ELb0ES3_jPKlPS6_PKS6_NS0_5tupleIJPlS6_EEENSE_IJSB_SB_EEENS0_18inequality_wrapperIN6hipcub16HIPCUB_304000_NS8EqualityEEESF_JS6_EEE10hipError_tPvRmT3_T4_T5_T6_T7_T9_mT8_P12ihipStream_tbDpT10_ENKUlT_T0_E_clISt17integral_constantIbLb0EES16_EEDaS11_S12_EUlS11_E_NS1_11comp_targetILNS1_3genE10ELNS1_11target_archE1200ELNS1_3gpuE4ELNS1_3repE0EEENS1_30default_config_static_selectorELNS0_4arch9wavefront6targetE1EEEvT1_
; %bb.0:
	.section	.rodata,"a",@progbits
	.p2align	6, 0x0
	.amdhsa_kernel _ZN7rocprim17ROCPRIM_400000_NS6detail17trampoline_kernelINS0_14default_configENS1_25partition_config_selectorILNS1_17partition_subalgoE8ElNS0_10empty_typeEbEEZZNS1_14partition_implILS5_8ELb0ES3_jPKlPS6_PKS6_NS0_5tupleIJPlS6_EEENSE_IJSB_SB_EEENS0_18inequality_wrapperIN6hipcub16HIPCUB_304000_NS8EqualityEEESF_JS6_EEE10hipError_tPvRmT3_T4_T5_T6_T7_T9_mT8_P12ihipStream_tbDpT10_ENKUlT_T0_E_clISt17integral_constantIbLb0EES16_EEDaS11_S12_EUlS11_E_NS1_11comp_targetILNS1_3genE10ELNS1_11target_archE1200ELNS1_3gpuE4ELNS1_3repE0EEENS1_30default_config_static_selectorELNS0_4arch9wavefront6targetE1EEEvT1_
		.amdhsa_group_segment_fixed_size 0
		.amdhsa_private_segment_fixed_size 0
		.amdhsa_kernarg_size 112
		.amdhsa_user_sgpr_count 2
		.amdhsa_user_sgpr_dispatch_ptr 0
		.amdhsa_user_sgpr_queue_ptr 0
		.amdhsa_user_sgpr_kernarg_segment_ptr 1
		.amdhsa_user_sgpr_dispatch_id 0
		.amdhsa_user_sgpr_kernarg_preload_length 0
		.amdhsa_user_sgpr_kernarg_preload_offset 0
		.amdhsa_user_sgpr_private_segment_size 0
		.amdhsa_uses_dynamic_stack 0
		.amdhsa_enable_private_segment 0
		.amdhsa_system_sgpr_workgroup_id_x 1
		.amdhsa_system_sgpr_workgroup_id_y 0
		.amdhsa_system_sgpr_workgroup_id_z 0
		.amdhsa_system_sgpr_workgroup_info 0
		.amdhsa_system_vgpr_workitem_id 0
		.amdhsa_next_free_vgpr 1
		.amdhsa_next_free_sgpr 0
		.amdhsa_accum_offset 4
		.amdhsa_reserve_vcc 0
		.amdhsa_float_round_mode_32 0
		.amdhsa_float_round_mode_16_64 0
		.amdhsa_float_denorm_mode_32 3
		.amdhsa_float_denorm_mode_16_64 3
		.amdhsa_dx10_clamp 1
		.amdhsa_ieee_mode 1
		.amdhsa_fp16_overflow 0
		.amdhsa_tg_split 0
		.amdhsa_exception_fp_ieee_invalid_op 0
		.amdhsa_exception_fp_denorm_src 0
		.amdhsa_exception_fp_ieee_div_zero 0
		.amdhsa_exception_fp_ieee_overflow 0
		.amdhsa_exception_fp_ieee_underflow 0
		.amdhsa_exception_fp_ieee_inexact 0
		.amdhsa_exception_int_div_zero 0
	.end_amdhsa_kernel
	.section	.text._ZN7rocprim17ROCPRIM_400000_NS6detail17trampoline_kernelINS0_14default_configENS1_25partition_config_selectorILNS1_17partition_subalgoE8ElNS0_10empty_typeEbEEZZNS1_14partition_implILS5_8ELb0ES3_jPKlPS6_PKS6_NS0_5tupleIJPlS6_EEENSE_IJSB_SB_EEENS0_18inequality_wrapperIN6hipcub16HIPCUB_304000_NS8EqualityEEESF_JS6_EEE10hipError_tPvRmT3_T4_T5_T6_T7_T9_mT8_P12ihipStream_tbDpT10_ENKUlT_T0_E_clISt17integral_constantIbLb0EES16_EEDaS11_S12_EUlS11_E_NS1_11comp_targetILNS1_3genE10ELNS1_11target_archE1200ELNS1_3gpuE4ELNS1_3repE0EEENS1_30default_config_static_selectorELNS0_4arch9wavefront6targetE1EEEvT1_,"axG",@progbits,_ZN7rocprim17ROCPRIM_400000_NS6detail17trampoline_kernelINS0_14default_configENS1_25partition_config_selectorILNS1_17partition_subalgoE8ElNS0_10empty_typeEbEEZZNS1_14partition_implILS5_8ELb0ES3_jPKlPS6_PKS6_NS0_5tupleIJPlS6_EEENSE_IJSB_SB_EEENS0_18inequality_wrapperIN6hipcub16HIPCUB_304000_NS8EqualityEEESF_JS6_EEE10hipError_tPvRmT3_T4_T5_T6_T7_T9_mT8_P12ihipStream_tbDpT10_ENKUlT_T0_E_clISt17integral_constantIbLb0EES16_EEDaS11_S12_EUlS11_E_NS1_11comp_targetILNS1_3genE10ELNS1_11target_archE1200ELNS1_3gpuE4ELNS1_3repE0EEENS1_30default_config_static_selectorELNS0_4arch9wavefront6targetE1EEEvT1_,comdat
.Lfunc_end231:
	.size	_ZN7rocprim17ROCPRIM_400000_NS6detail17trampoline_kernelINS0_14default_configENS1_25partition_config_selectorILNS1_17partition_subalgoE8ElNS0_10empty_typeEbEEZZNS1_14partition_implILS5_8ELb0ES3_jPKlPS6_PKS6_NS0_5tupleIJPlS6_EEENSE_IJSB_SB_EEENS0_18inequality_wrapperIN6hipcub16HIPCUB_304000_NS8EqualityEEESF_JS6_EEE10hipError_tPvRmT3_T4_T5_T6_T7_T9_mT8_P12ihipStream_tbDpT10_ENKUlT_T0_E_clISt17integral_constantIbLb0EES16_EEDaS11_S12_EUlS11_E_NS1_11comp_targetILNS1_3genE10ELNS1_11target_archE1200ELNS1_3gpuE4ELNS1_3repE0EEENS1_30default_config_static_selectorELNS0_4arch9wavefront6targetE1EEEvT1_, .Lfunc_end231-_ZN7rocprim17ROCPRIM_400000_NS6detail17trampoline_kernelINS0_14default_configENS1_25partition_config_selectorILNS1_17partition_subalgoE8ElNS0_10empty_typeEbEEZZNS1_14partition_implILS5_8ELb0ES3_jPKlPS6_PKS6_NS0_5tupleIJPlS6_EEENSE_IJSB_SB_EEENS0_18inequality_wrapperIN6hipcub16HIPCUB_304000_NS8EqualityEEESF_JS6_EEE10hipError_tPvRmT3_T4_T5_T6_T7_T9_mT8_P12ihipStream_tbDpT10_ENKUlT_T0_E_clISt17integral_constantIbLb0EES16_EEDaS11_S12_EUlS11_E_NS1_11comp_targetILNS1_3genE10ELNS1_11target_archE1200ELNS1_3gpuE4ELNS1_3repE0EEENS1_30default_config_static_selectorELNS0_4arch9wavefront6targetE1EEEvT1_
                                        ; -- End function
	.set _ZN7rocprim17ROCPRIM_400000_NS6detail17trampoline_kernelINS0_14default_configENS1_25partition_config_selectorILNS1_17partition_subalgoE8ElNS0_10empty_typeEbEEZZNS1_14partition_implILS5_8ELb0ES3_jPKlPS6_PKS6_NS0_5tupleIJPlS6_EEENSE_IJSB_SB_EEENS0_18inequality_wrapperIN6hipcub16HIPCUB_304000_NS8EqualityEEESF_JS6_EEE10hipError_tPvRmT3_T4_T5_T6_T7_T9_mT8_P12ihipStream_tbDpT10_ENKUlT_T0_E_clISt17integral_constantIbLb0EES16_EEDaS11_S12_EUlS11_E_NS1_11comp_targetILNS1_3genE10ELNS1_11target_archE1200ELNS1_3gpuE4ELNS1_3repE0EEENS1_30default_config_static_selectorELNS0_4arch9wavefront6targetE1EEEvT1_.num_vgpr, 0
	.set _ZN7rocprim17ROCPRIM_400000_NS6detail17trampoline_kernelINS0_14default_configENS1_25partition_config_selectorILNS1_17partition_subalgoE8ElNS0_10empty_typeEbEEZZNS1_14partition_implILS5_8ELb0ES3_jPKlPS6_PKS6_NS0_5tupleIJPlS6_EEENSE_IJSB_SB_EEENS0_18inequality_wrapperIN6hipcub16HIPCUB_304000_NS8EqualityEEESF_JS6_EEE10hipError_tPvRmT3_T4_T5_T6_T7_T9_mT8_P12ihipStream_tbDpT10_ENKUlT_T0_E_clISt17integral_constantIbLb0EES16_EEDaS11_S12_EUlS11_E_NS1_11comp_targetILNS1_3genE10ELNS1_11target_archE1200ELNS1_3gpuE4ELNS1_3repE0EEENS1_30default_config_static_selectorELNS0_4arch9wavefront6targetE1EEEvT1_.num_agpr, 0
	.set _ZN7rocprim17ROCPRIM_400000_NS6detail17trampoline_kernelINS0_14default_configENS1_25partition_config_selectorILNS1_17partition_subalgoE8ElNS0_10empty_typeEbEEZZNS1_14partition_implILS5_8ELb0ES3_jPKlPS6_PKS6_NS0_5tupleIJPlS6_EEENSE_IJSB_SB_EEENS0_18inequality_wrapperIN6hipcub16HIPCUB_304000_NS8EqualityEEESF_JS6_EEE10hipError_tPvRmT3_T4_T5_T6_T7_T9_mT8_P12ihipStream_tbDpT10_ENKUlT_T0_E_clISt17integral_constantIbLb0EES16_EEDaS11_S12_EUlS11_E_NS1_11comp_targetILNS1_3genE10ELNS1_11target_archE1200ELNS1_3gpuE4ELNS1_3repE0EEENS1_30default_config_static_selectorELNS0_4arch9wavefront6targetE1EEEvT1_.numbered_sgpr, 0
	.set _ZN7rocprim17ROCPRIM_400000_NS6detail17trampoline_kernelINS0_14default_configENS1_25partition_config_selectorILNS1_17partition_subalgoE8ElNS0_10empty_typeEbEEZZNS1_14partition_implILS5_8ELb0ES3_jPKlPS6_PKS6_NS0_5tupleIJPlS6_EEENSE_IJSB_SB_EEENS0_18inequality_wrapperIN6hipcub16HIPCUB_304000_NS8EqualityEEESF_JS6_EEE10hipError_tPvRmT3_T4_T5_T6_T7_T9_mT8_P12ihipStream_tbDpT10_ENKUlT_T0_E_clISt17integral_constantIbLb0EES16_EEDaS11_S12_EUlS11_E_NS1_11comp_targetILNS1_3genE10ELNS1_11target_archE1200ELNS1_3gpuE4ELNS1_3repE0EEENS1_30default_config_static_selectorELNS0_4arch9wavefront6targetE1EEEvT1_.num_named_barrier, 0
	.set _ZN7rocprim17ROCPRIM_400000_NS6detail17trampoline_kernelINS0_14default_configENS1_25partition_config_selectorILNS1_17partition_subalgoE8ElNS0_10empty_typeEbEEZZNS1_14partition_implILS5_8ELb0ES3_jPKlPS6_PKS6_NS0_5tupleIJPlS6_EEENSE_IJSB_SB_EEENS0_18inequality_wrapperIN6hipcub16HIPCUB_304000_NS8EqualityEEESF_JS6_EEE10hipError_tPvRmT3_T4_T5_T6_T7_T9_mT8_P12ihipStream_tbDpT10_ENKUlT_T0_E_clISt17integral_constantIbLb0EES16_EEDaS11_S12_EUlS11_E_NS1_11comp_targetILNS1_3genE10ELNS1_11target_archE1200ELNS1_3gpuE4ELNS1_3repE0EEENS1_30default_config_static_selectorELNS0_4arch9wavefront6targetE1EEEvT1_.private_seg_size, 0
	.set _ZN7rocprim17ROCPRIM_400000_NS6detail17trampoline_kernelINS0_14default_configENS1_25partition_config_selectorILNS1_17partition_subalgoE8ElNS0_10empty_typeEbEEZZNS1_14partition_implILS5_8ELb0ES3_jPKlPS6_PKS6_NS0_5tupleIJPlS6_EEENSE_IJSB_SB_EEENS0_18inequality_wrapperIN6hipcub16HIPCUB_304000_NS8EqualityEEESF_JS6_EEE10hipError_tPvRmT3_T4_T5_T6_T7_T9_mT8_P12ihipStream_tbDpT10_ENKUlT_T0_E_clISt17integral_constantIbLb0EES16_EEDaS11_S12_EUlS11_E_NS1_11comp_targetILNS1_3genE10ELNS1_11target_archE1200ELNS1_3gpuE4ELNS1_3repE0EEENS1_30default_config_static_selectorELNS0_4arch9wavefront6targetE1EEEvT1_.uses_vcc, 0
	.set _ZN7rocprim17ROCPRIM_400000_NS6detail17trampoline_kernelINS0_14default_configENS1_25partition_config_selectorILNS1_17partition_subalgoE8ElNS0_10empty_typeEbEEZZNS1_14partition_implILS5_8ELb0ES3_jPKlPS6_PKS6_NS0_5tupleIJPlS6_EEENSE_IJSB_SB_EEENS0_18inequality_wrapperIN6hipcub16HIPCUB_304000_NS8EqualityEEESF_JS6_EEE10hipError_tPvRmT3_T4_T5_T6_T7_T9_mT8_P12ihipStream_tbDpT10_ENKUlT_T0_E_clISt17integral_constantIbLb0EES16_EEDaS11_S12_EUlS11_E_NS1_11comp_targetILNS1_3genE10ELNS1_11target_archE1200ELNS1_3gpuE4ELNS1_3repE0EEENS1_30default_config_static_selectorELNS0_4arch9wavefront6targetE1EEEvT1_.uses_flat_scratch, 0
	.set _ZN7rocprim17ROCPRIM_400000_NS6detail17trampoline_kernelINS0_14default_configENS1_25partition_config_selectorILNS1_17partition_subalgoE8ElNS0_10empty_typeEbEEZZNS1_14partition_implILS5_8ELb0ES3_jPKlPS6_PKS6_NS0_5tupleIJPlS6_EEENSE_IJSB_SB_EEENS0_18inequality_wrapperIN6hipcub16HIPCUB_304000_NS8EqualityEEESF_JS6_EEE10hipError_tPvRmT3_T4_T5_T6_T7_T9_mT8_P12ihipStream_tbDpT10_ENKUlT_T0_E_clISt17integral_constantIbLb0EES16_EEDaS11_S12_EUlS11_E_NS1_11comp_targetILNS1_3genE10ELNS1_11target_archE1200ELNS1_3gpuE4ELNS1_3repE0EEENS1_30default_config_static_selectorELNS0_4arch9wavefront6targetE1EEEvT1_.has_dyn_sized_stack, 0
	.set _ZN7rocprim17ROCPRIM_400000_NS6detail17trampoline_kernelINS0_14default_configENS1_25partition_config_selectorILNS1_17partition_subalgoE8ElNS0_10empty_typeEbEEZZNS1_14partition_implILS5_8ELb0ES3_jPKlPS6_PKS6_NS0_5tupleIJPlS6_EEENSE_IJSB_SB_EEENS0_18inequality_wrapperIN6hipcub16HIPCUB_304000_NS8EqualityEEESF_JS6_EEE10hipError_tPvRmT3_T4_T5_T6_T7_T9_mT8_P12ihipStream_tbDpT10_ENKUlT_T0_E_clISt17integral_constantIbLb0EES16_EEDaS11_S12_EUlS11_E_NS1_11comp_targetILNS1_3genE10ELNS1_11target_archE1200ELNS1_3gpuE4ELNS1_3repE0EEENS1_30default_config_static_selectorELNS0_4arch9wavefront6targetE1EEEvT1_.has_recursion, 0
	.set _ZN7rocprim17ROCPRIM_400000_NS6detail17trampoline_kernelINS0_14default_configENS1_25partition_config_selectorILNS1_17partition_subalgoE8ElNS0_10empty_typeEbEEZZNS1_14partition_implILS5_8ELb0ES3_jPKlPS6_PKS6_NS0_5tupleIJPlS6_EEENSE_IJSB_SB_EEENS0_18inequality_wrapperIN6hipcub16HIPCUB_304000_NS8EqualityEEESF_JS6_EEE10hipError_tPvRmT3_T4_T5_T6_T7_T9_mT8_P12ihipStream_tbDpT10_ENKUlT_T0_E_clISt17integral_constantIbLb0EES16_EEDaS11_S12_EUlS11_E_NS1_11comp_targetILNS1_3genE10ELNS1_11target_archE1200ELNS1_3gpuE4ELNS1_3repE0EEENS1_30default_config_static_selectorELNS0_4arch9wavefront6targetE1EEEvT1_.has_indirect_call, 0
	.section	.AMDGPU.csdata,"",@progbits
; Kernel info:
; codeLenInByte = 0
; TotalNumSgprs: 6
; NumVgprs: 0
; NumAgprs: 0
; TotalNumVgprs: 0
; ScratchSize: 0
; MemoryBound: 0
; FloatMode: 240
; IeeeMode: 1
; LDSByteSize: 0 bytes/workgroup (compile time only)
; SGPRBlocks: 0
; VGPRBlocks: 0
; NumSGPRsForWavesPerEU: 6
; NumVGPRsForWavesPerEU: 1
; AccumOffset: 4
; Occupancy: 8
; WaveLimiterHint : 0
; COMPUTE_PGM_RSRC2:SCRATCH_EN: 0
; COMPUTE_PGM_RSRC2:USER_SGPR: 2
; COMPUTE_PGM_RSRC2:TRAP_HANDLER: 0
; COMPUTE_PGM_RSRC2:TGID_X_EN: 1
; COMPUTE_PGM_RSRC2:TGID_Y_EN: 0
; COMPUTE_PGM_RSRC2:TGID_Z_EN: 0
; COMPUTE_PGM_RSRC2:TIDIG_COMP_CNT: 0
; COMPUTE_PGM_RSRC3_GFX90A:ACCUM_OFFSET: 0
; COMPUTE_PGM_RSRC3_GFX90A:TG_SPLIT: 0
	.section	.text._ZN7rocprim17ROCPRIM_400000_NS6detail17trampoline_kernelINS0_14default_configENS1_25partition_config_selectorILNS1_17partition_subalgoE8ElNS0_10empty_typeEbEEZZNS1_14partition_implILS5_8ELb0ES3_jPKlPS6_PKS6_NS0_5tupleIJPlS6_EEENSE_IJSB_SB_EEENS0_18inequality_wrapperIN6hipcub16HIPCUB_304000_NS8EqualityEEESF_JS6_EEE10hipError_tPvRmT3_T4_T5_T6_T7_T9_mT8_P12ihipStream_tbDpT10_ENKUlT_T0_E_clISt17integral_constantIbLb0EES16_EEDaS11_S12_EUlS11_E_NS1_11comp_targetILNS1_3genE9ELNS1_11target_archE1100ELNS1_3gpuE3ELNS1_3repE0EEENS1_30default_config_static_selectorELNS0_4arch9wavefront6targetE1EEEvT1_,"axG",@progbits,_ZN7rocprim17ROCPRIM_400000_NS6detail17trampoline_kernelINS0_14default_configENS1_25partition_config_selectorILNS1_17partition_subalgoE8ElNS0_10empty_typeEbEEZZNS1_14partition_implILS5_8ELb0ES3_jPKlPS6_PKS6_NS0_5tupleIJPlS6_EEENSE_IJSB_SB_EEENS0_18inequality_wrapperIN6hipcub16HIPCUB_304000_NS8EqualityEEESF_JS6_EEE10hipError_tPvRmT3_T4_T5_T6_T7_T9_mT8_P12ihipStream_tbDpT10_ENKUlT_T0_E_clISt17integral_constantIbLb0EES16_EEDaS11_S12_EUlS11_E_NS1_11comp_targetILNS1_3genE9ELNS1_11target_archE1100ELNS1_3gpuE3ELNS1_3repE0EEENS1_30default_config_static_selectorELNS0_4arch9wavefront6targetE1EEEvT1_,comdat
	.protected	_ZN7rocprim17ROCPRIM_400000_NS6detail17trampoline_kernelINS0_14default_configENS1_25partition_config_selectorILNS1_17partition_subalgoE8ElNS0_10empty_typeEbEEZZNS1_14partition_implILS5_8ELb0ES3_jPKlPS6_PKS6_NS0_5tupleIJPlS6_EEENSE_IJSB_SB_EEENS0_18inequality_wrapperIN6hipcub16HIPCUB_304000_NS8EqualityEEESF_JS6_EEE10hipError_tPvRmT3_T4_T5_T6_T7_T9_mT8_P12ihipStream_tbDpT10_ENKUlT_T0_E_clISt17integral_constantIbLb0EES16_EEDaS11_S12_EUlS11_E_NS1_11comp_targetILNS1_3genE9ELNS1_11target_archE1100ELNS1_3gpuE3ELNS1_3repE0EEENS1_30default_config_static_selectorELNS0_4arch9wavefront6targetE1EEEvT1_ ; -- Begin function _ZN7rocprim17ROCPRIM_400000_NS6detail17trampoline_kernelINS0_14default_configENS1_25partition_config_selectorILNS1_17partition_subalgoE8ElNS0_10empty_typeEbEEZZNS1_14partition_implILS5_8ELb0ES3_jPKlPS6_PKS6_NS0_5tupleIJPlS6_EEENSE_IJSB_SB_EEENS0_18inequality_wrapperIN6hipcub16HIPCUB_304000_NS8EqualityEEESF_JS6_EEE10hipError_tPvRmT3_T4_T5_T6_T7_T9_mT8_P12ihipStream_tbDpT10_ENKUlT_T0_E_clISt17integral_constantIbLb0EES16_EEDaS11_S12_EUlS11_E_NS1_11comp_targetILNS1_3genE9ELNS1_11target_archE1100ELNS1_3gpuE3ELNS1_3repE0EEENS1_30default_config_static_selectorELNS0_4arch9wavefront6targetE1EEEvT1_
	.globl	_ZN7rocprim17ROCPRIM_400000_NS6detail17trampoline_kernelINS0_14default_configENS1_25partition_config_selectorILNS1_17partition_subalgoE8ElNS0_10empty_typeEbEEZZNS1_14partition_implILS5_8ELb0ES3_jPKlPS6_PKS6_NS0_5tupleIJPlS6_EEENSE_IJSB_SB_EEENS0_18inequality_wrapperIN6hipcub16HIPCUB_304000_NS8EqualityEEESF_JS6_EEE10hipError_tPvRmT3_T4_T5_T6_T7_T9_mT8_P12ihipStream_tbDpT10_ENKUlT_T0_E_clISt17integral_constantIbLb0EES16_EEDaS11_S12_EUlS11_E_NS1_11comp_targetILNS1_3genE9ELNS1_11target_archE1100ELNS1_3gpuE3ELNS1_3repE0EEENS1_30default_config_static_selectorELNS0_4arch9wavefront6targetE1EEEvT1_
	.p2align	8
	.type	_ZN7rocprim17ROCPRIM_400000_NS6detail17trampoline_kernelINS0_14default_configENS1_25partition_config_selectorILNS1_17partition_subalgoE8ElNS0_10empty_typeEbEEZZNS1_14partition_implILS5_8ELb0ES3_jPKlPS6_PKS6_NS0_5tupleIJPlS6_EEENSE_IJSB_SB_EEENS0_18inequality_wrapperIN6hipcub16HIPCUB_304000_NS8EqualityEEESF_JS6_EEE10hipError_tPvRmT3_T4_T5_T6_T7_T9_mT8_P12ihipStream_tbDpT10_ENKUlT_T0_E_clISt17integral_constantIbLb0EES16_EEDaS11_S12_EUlS11_E_NS1_11comp_targetILNS1_3genE9ELNS1_11target_archE1100ELNS1_3gpuE3ELNS1_3repE0EEENS1_30default_config_static_selectorELNS0_4arch9wavefront6targetE1EEEvT1_,@function
_ZN7rocprim17ROCPRIM_400000_NS6detail17trampoline_kernelINS0_14default_configENS1_25partition_config_selectorILNS1_17partition_subalgoE8ElNS0_10empty_typeEbEEZZNS1_14partition_implILS5_8ELb0ES3_jPKlPS6_PKS6_NS0_5tupleIJPlS6_EEENSE_IJSB_SB_EEENS0_18inequality_wrapperIN6hipcub16HIPCUB_304000_NS8EqualityEEESF_JS6_EEE10hipError_tPvRmT3_T4_T5_T6_T7_T9_mT8_P12ihipStream_tbDpT10_ENKUlT_T0_E_clISt17integral_constantIbLb0EES16_EEDaS11_S12_EUlS11_E_NS1_11comp_targetILNS1_3genE9ELNS1_11target_archE1100ELNS1_3gpuE3ELNS1_3repE0EEENS1_30default_config_static_selectorELNS0_4arch9wavefront6targetE1EEEvT1_: ; @_ZN7rocprim17ROCPRIM_400000_NS6detail17trampoline_kernelINS0_14default_configENS1_25partition_config_selectorILNS1_17partition_subalgoE8ElNS0_10empty_typeEbEEZZNS1_14partition_implILS5_8ELb0ES3_jPKlPS6_PKS6_NS0_5tupleIJPlS6_EEENSE_IJSB_SB_EEENS0_18inequality_wrapperIN6hipcub16HIPCUB_304000_NS8EqualityEEESF_JS6_EEE10hipError_tPvRmT3_T4_T5_T6_T7_T9_mT8_P12ihipStream_tbDpT10_ENKUlT_T0_E_clISt17integral_constantIbLb0EES16_EEDaS11_S12_EUlS11_E_NS1_11comp_targetILNS1_3genE9ELNS1_11target_archE1100ELNS1_3gpuE3ELNS1_3repE0EEENS1_30default_config_static_selectorELNS0_4arch9wavefront6targetE1EEEvT1_
; %bb.0:
	.section	.rodata,"a",@progbits
	.p2align	6, 0x0
	.amdhsa_kernel _ZN7rocprim17ROCPRIM_400000_NS6detail17trampoline_kernelINS0_14default_configENS1_25partition_config_selectorILNS1_17partition_subalgoE8ElNS0_10empty_typeEbEEZZNS1_14partition_implILS5_8ELb0ES3_jPKlPS6_PKS6_NS0_5tupleIJPlS6_EEENSE_IJSB_SB_EEENS0_18inequality_wrapperIN6hipcub16HIPCUB_304000_NS8EqualityEEESF_JS6_EEE10hipError_tPvRmT3_T4_T5_T6_T7_T9_mT8_P12ihipStream_tbDpT10_ENKUlT_T0_E_clISt17integral_constantIbLb0EES16_EEDaS11_S12_EUlS11_E_NS1_11comp_targetILNS1_3genE9ELNS1_11target_archE1100ELNS1_3gpuE3ELNS1_3repE0EEENS1_30default_config_static_selectorELNS0_4arch9wavefront6targetE1EEEvT1_
		.amdhsa_group_segment_fixed_size 0
		.amdhsa_private_segment_fixed_size 0
		.amdhsa_kernarg_size 112
		.amdhsa_user_sgpr_count 2
		.amdhsa_user_sgpr_dispatch_ptr 0
		.amdhsa_user_sgpr_queue_ptr 0
		.amdhsa_user_sgpr_kernarg_segment_ptr 1
		.amdhsa_user_sgpr_dispatch_id 0
		.amdhsa_user_sgpr_kernarg_preload_length 0
		.amdhsa_user_sgpr_kernarg_preload_offset 0
		.amdhsa_user_sgpr_private_segment_size 0
		.amdhsa_uses_dynamic_stack 0
		.amdhsa_enable_private_segment 0
		.amdhsa_system_sgpr_workgroup_id_x 1
		.amdhsa_system_sgpr_workgroup_id_y 0
		.amdhsa_system_sgpr_workgroup_id_z 0
		.amdhsa_system_sgpr_workgroup_info 0
		.amdhsa_system_vgpr_workitem_id 0
		.amdhsa_next_free_vgpr 1
		.amdhsa_next_free_sgpr 0
		.amdhsa_accum_offset 4
		.amdhsa_reserve_vcc 0
		.amdhsa_float_round_mode_32 0
		.amdhsa_float_round_mode_16_64 0
		.amdhsa_float_denorm_mode_32 3
		.amdhsa_float_denorm_mode_16_64 3
		.amdhsa_dx10_clamp 1
		.amdhsa_ieee_mode 1
		.amdhsa_fp16_overflow 0
		.amdhsa_tg_split 0
		.amdhsa_exception_fp_ieee_invalid_op 0
		.amdhsa_exception_fp_denorm_src 0
		.amdhsa_exception_fp_ieee_div_zero 0
		.amdhsa_exception_fp_ieee_overflow 0
		.amdhsa_exception_fp_ieee_underflow 0
		.amdhsa_exception_fp_ieee_inexact 0
		.amdhsa_exception_int_div_zero 0
	.end_amdhsa_kernel
	.section	.text._ZN7rocprim17ROCPRIM_400000_NS6detail17trampoline_kernelINS0_14default_configENS1_25partition_config_selectorILNS1_17partition_subalgoE8ElNS0_10empty_typeEbEEZZNS1_14partition_implILS5_8ELb0ES3_jPKlPS6_PKS6_NS0_5tupleIJPlS6_EEENSE_IJSB_SB_EEENS0_18inequality_wrapperIN6hipcub16HIPCUB_304000_NS8EqualityEEESF_JS6_EEE10hipError_tPvRmT3_T4_T5_T6_T7_T9_mT8_P12ihipStream_tbDpT10_ENKUlT_T0_E_clISt17integral_constantIbLb0EES16_EEDaS11_S12_EUlS11_E_NS1_11comp_targetILNS1_3genE9ELNS1_11target_archE1100ELNS1_3gpuE3ELNS1_3repE0EEENS1_30default_config_static_selectorELNS0_4arch9wavefront6targetE1EEEvT1_,"axG",@progbits,_ZN7rocprim17ROCPRIM_400000_NS6detail17trampoline_kernelINS0_14default_configENS1_25partition_config_selectorILNS1_17partition_subalgoE8ElNS0_10empty_typeEbEEZZNS1_14partition_implILS5_8ELb0ES3_jPKlPS6_PKS6_NS0_5tupleIJPlS6_EEENSE_IJSB_SB_EEENS0_18inequality_wrapperIN6hipcub16HIPCUB_304000_NS8EqualityEEESF_JS6_EEE10hipError_tPvRmT3_T4_T5_T6_T7_T9_mT8_P12ihipStream_tbDpT10_ENKUlT_T0_E_clISt17integral_constantIbLb0EES16_EEDaS11_S12_EUlS11_E_NS1_11comp_targetILNS1_3genE9ELNS1_11target_archE1100ELNS1_3gpuE3ELNS1_3repE0EEENS1_30default_config_static_selectorELNS0_4arch9wavefront6targetE1EEEvT1_,comdat
.Lfunc_end232:
	.size	_ZN7rocprim17ROCPRIM_400000_NS6detail17trampoline_kernelINS0_14default_configENS1_25partition_config_selectorILNS1_17partition_subalgoE8ElNS0_10empty_typeEbEEZZNS1_14partition_implILS5_8ELb0ES3_jPKlPS6_PKS6_NS0_5tupleIJPlS6_EEENSE_IJSB_SB_EEENS0_18inequality_wrapperIN6hipcub16HIPCUB_304000_NS8EqualityEEESF_JS6_EEE10hipError_tPvRmT3_T4_T5_T6_T7_T9_mT8_P12ihipStream_tbDpT10_ENKUlT_T0_E_clISt17integral_constantIbLb0EES16_EEDaS11_S12_EUlS11_E_NS1_11comp_targetILNS1_3genE9ELNS1_11target_archE1100ELNS1_3gpuE3ELNS1_3repE0EEENS1_30default_config_static_selectorELNS0_4arch9wavefront6targetE1EEEvT1_, .Lfunc_end232-_ZN7rocprim17ROCPRIM_400000_NS6detail17trampoline_kernelINS0_14default_configENS1_25partition_config_selectorILNS1_17partition_subalgoE8ElNS0_10empty_typeEbEEZZNS1_14partition_implILS5_8ELb0ES3_jPKlPS6_PKS6_NS0_5tupleIJPlS6_EEENSE_IJSB_SB_EEENS0_18inequality_wrapperIN6hipcub16HIPCUB_304000_NS8EqualityEEESF_JS6_EEE10hipError_tPvRmT3_T4_T5_T6_T7_T9_mT8_P12ihipStream_tbDpT10_ENKUlT_T0_E_clISt17integral_constantIbLb0EES16_EEDaS11_S12_EUlS11_E_NS1_11comp_targetILNS1_3genE9ELNS1_11target_archE1100ELNS1_3gpuE3ELNS1_3repE0EEENS1_30default_config_static_selectorELNS0_4arch9wavefront6targetE1EEEvT1_
                                        ; -- End function
	.set _ZN7rocprim17ROCPRIM_400000_NS6detail17trampoline_kernelINS0_14default_configENS1_25partition_config_selectorILNS1_17partition_subalgoE8ElNS0_10empty_typeEbEEZZNS1_14partition_implILS5_8ELb0ES3_jPKlPS6_PKS6_NS0_5tupleIJPlS6_EEENSE_IJSB_SB_EEENS0_18inequality_wrapperIN6hipcub16HIPCUB_304000_NS8EqualityEEESF_JS6_EEE10hipError_tPvRmT3_T4_T5_T6_T7_T9_mT8_P12ihipStream_tbDpT10_ENKUlT_T0_E_clISt17integral_constantIbLb0EES16_EEDaS11_S12_EUlS11_E_NS1_11comp_targetILNS1_3genE9ELNS1_11target_archE1100ELNS1_3gpuE3ELNS1_3repE0EEENS1_30default_config_static_selectorELNS0_4arch9wavefront6targetE1EEEvT1_.num_vgpr, 0
	.set _ZN7rocprim17ROCPRIM_400000_NS6detail17trampoline_kernelINS0_14default_configENS1_25partition_config_selectorILNS1_17partition_subalgoE8ElNS0_10empty_typeEbEEZZNS1_14partition_implILS5_8ELb0ES3_jPKlPS6_PKS6_NS0_5tupleIJPlS6_EEENSE_IJSB_SB_EEENS0_18inequality_wrapperIN6hipcub16HIPCUB_304000_NS8EqualityEEESF_JS6_EEE10hipError_tPvRmT3_T4_T5_T6_T7_T9_mT8_P12ihipStream_tbDpT10_ENKUlT_T0_E_clISt17integral_constantIbLb0EES16_EEDaS11_S12_EUlS11_E_NS1_11comp_targetILNS1_3genE9ELNS1_11target_archE1100ELNS1_3gpuE3ELNS1_3repE0EEENS1_30default_config_static_selectorELNS0_4arch9wavefront6targetE1EEEvT1_.num_agpr, 0
	.set _ZN7rocprim17ROCPRIM_400000_NS6detail17trampoline_kernelINS0_14default_configENS1_25partition_config_selectorILNS1_17partition_subalgoE8ElNS0_10empty_typeEbEEZZNS1_14partition_implILS5_8ELb0ES3_jPKlPS6_PKS6_NS0_5tupleIJPlS6_EEENSE_IJSB_SB_EEENS0_18inequality_wrapperIN6hipcub16HIPCUB_304000_NS8EqualityEEESF_JS6_EEE10hipError_tPvRmT3_T4_T5_T6_T7_T9_mT8_P12ihipStream_tbDpT10_ENKUlT_T0_E_clISt17integral_constantIbLb0EES16_EEDaS11_S12_EUlS11_E_NS1_11comp_targetILNS1_3genE9ELNS1_11target_archE1100ELNS1_3gpuE3ELNS1_3repE0EEENS1_30default_config_static_selectorELNS0_4arch9wavefront6targetE1EEEvT1_.numbered_sgpr, 0
	.set _ZN7rocprim17ROCPRIM_400000_NS6detail17trampoline_kernelINS0_14default_configENS1_25partition_config_selectorILNS1_17partition_subalgoE8ElNS0_10empty_typeEbEEZZNS1_14partition_implILS5_8ELb0ES3_jPKlPS6_PKS6_NS0_5tupleIJPlS6_EEENSE_IJSB_SB_EEENS0_18inequality_wrapperIN6hipcub16HIPCUB_304000_NS8EqualityEEESF_JS6_EEE10hipError_tPvRmT3_T4_T5_T6_T7_T9_mT8_P12ihipStream_tbDpT10_ENKUlT_T0_E_clISt17integral_constantIbLb0EES16_EEDaS11_S12_EUlS11_E_NS1_11comp_targetILNS1_3genE9ELNS1_11target_archE1100ELNS1_3gpuE3ELNS1_3repE0EEENS1_30default_config_static_selectorELNS0_4arch9wavefront6targetE1EEEvT1_.num_named_barrier, 0
	.set _ZN7rocprim17ROCPRIM_400000_NS6detail17trampoline_kernelINS0_14default_configENS1_25partition_config_selectorILNS1_17partition_subalgoE8ElNS0_10empty_typeEbEEZZNS1_14partition_implILS5_8ELb0ES3_jPKlPS6_PKS6_NS0_5tupleIJPlS6_EEENSE_IJSB_SB_EEENS0_18inequality_wrapperIN6hipcub16HIPCUB_304000_NS8EqualityEEESF_JS6_EEE10hipError_tPvRmT3_T4_T5_T6_T7_T9_mT8_P12ihipStream_tbDpT10_ENKUlT_T0_E_clISt17integral_constantIbLb0EES16_EEDaS11_S12_EUlS11_E_NS1_11comp_targetILNS1_3genE9ELNS1_11target_archE1100ELNS1_3gpuE3ELNS1_3repE0EEENS1_30default_config_static_selectorELNS0_4arch9wavefront6targetE1EEEvT1_.private_seg_size, 0
	.set _ZN7rocprim17ROCPRIM_400000_NS6detail17trampoline_kernelINS0_14default_configENS1_25partition_config_selectorILNS1_17partition_subalgoE8ElNS0_10empty_typeEbEEZZNS1_14partition_implILS5_8ELb0ES3_jPKlPS6_PKS6_NS0_5tupleIJPlS6_EEENSE_IJSB_SB_EEENS0_18inequality_wrapperIN6hipcub16HIPCUB_304000_NS8EqualityEEESF_JS6_EEE10hipError_tPvRmT3_T4_T5_T6_T7_T9_mT8_P12ihipStream_tbDpT10_ENKUlT_T0_E_clISt17integral_constantIbLb0EES16_EEDaS11_S12_EUlS11_E_NS1_11comp_targetILNS1_3genE9ELNS1_11target_archE1100ELNS1_3gpuE3ELNS1_3repE0EEENS1_30default_config_static_selectorELNS0_4arch9wavefront6targetE1EEEvT1_.uses_vcc, 0
	.set _ZN7rocprim17ROCPRIM_400000_NS6detail17trampoline_kernelINS0_14default_configENS1_25partition_config_selectorILNS1_17partition_subalgoE8ElNS0_10empty_typeEbEEZZNS1_14partition_implILS5_8ELb0ES3_jPKlPS6_PKS6_NS0_5tupleIJPlS6_EEENSE_IJSB_SB_EEENS0_18inequality_wrapperIN6hipcub16HIPCUB_304000_NS8EqualityEEESF_JS6_EEE10hipError_tPvRmT3_T4_T5_T6_T7_T9_mT8_P12ihipStream_tbDpT10_ENKUlT_T0_E_clISt17integral_constantIbLb0EES16_EEDaS11_S12_EUlS11_E_NS1_11comp_targetILNS1_3genE9ELNS1_11target_archE1100ELNS1_3gpuE3ELNS1_3repE0EEENS1_30default_config_static_selectorELNS0_4arch9wavefront6targetE1EEEvT1_.uses_flat_scratch, 0
	.set _ZN7rocprim17ROCPRIM_400000_NS6detail17trampoline_kernelINS0_14default_configENS1_25partition_config_selectorILNS1_17partition_subalgoE8ElNS0_10empty_typeEbEEZZNS1_14partition_implILS5_8ELb0ES3_jPKlPS6_PKS6_NS0_5tupleIJPlS6_EEENSE_IJSB_SB_EEENS0_18inequality_wrapperIN6hipcub16HIPCUB_304000_NS8EqualityEEESF_JS6_EEE10hipError_tPvRmT3_T4_T5_T6_T7_T9_mT8_P12ihipStream_tbDpT10_ENKUlT_T0_E_clISt17integral_constantIbLb0EES16_EEDaS11_S12_EUlS11_E_NS1_11comp_targetILNS1_3genE9ELNS1_11target_archE1100ELNS1_3gpuE3ELNS1_3repE0EEENS1_30default_config_static_selectorELNS0_4arch9wavefront6targetE1EEEvT1_.has_dyn_sized_stack, 0
	.set _ZN7rocprim17ROCPRIM_400000_NS6detail17trampoline_kernelINS0_14default_configENS1_25partition_config_selectorILNS1_17partition_subalgoE8ElNS0_10empty_typeEbEEZZNS1_14partition_implILS5_8ELb0ES3_jPKlPS6_PKS6_NS0_5tupleIJPlS6_EEENSE_IJSB_SB_EEENS0_18inequality_wrapperIN6hipcub16HIPCUB_304000_NS8EqualityEEESF_JS6_EEE10hipError_tPvRmT3_T4_T5_T6_T7_T9_mT8_P12ihipStream_tbDpT10_ENKUlT_T0_E_clISt17integral_constantIbLb0EES16_EEDaS11_S12_EUlS11_E_NS1_11comp_targetILNS1_3genE9ELNS1_11target_archE1100ELNS1_3gpuE3ELNS1_3repE0EEENS1_30default_config_static_selectorELNS0_4arch9wavefront6targetE1EEEvT1_.has_recursion, 0
	.set _ZN7rocprim17ROCPRIM_400000_NS6detail17trampoline_kernelINS0_14default_configENS1_25partition_config_selectorILNS1_17partition_subalgoE8ElNS0_10empty_typeEbEEZZNS1_14partition_implILS5_8ELb0ES3_jPKlPS6_PKS6_NS0_5tupleIJPlS6_EEENSE_IJSB_SB_EEENS0_18inequality_wrapperIN6hipcub16HIPCUB_304000_NS8EqualityEEESF_JS6_EEE10hipError_tPvRmT3_T4_T5_T6_T7_T9_mT8_P12ihipStream_tbDpT10_ENKUlT_T0_E_clISt17integral_constantIbLb0EES16_EEDaS11_S12_EUlS11_E_NS1_11comp_targetILNS1_3genE9ELNS1_11target_archE1100ELNS1_3gpuE3ELNS1_3repE0EEENS1_30default_config_static_selectorELNS0_4arch9wavefront6targetE1EEEvT1_.has_indirect_call, 0
	.section	.AMDGPU.csdata,"",@progbits
; Kernel info:
; codeLenInByte = 0
; TotalNumSgprs: 6
; NumVgprs: 0
; NumAgprs: 0
; TotalNumVgprs: 0
; ScratchSize: 0
; MemoryBound: 0
; FloatMode: 240
; IeeeMode: 1
; LDSByteSize: 0 bytes/workgroup (compile time only)
; SGPRBlocks: 0
; VGPRBlocks: 0
; NumSGPRsForWavesPerEU: 6
; NumVGPRsForWavesPerEU: 1
; AccumOffset: 4
; Occupancy: 8
; WaveLimiterHint : 0
; COMPUTE_PGM_RSRC2:SCRATCH_EN: 0
; COMPUTE_PGM_RSRC2:USER_SGPR: 2
; COMPUTE_PGM_RSRC2:TRAP_HANDLER: 0
; COMPUTE_PGM_RSRC2:TGID_X_EN: 1
; COMPUTE_PGM_RSRC2:TGID_Y_EN: 0
; COMPUTE_PGM_RSRC2:TGID_Z_EN: 0
; COMPUTE_PGM_RSRC2:TIDIG_COMP_CNT: 0
; COMPUTE_PGM_RSRC3_GFX90A:ACCUM_OFFSET: 0
; COMPUTE_PGM_RSRC3_GFX90A:TG_SPLIT: 0
	.section	.text._ZN7rocprim17ROCPRIM_400000_NS6detail17trampoline_kernelINS0_14default_configENS1_25partition_config_selectorILNS1_17partition_subalgoE8ElNS0_10empty_typeEbEEZZNS1_14partition_implILS5_8ELb0ES3_jPKlPS6_PKS6_NS0_5tupleIJPlS6_EEENSE_IJSB_SB_EEENS0_18inequality_wrapperIN6hipcub16HIPCUB_304000_NS8EqualityEEESF_JS6_EEE10hipError_tPvRmT3_T4_T5_T6_T7_T9_mT8_P12ihipStream_tbDpT10_ENKUlT_T0_E_clISt17integral_constantIbLb0EES16_EEDaS11_S12_EUlS11_E_NS1_11comp_targetILNS1_3genE8ELNS1_11target_archE1030ELNS1_3gpuE2ELNS1_3repE0EEENS1_30default_config_static_selectorELNS0_4arch9wavefront6targetE1EEEvT1_,"axG",@progbits,_ZN7rocprim17ROCPRIM_400000_NS6detail17trampoline_kernelINS0_14default_configENS1_25partition_config_selectorILNS1_17partition_subalgoE8ElNS0_10empty_typeEbEEZZNS1_14partition_implILS5_8ELb0ES3_jPKlPS6_PKS6_NS0_5tupleIJPlS6_EEENSE_IJSB_SB_EEENS0_18inequality_wrapperIN6hipcub16HIPCUB_304000_NS8EqualityEEESF_JS6_EEE10hipError_tPvRmT3_T4_T5_T6_T7_T9_mT8_P12ihipStream_tbDpT10_ENKUlT_T0_E_clISt17integral_constantIbLb0EES16_EEDaS11_S12_EUlS11_E_NS1_11comp_targetILNS1_3genE8ELNS1_11target_archE1030ELNS1_3gpuE2ELNS1_3repE0EEENS1_30default_config_static_selectorELNS0_4arch9wavefront6targetE1EEEvT1_,comdat
	.protected	_ZN7rocprim17ROCPRIM_400000_NS6detail17trampoline_kernelINS0_14default_configENS1_25partition_config_selectorILNS1_17partition_subalgoE8ElNS0_10empty_typeEbEEZZNS1_14partition_implILS5_8ELb0ES3_jPKlPS6_PKS6_NS0_5tupleIJPlS6_EEENSE_IJSB_SB_EEENS0_18inequality_wrapperIN6hipcub16HIPCUB_304000_NS8EqualityEEESF_JS6_EEE10hipError_tPvRmT3_T4_T5_T6_T7_T9_mT8_P12ihipStream_tbDpT10_ENKUlT_T0_E_clISt17integral_constantIbLb0EES16_EEDaS11_S12_EUlS11_E_NS1_11comp_targetILNS1_3genE8ELNS1_11target_archE1030ELNS1_3gpuE2ELNS1_3repE0EEENS1_30default_config_static_selectorELNS0_4arch9wavefront6targetE1EEEvT1_ ; -- Begin function _ZN7rocprim17ROCPRIM_400000_NS6detail17trampoline_kernelINS0_14default_configENS1_25partition_config_selectorILNS1_17partition_subalgoE8ElNS0_10empty_typeEbEEZZNS1_14partition_implILS5_8ELb0ES3_jPKlPS6_PKS6_NS0_5tupleIJPlS6_EEENSE_IJSB_SB_EEENS0_18inequality_wrapperIN6hipcub16HIPCUB_304000_NS8EqualityEEESF_JS6_EEE10hipError_tPvRmT3_T4_T5_T6_T7_T9_mT8_P12ihipStream_tbDpT10_ENKUlT_T0_E_clISt17integral_constantIbLb0EES16_EEDaS11_S12_EUlS11_E_NS1_11comp_targetILNS1_3genE8ELNS1_11target_archE1030ELNS1_3gpuE2ELNS1_3repE0EEENS1_30default_config_static_selectorELNS0_4arch9wavefront6targetE1EEEvT1_
	.globl	_ZN7rocprim17ROCPRIM_400000_NS6detail17trampoline_kernelINS0_14default_configENS1_25partition_config_selectorILNS1_17partition_subalgoE8ElNS0_10empty_typeEbEEZZNS1_14partition_implILS5_8ELb0ES3_jPKlPS6_PKS6_NS0_5tupleIJPlS6_EEENSE_IJSB_SB_EEENS0_18inequality_wrapperIN6hipcub16HIPCUB_304000_NS8EqualityEEESF_JS6_EEE10hipError_tPvRmT3_T4_T5_T6_T7_T9_mT8_P12ihipStream_tbDpT10_ENKUlT_T0_E_clISt17integral_constantIbLb0EES16_EEDaS11_S12_EUlS11_E_NS1_11comp_targetILNS1_3genE8ELNS1_11target_archE1030ELNS1_3gpuE2ELNS1_3repE0EEENS1_30default_config_static_selectorELNS0_4arch9wavefront6targetE1EEEvT1_
	.p2align	8
	.type	_ZN7rocprim17ROCPRIM_400000_NS6detail17trampoline_kernelINS0_14default_configENS1_25partition_config_selectorILNS1_17partition_subalgoE8ElNS0_10empty_typeEbEEZZNS1_14partition_implILS5_8ELb0ES3_jPKlPS6_PKS6_NS0_5tupleIJPlS6_EEENSE_IJSB_SB_EEENS0_18inequality_wrapperIN6hipcub16HIPCUB_304000_NS8EqualityEEESF_JS6_EEE10hipError_tPvRmT3_T4_T5_T6_T7_T9_mT8_P12ihipStream_tbDpT10_ENKUlT_T0_E_clISt17integral_constantIbLb0EES16_EEDaS11_S12_EUlS11_E_NS1_11comp_targetILNS1_3genE8ELNS1_11target_archE1030ELNS1_3gpuE2ELNS1_3repE0EEENS1_30default_config_static_selectorELNS0_4arch9wavefront6targetE1EEEvT1_,@function
_ZN7rocprim17ROCPRIM_400000_NS6detail17trampoline_kernelINS0_14default_configENS1_25partition_config_selectorILNS1_17partition_subalgoE8ElNS0_10empty_typeEbEEZZNS1_14partition_implILS5_8ELb0ES3_jPKlPS6_PKS6_NS0_5tupleIJPlS6_EEENSE_IJSB_SB_EEENS0_18inequality_wrapperIN6hipcub16HIPCUB_304000_NS8EqualityEEESF_JS6_EEE10hipError_tPvRmT3_T4_T5_T6_T7_T9_mT8_P12ihipStream_tbDpT10_ENKUlT_T0_E_clISt17integral_constantIbLb0EES16_EEDaS11_S12_EUlS11_E_NS1_11comp_targetILNS1_3genE8ELNS1_11target_archE1030ELNS1_3gpuE2ELNS1_3repE0EEENS1_30default_config_static_selectorELNS0_4arch9wavefront6targetE1EEEvT1_: ; @_ZN7rocprim17ROCPRIM_400000_NS6detail17trampoline_kernelINS0_14default_configENS1_25partition_config_selectorILNS1_17partition_subalgoE8ElNS0_10empty_typeEbEEZZNS1_14partition_implILS5_8ELb0ES3_jPKlPS6_PKS6_NS0_5tupleIJPlS6_EEENSE_IJSB_SB_EEENS0_18inequality_wrapperIN6hipcub16HIPCUB_304000_NS8EqualityEEESF_JS6_EEE10hipError_tPvRmT3_T4_T5_T6_T7_T9_mT8_P12ihipStream_tbDpT10_ENKUlT_T0_E_clISt17integral_constantIbLb0EES16_EEDaS11_S12_EUlS11_E_NS1_11comp_targetILNS1_3genE8ELNS1_11target_archE1030ELNS1_3gpuE2ELNS1_3repE0EEENS1_30default_config_static_selectorELNS0_4arch9wavefront6targetE1EEEvT1_
; %bb.0:
	.section	.rodata,"a",@progbits
	.p2align	6, 0x0
	.amdhsa_kernel _ZN7rocprim17ROCPRIM_400000_NS6detail17trampoline_kernelINS0_14default_configENS1_25partition_config_selectorILNS1_17partition_subalgoE8ElNS0_10empty_typeEbEEZZNS1_14partition_implILS5_8ELb0ES3_jPKlPS6_PKS6_NS0_5tupleIJPlS6_EEENSE_IJSB_SB_EEENS0_18inequality_wrapperIN6hipcub16HIPCUB_304000_NS8EqualityEEESF_JS6_EEE10hipError_tPvRmT3_T4_T5_T6_T7_T9_mT8_P12ihipStream_tbDpT10_ENKUlT_T0_E_clISt17integral_constantIbLb0EES16_EEDaS11_S12_EUlS11_E_NS1_11comp_targetILNS1_3genE8ELNS1_11target_archE1030ELNS1_3gpuE2ELNS1_3repE0EEENS1_30default_config_static_selectorELNS0_4arch9wavefront6targetE1EEEvT1_
		.amdhsa_group_segment_fixed_size 0
		.amdhsa_private_segment_fixed_size 0
		.amdhsa_kernarg_size 112
		.amdhsa_user_sgpr_count 2
		.amdhsa_user_sgpr_dispatch_ptr 0
		.amdhsa_user_sgpr_queue_ptr 0
		.amdhsa_user_sgpr_kernarg_segment_ptr 1
		.amdhsa_user_sgpr_dispatch_id 0
		.amdhsa_user_sgpr_kernarg_preload_length 0
		.amdhsa_user_sgpr_kernarg_preload_offset 0
		.amdhsa_user_sgpr_private_segment_size 0
		.amdhsa_uses_dynamic_stack 0
		.amdhsa_enable_private_segment 0
		.amdhsa_system_sgpr_workgroup_id_x 1
		.amdhsa_system_sgpr_workgroup_id_y 0
		.amdhsa_system_sgpr_workgroup_id_z 0
		.amdhsa_system_sgpr_workgroup_info 0
		.amdhsa_system_vgpr_workitem_id 0
		.amdhsa_next_free_vgpr 1
		.amdhsa_next_free_sgpr 0
		.amdhsa_accum_offset 4
		.amdhsa_reserve_vcc 0
		.amdhsa_float_round_mode_32 0
		.amdhsa_float_round_mode_16_64 0
		.amdhsa_float_denorm_mode_32 3
		.amdhsa_float_denorm_mode_16_64 3
		.amdhsa_dx10_clamp 1
		.amdhsa_ieee_mode 1
		.amdhsa_fp16_overflow 0
		.amdhsa_tg_split 0
		.amdhsa_exception_fp_ieee_invalid_op 0
		.amdhsa_exception_fp_denorm_src 0
		.amdhsa_exception_fp_ieee_div_zero 0
		.amdhsa_exception_fp_ieee_overflow 0
		.amdhsa_exception_fp_ieee_underflow 0
		.amdhsa_exception_fp_ieee_inexact 0
		.amdhsa_exception_int_div_zero 0
	.end_amdhsa_kernel
	.section	.text._ZN7rocprim17ROCPRIM_400000_NS6detail17trampoline_kernelINS0_14default_configENS1_25partition_config_selectorILNS1_17partition_subalgoE8ElNS0_10empty_typeEbEEZZNS1_14partition_implILS5_8ELb0ES3_jPKlPS6_PKS6_NS0_5tupleIJPlS6_EEENSE_IJSB_SB_EEENS0_18inequality_wrapperIN6hipcub16HIPCUB_304000_NS8EqualityEEESF_JS6_EEE10hipError_tPvRmT3_T4_T5_T6_T7_T9_mT8_P12ihipStream_tbDpT10_ENKUlT_T0_E_clISt17integral_constantIbLb0EES16_EEDaS11_S12_EUlS11_E_NS1_11comp_targetILNS1_3genE8ELNS1_11target_archE1030ELNS1_3gpuE2ELNS1_3repE0EEENS1_30default_config_static_selectorELNS0_4arch9wavefront6targetE1EEEvT1_,"axG",@progbits,_ZN7rocprim17ROCPRIM_400000_NS6detail17trampoline_kernelINS0_14default_configENS1_25partition_config_selectorILNS1_17partition_subalgoE8ElNS0_10empty_typeEbEEZZNS1_14partition_implILS5_8ELb0ES3_jPKlPS6_PKS6_NS0_5tupleIJPlS6_EEENSE_IJSB_SB_EEENS0_18inequality_wrapperIN6hipcub16HIPCUB_304000_NS8EqualityEEESF_JS6_EEE10hipError_tPvRmT3_T4_T5_T6_T7_T9_mT8_P12ihipStream_tbDpT10_ENKUlT_T0_E_clISt17integral_constantIbLb0EES16_EEDaS11_S12_EUlS11_E_NS1_11comp_targetILNS1_3genE8ELNS1_11target_archE1030ELNS1_3gpuE2ELNS1_3repE0EEENS1_30default_config_static_selectorELNS0_4arch9wavefront6targetE1EEEvT1_,comdat
.Lfunc_end233:
	.size	_ZN7rocprim17ROCPRIM_400000_NS6detail17trampoline_kernelINS0_14default_configENS1_25partition_config_selectorILNS1_17partition_subalgoE8ElNS0_10empty_typeEbEEZZNS1_14partition_implILS5_8ELb0ES3_jPKlPS6_PKS6_NS0_5tupleIJPlS6_EEENSE_IJSB_SB_EEENS0_18inequality_wrapperIN6hipcub16HIPCUB_304000_NS8EqualityEEESF_JS6_EEE10hipError_tPvRmT3_T4_T5_T6_T7_T9_mT8_P12ihipStream_tbDpT10_ENKUlT_T0_E_clISt17integral_constantIbLb0EES16_EEDaS11_S12_EUlS11_E_NS1_11comp_targetILNS1_3genE8ELNS1_11target_archE1030ELNS1_3gpuE2ELNS1_3repE0EEENS1_30default_config_static_selectorELNS0_4arch9wavefront6targetE1EEEvT1_, .Lfunc_end233-_ZN7rocprim17ROCPRIM_400000_NS6detail17trampoline_kernelINS0_14default_configENS1_25partition_config_selectorILNS1_17partition_subalgoE8ElNS0_10empty_typeEbEEZZNS1_14partition_implILS5_8ELb0ES3_jPKlPS6_PKS6_NS0_5tupleIJPlS6_EEENSE_IJSB_SB_EEENS0_18inequality_wrapperIN6hipcub16HIPCUB_304000_NS8EqualityEEESF_JS6_EEE10hipError_tPvRmT3_T4_T5_T6_T7_T9_mT8_P12ihipStream_tbDpT10_ENKUlT_T0_E_clISt17integral_constantIbLb0EES16_EEDaS11_S12_EUlS11_E_NS1_11comp_targetILNS1_3genE8ELNS1_11target_archE1030ELNS1_3gpuE2ELNS1_3repE0EEENS1_30default_config_static_selectorELNS0_4arch9wavefront6targetE1EEEvT1_
                                        ; -- End function
	.set _ZN7rocprim17ROCPRIM_400000_NS6detail17trampoline_kernelINS0_14default_configENS1_25partition_config_selectorILNS1_17partition_subalgoE8ElNS0_10empty_typeEbEEZZNS1_14partition_implILS5_8ELb0ES3_jPKlPS6_PKS6_NS0_5tupleIJPlS6_EEENSE_IJSB_SB_EEENS0_18inequality_wrapperIN6hipcub16HIPCUB_304000_NS8EqualityEEESF_JS6_EEE10hipError_tPvRmT3_T4_T5_T6_T7_T9_mT8_P12ihipStream_tbDpT10_ENKUlT_T0_E_clISt17integral_constantIbLb0EES16_EEDaS11_S12_EUlS11_E_NS1_11comp_targetILNS1_3genE8ELNS1_11target_archE1030ELNS1_3gpuE2ELNS1_3repE0EEENS1_30default_config_static_selectorELNS0_4arch9wavefront6targetE1EEEvT1_.num_vgpr, 0
	.set _ZN7rocprim17ROCPRIM_400000_NS6detail17trampoline_kernelINS0_14default_configENS1_25partition_config_selectorILNS1_17partition_subalgoE8ElNS0_10empty_typeEbEEZZNS1_14partition_implILS5_8ELb0ES3_jPKlPS6_PKS6_NS0_5tupleIJPlS6_EEENSE_IJSB_SB_EEENS0_18inequality_wrapperIN6hipcub16HIPCUB_304000_NS8EqualityEEESF_JS6_EEE10hipError_tPvRmT3_T4_T5_T6_T7_T9_mT8_P12ihipStream_tbDpT10_ENKUlT_T0_E_clISt17integral_constantIbLb0EES16_EEDaS11_S12_EUlS11_E_NS1_11comp_targetILNS1_3genE8ELNS1_11target_archE1030ELNS1_3gpuE2ELNS1_3repE0EEENS1_30default_config_static_selectorELNS0_4arch9wavefront6targetE1EEEvT1_.num_agpr, 0
	.set _ZN7rocprim17ROCPRIM_400000_NS6detail17trampoline_kernelINS0_14default_configENS1_25partition_config_selectorILNS1_17partition_subalgoE8ElNS0_10empty_typeEbEEZZNS1_14partition_implILS5_8ELb0ES3_jPKlPS6_PKS6_NS0_5tupleIJPlS6_EEENSE_IJSB_SB_EEENS0_18inequality_wrapperIN6hipcub16HIPCUB_304000_NS8EqualityEEESF_JS6_EEE10hipError_tPvRmT3_T4_T5_T6_T7_T9_mT8_P12ihipStream_tbDpT10_ENKUlT_T0_E_clISt17integral_constantIbLb0EES16_EEDaS11_S12_EUlS11_E_NS1_11comp_targetILNS1_3genE8ELNS1_11target_archE1030ELNS1_3gpuE2ELNS1_3repE0EEENS1_30default_config_static_selectorELNS0_4arch9wavefront6targetE1EEEvT1_.numbered_sgpr, 0
	.set _ZN7rocprim17ROCPRIM_400000_NS6detail17trampoline_kernelINS0_14default_configENS1_25partition_config_selectorILNS1_17partition_subalgoE8ElNS0_10empty_typeEbEEZZNS1_14partition_implILS5_8ELb0ES3_jPKlPS6_PKS6_NS0_5tupleIJPlS6_EEENSE_IJSB_SB_EEENS0_18inequality_wrapperIN6hipcub16HIPCUB_304000_NS8EqualityEEESF_JS6_EEE10hipError_tPvRmT3_T4_T5_T6_T7_T9_mT8_P12ihipStream_tbDpT10_ENKUlT_T0_E_clISt17integral_constantIbLb0EES16_EEDaS11_S12_EUlS11_E_NS1_11comp_targetILNS1_3genE8ELNS1_11target_archE1030ELNS1_3gpuE2ELNS1_3repE0EEENS1_30default_config_static_selectorELNS0_4arch9wavefront6targetE1EEEvT1_.num_named_barrier, 0
	.set _ZN7rocprim17ROCPRIM_400000_NS6detail17trampoline_kernelINS0_14default_configENS1_25partition_config_selectorILNS1_17partition_subalgoE8ElNS0_10empty_typeEbEEZZNS1_14partition_implILS5_8ELb0ES3_jPKlPS6_PKS6_NS0_5tupleIJPlS6_EEENSE_IJSB_SB_EEENS0_18inequality_wrapperIN6hipcub16HIPCUB_304000_NS8EqualityEEESF_JS6_EEE10hipError_tPvRmT3_T4_T5_T6_T7_T9_mT8_P12ihipStream_tbDpT10_ENKUlT_T0_E_clISt17integral_constantIbLb0EES16_EEDaS11_S12_EUlS11_E_NS1_11comp_targetILNS1_3genE8ELNS1_11target_archE1030ELNS1_3gpuE2ELNS1_3repE0EEENS1_30default_config_static_selectorELNS0_4arch9wavefront6targetE1EEEvT1_.private_seg_size, 0
	.set _ZN7rocprim17ROCPRIM_400000_NS6detail17trampoline_kernelINS0_14default_configENS1_25partition_config_selectorILNS1_17partition_subalgoE8ElNS0_10empty_typeEbEEZZNS1_14partition_implILS5_8ELb0ES3_jPKlPS6_PKS6_NS0_5tupleIJPlS6_EEENSE_IJSB_SB_EEENS0_18inequality_wrapperIN6hipcub16HIPCUB_304000_NS8EqualityEEESF_JS6_EEE10hipError_tPvRmT3_T4_T5_T6_T7_T9_mT8_P12ihipStream_tbDpT10_ENKUlT_T0_E_clISt17integral_constantIbLb0EES16_EEDaS11_S12_EUlS11_E_NS1_11comp_targetILNS1_3genE8ELNS1_11target_archE1030ELNS1_3gpuE2ELNS1_3repE0EEENS1_30default_config_static_selectorELNS0_4arch9wavefront6targetE1EEEvT1_.uses_vcc, 0
	.set _ZN7rocprim17ROCPRIM_400000_NS6detail17trampoline_kernelINS0_14default_configENS1_25partition_config_selectorILNS1_17partition_subalgoE8ElNS0_10empty_typeEbEEZZNS1_14partition_implILS5_8ELb0ES3_jPKlPS6_PKS6_NS0_5tupleIJPlS6_EEENSE_IJSB_SB_EEENS0_18inequality_wrapperIN6hipcub16HIPCUB_304000_NS8EqualityEEESF_JS6_EEE10hipError_tPvRmT3_T4_T5_T6_T7_T9_mT8_P12ihipStream_tbDpT10_ENKUlT_T0_E_clISt17integral_constantIbLb0EES16_EEDaS11_S12_EUlS11_E_NS1_11comp_targetILNS1_3genE8ELNS1_11target_archE1030ELNS1_3gpuE2ELNS1_3repE0EEENS1_30default_config_static_selectorELNS0_4arch9wavefront6targetE1EEEvT1_.uses_flat_scratch, 0
	.set _ZN7rocprim17ROCPRIM_400000_NS6detail17trampoline_kernelINS0_14default_configENS1_25partition_config_selectorILNS1_17partition_subalgoE8ElNS0_10empty_typeEbEEZZNS1_14partition_implILS5_8ELb0ES3_jPKlPS6_PKS6_NS0_5tupleIJPlS6_EEENSE_IJSB_SB_EEENS0_18inequality_wrapperIN6hipcub16HIPCUB_304000_NS8EqualityEEESF_JS6_EEE10hipError_tPvRmT3_T4_T5_T6_T7_T9_mT8_P12ihipStream_tbDpT10_ENKUlT_T0_E_clISt17integral_constantIbLb0EES16_EEDaS11_S12_EUlS11_E_NS1_11comp_targetILNS1_3genE8ELNS1_11target_archE1030ELNS1_3gpuE2ELNS1_3repE0EEENS1_30default_config_static_selectorELNS0_4arch9wavefront6targetE1EEEvT1_.has_dyn_sized_stack, 0
	.set _ZN7rocprim17ROCPRIM_400000_NS6detail17trampoline_kernelINS0_14default_configENS1_25partition_config_selectorILNS1_17partition_subalgoE8ElNS0_10empty_typeEbEEZZNS1_14partition_implILS5_8ELb0ES3_jPKlPS6_PKS6_NS0_5tupleIJPlS6_EEENSE_IJSB_SB_EEENS0_18inequality_wrapperIN6hipcub16HIPCUB_304000_NS8EqualityEEESF_JS6_EEE10hipError_tPvRmT3_T4_T5_T6_T7_T9_mT8_P12ihipStream_tbDpT10_ENKUlT_T0_E_clISt17integral_constantIbLb0EES16_EEDaS11_S12_EUlS11_E_NS1_11comp_targetILNS1_3genE8ELNS1_11target_archE1030ELNS1_3gpuE2ELNS1_3repE0EEENS1_30default_config_static_selectorELNS0_4arch9wavefront6targetE1EEEvT1_.has_recursion, 0
	.set _ZN7rocprim17ROCPRIM_400000_NS6detail17trampoline_kernelINS0_14default_configENS1_25partition_config_selectorILNS1_17partition_subalgoE8ElNS0_10empty_typeEbEEZZNS1_14partition_implILS5_8ELb0ES3_jPKlPS6_PKS6_NS0_5tupleIJPlS6_EEENSE_IJSB_SB_EEENS0_18inequality_wrapperIN6hipcub16HIPCUB_304000_NS8EqualityEEESF_JS6_EEE10hipError_tPvRmT3_T4_T5_T6_T7_T9_mT8_P12ihipStream_tbDpT10_ENKUlT_T0_E_clISt17integral_constantIbLb0EES16_EEDaS11_S12_EUlS11_E_NS1_11comp_targetILNS1_3genE8ELNS1_11target_archE1030ELNS1_3gpuE2ELNS1_3repE0EEENS1_30default_config_static_selectorELNS0_4arch9wavefront6targetE1EEEvT1_.has_indirect_call, 0
	.section	.AMDGPU.csdata,"",@progbits
; Kernel info:
; codeLenInByte = 0
; TotalNumSgprs: 6
; NumVgprs: 0
; NumAgprs: 0
; TotalNumVgprs: 0
; ScratchSize: 0
; MemoryBound: 0
; FloatMode: 240
; IeeeMode: 1
; LDSByteSize: 0 bytes/workgroup (compile time only)
; SGPRBlocks: 0
; VGPRBlocks: 0
; NumSGPRsForWavesPerEU: 6
; NumVGPRsForWavesPerEU: 1
; AccumOffset: 4
; Occupancy: 8
; WaveLimiterHint : 0
; COMPUTE_PGM_RSRC2:SCRATCH_EN: 0
; COMPUTE_PGM_RSRC2:USER_SGPR: 2
; COMPUTE_PGM_RSRC2:TRAP_HANDLER: 0
; COMPUTE_PGM_RSRC2:TGID_X_EN: 1
; COMPUTE_PGM_RSRC2:TGID_Y_EN: 0
; COMPUTE_PGM_RSRC2:TGID_Z_EN: 0
; COMPUTE_PGM_RSRC2:TIDIG_COMP_CNT: 0
; COMPUTE_PGM_RSRC3_GFX90A:ACCUM_OFFSET: 0
; COMPUTE_PGM_RSRC3_GFX90A:TG_SPLIT: 0
	.section	.text._ZN7rocprim17ROCPRIM_400000_NS6detail17trampoline_kernelINS0_14default_configENS1_25partition_config_selectorILNS1_17partition_subalgoE8ElNS0_10empty_typeEbEEZZNS1_14partition_implILS5_8ELb0ES3_jPKlPS6_PKS6_NS0_5tupleIJPlS6_EEENSE_IJSB_SB_EEENS0_18inequality_wrapperIN6hipcub16HIPCUB_304000_NS8EqualityEEESF_JS6_EEE10hipError_tPvRmT3_T4_T5_T6_T7_T9_mT8_P12ihipStream_tbDpT10_ENKUlT_T0_E_clISt17integral_constantIbLb1EES16_EEDaS11_S12_EUlS11_E_NS1_11comp_targetILNS1_3genE0ELNS1_11target_archE4294967295ELNS1_3gpuE0ELNS1_3repE0EEENS1_30default_config_static_selectorELNS0_4arch9wavefront6targetE1EEEvT1_,"axG",@progbits,_ZN7rocprim17ROCPRIM_400000_NS6detail17trampoline_kernelINS0_14default_configENS1_25partition_config_selectorILNS1_17partition_subalgoE8ElNS0_10empty_typeEbEEZZNS1_14partition_implILS5_8ELb0ES3_jPKlPS6_PKS6_NS0_5tupleIJPlS6_EEENSE_IJSB_SB_EEENS0_18inequality_wrapperIN6hipcub16HIPCUB_304000_NS8EqualityEEESF_JS6_EEE10hipError_tPvRmT3_T4_T5_T6_T7_T9_mT8_P12ihipStream_tbDpT10_ENKUlT_T0_E_clISt17integral_constantIbLb1EES16_EEDaS11_S12_EUlS11_E_NS1_11comp_targetILNS1_3genE0ELNS1_11target_archE4294967295ELNS1_3gpuE0ELNS1_3repE0EEENS1_30default_config_static_selectorELNS0_4arch9wavefront6targetE1EEEvT1_,comdat
	.protected	_ZN7rocprim17ROCPRIM_400000_NS6detail17trampoline_kernelINS0_14default_configENS1_25partition_config_selectorILNS1_17partition_subalgoE8ElNS0_10empty_typeEbEEZZNS1_14partition_implILS5_8ELb0ES3_jPKlPS6_PKS6_NS0_5tupleIJPlS6_EEENSE_IJSB_SB_EEENS0_18inequality_wrapperIN6hipcub16HIPCUB_304000_NS8EqualityEEESF_JS6_EEE10hipError_tPvRmT3_T4_T5_T6_T7_T9_mT8_P12ihipStream_tbDpT10_ENKUlT_T0_E_clISt17integral_constantIbLb1EES16_EEDaS11_S12_EUlS11_E_NS1_11comp_targetILNS1_3genE0ELNS1_11target_archE4294967295ELNS1_3gpuE0ELNS1_3repE0EEENS1_30default_config_static_selectorELNS0_4arch9wavefront6targetE1EEEvT1_ ; -- Begin function _ZN7rocprim17ROCPRIM_400000_NS6detail17trampoline_kernelINS0_14default_configENS1_25partition_config_selectorILNS1_17partition_subalgoE8ElNS0_10empty_typeEbEEZZNS1_14partition_implILS5_8ELb0ES3_jPKlPS6_PKS6_NS0_5tupleIJPlS6_EEENSE_IJSB_SB_EEENS0_18inequality_wrapperIN6hipcub16HIPCUB_304000_NS8EqualityEEESF_JS6_EEE10hipError_tPvRmT3_T4_T5_T6_T7_T9_mT8_P12ihipStream_tbDpT10_ENKUlT_T0_E_clISt17integral_constantIbLb1EES16_EEDaS11_S12_EUlS11_E_NS1_11comp_targetILNS1_3genE0ELNS1_11target_archE4294967295ELNS1_3gpuE0ELNS1_3repE0EEENS1_30default_config_static_selectorELNS0_4arch9wavefront6targetE1EEEvT1_
	.globl	_ZN7rocprim17ROCPRIM_400000_NS6detail17trampoline_kernelINS0_14default_configENS1_25partition_config_selectorILNS1_17partition_subalgoE8ElNS0_10empty_typeEbEEZZNS1_14partition_implILS5_8ELb0ES3_jPKlPS6_PKS6_NS0_5tupleIJPlS6_EEENSE_IJSB_SB_EEENS0_18inequality_wrapperIN6hipcub16HIPCUB_304000_NS8EqualityEEESF_JS6_EEE10hipError_tPvRmT3_T4_T5_T6_T7_T9_mT8_P12ihipStream_tbDpT10_ENKUlT_T0_E_clISt17integral_constantIbLb1EES16_EEDaS11_S12_EUlS11_E_NS1_11comp_targetILNS1_3genE0ELNS1_11target_archE4294967295ELNS1_3gpuE0ELNS1_3repE0EEENS1_30default_config_static_selectorELNS0_4arch9wavefront6targetE1EEEvT1_
	.p2align	8
	.type	_ZN7rocprim17ROCPRIM_400000_NS6detail17trampoline_kernelINS0_14default_configENS1_25partition_config_selectorILNS1_17partition_subalgoE8ElNS0_10empty_typeEbEEZZNS1_14partition_implILS5_8ELb0ES3_jPKlPS6_PKS6_NS0_5tupleIJPlS6_EEENSE_IJSB_SB_EEENS0_18inequality_wrapperIN6hipcub16HIPCUB_304000_NS8EqualityEEESF_JS6_EEE10hipError_tPvRmT3_T4_T5_T6_T7_T9_mT8_P12ihipStream_tbDpT10_ENKUlT_T0_E_clISt17integral_constantIbLb1EES16_EEDaS11_S12_EUlS11_E_NS1_11comp_targetILNS1_3genE0ELNS1_11target_archE4294967295ELNS1_3gpuE0ELNS1_3repE0EEENS1_30default_config_static_selectorELNS0_4arch9wavefront6targetE1EEEvT1_,@function
_ZN7rocprim17ROCPRIM_400000_NS6detail17trampoline_kernelINS0_14default_configENS1_25partition_config_selectorILNS1_17partition_subalgoE8ElNS0_10empty_typeEbEEZZNS1_14partition_implILS5_8ELb0ES3_jPKlPS6_PKS6_NS0_5tupleIJPlS6_EEENSE_IJSB_SB_EEENS0_18inequality_wrapperIN6hipcub16HIPCUB_304000_NS8EqualityEEESF_JS6_EEE10hipError_tPvRmT3_T4_T5_T6_T7_T9_mT8_P12ihipStream_tbDpT10_ENKUlT_T0_E_clISt17integral_constantIbLb1EES16_EEDaS11_S12_EUlS11_E_NS1_11comp_targetILNS1_3genE0ELNS1_11target_archE4294967295ELNS1_3gpuE0ELNS1_3repE0EEENS1_30default_config_static_selectorELNS0_4arch9wavefront6targetE1EEEvT1_: ; @_ZN7rocprim17ROCPRIM_400000_NS6detail17trampoline_kernelINS0_14default_configENS1_25partition_config_selectorILNS1_17partition_subalgoE8ElNS0_10empty_typeEbEEZZNS1_14partition_implILS5_8ELb0ES3_jPKlPS6_PKS6_NS0_5tupleIJPlS6_EEENSE_IJSB_SB_EEENS0_18inequality_wrapperIN6hipcub16HIPCUB_304000_NS8EqualityEEESF_JS6_EEE10hipError_tPvRmT3_T4_T5_T6_T7_T9_mT8_P12ihipStream_tbDpT10_ENKUlT_T0_E_clISt17integral_constantIbLb1EES16_EEDaS11_S12_EUlS11_E_NS1_11comp_targetILNS1_3genE0ELNS1_11target_archE4294967295ELNS1_3gpuE0ELNS1_3repE0EEENS1_30default_config_static_selectorELNS0_4arch9wavefront6targetE1EEEvT1_
; %bb.0:
	s_endpgm
	.section	.rodata,"a",@progbits
	.p2align	6, 0x0
	.amdhsa_kernel _ZN7rocprim17ROCPRIM_400000_NS6detail17trampoline_kernelINS0_14default_configENS1_25partition_config_selectorILNS1_17partition_subalgoE8ElNS0_10empty_typeEbEEZZNS1_14partition_implILS5_8ELb0ES3_jPKlPS6_PKS6_NS0_5tupleIJPlS6_EEENSE_IJSB_SB_EEENS0_18inequality_wrapperIN6hipcub16HIPCUB_304000_NS8EqualityEEESF_JS6_EEE10hipError_tPvRmT3_T4_T5_T6_T7_T9_mT8_P12ihipStream_tbDpT10_ENKUlT_T0_E_clISt17integral_constantIbLb1EES16_EEDaS11_S12_EUlS11_E_NS1_11comp_targetILNS1_3genE0ELNS1_11target_archE4294967295ELNS1_3gpuE0ELNS1_3repE0EEENS1_30default_config_static_selectorELNS0_4arch9wavefront6targetE1EEEvT1_
		.amdhsa_group_segment_fixed_size 0
		.amdhsa_private_segment_fixed_size 0
		.amdhsa_kernarg_size 128
		.amdhsa_user_sgpr_count 2
		.amdhsa_user_sgpr_dispatch_ptr 0
		.amdhsa_user_sgpr_queue_ptr 0
		.amdhsa_user_sgpr_kernarg_segment_ptr 1
		.amdhsa_user_sgpr_dispatch_id 0
		.amdhsa_user_sgpr_kernarg_preload_length 0
		.amdhsa_user_sgpr_kernarg_preload_offset 0
		.amdhsa_user_sgpr_private_segment_size 0
		.amdhsa_uses_dynamic_stack 0
		.amdhsa_enable_private_segment 0
		.amdhsa_system_sgpr_workgroup_id_x 1
		.amdhsa_system_sgpr_workgroup_id_y 0
		.amdhsa_system_sgpr_workgroup_id_z 0
		.amdhsa_system_sgpr_workgroup_info 0
		.amdhsa_system_vgpr_workitem_id 0
		.amdhsa_next_free_vgpr 1
		.amdhsa_next_free_sgpr 0
		.amdhsa_accum_offset 4
		.amdhsa_reserve_vcc 0
		.amdhsa_float_round_mode_32 0
		.amdhsa_float_round_mode_16_64 0
		.amdhsa_float_denorm_mode_32 3
		.amdhsa_float_denorm_mode_16_64 3
		.amdhsa_dx10_clamp 1
		.amdhsa_ieee_mode 1
		.amdhsa_fp16_overflow 0
		.amdhsa_tg_split 0
		.amdhsa_exception_fp_ieee_invalid_op 0
		.amdhsa_exception_fp_denorm_src 0
		.amdhsa_exception_fp_ieee_div_zero 0
		.amdhsa_exception_fp_ieee_overflow 0
		.amdhsa_exception_fp_ieee_underflow 0
		.amdhsa_exception_fp_ieee_inexact 0
		.amdhsa_exception_int_div_zero 0
	.end_amdhsa_kernel
	.section	.text._ZN7rocprim17ROCPRIM_400000_NS6detail17trampoline_kernelINS0_14default_configENS1_25partition_config_selectorILNS1_17partition_subalgoE8ElNS0_10empty_typeEbEEZZNS1_14partition_implILS5_8ELb0ES3_jPKlPS6_PKS6_NS0_5tupleIJPlS6_EEENSE_IJSB_SB_EEENS0_18inequality_wrapperIN6hipcub16HIPCUB_304000_NS8EqualityEEESF_JS6_EEE10hipError_tPvRmT3_T4_T5_T6_T7_T9_mT8_P12ihipStream_tbDpT10_ENKUlT_T0_E_clISt17integral_constantIbLb1EES16_EEDaS11_S12_EUlS11_E_NS1_11comp_targetILNS1_3genE0ELNS1_11target_archE4294967295ELNS1_3gpuE0ELNS1_3repE0EEENS1_30default_config_static_selectorELNS0_4arch9wavefront6targetE1EEEvT1_,"axG",@progbits,_ZN7rocprim17ROCPRIM_400000_NS6detail17trampoline_kernelINS0_14default_configENS1_25partition_config_selectorILNS1_17partition_subalgoE8ElNS0_10empty_typeEbEEZZNS1_14partition_implILS5_8ELb0ES3_jPKlPS6_PKS6_NS0_5tupleIJPlS6_EEENSE_IJSB_SB_EEENS0_18inequality_wrapperIN6hipcub16HIPCUB_304000_NS8EqualityEEESF_JS6_EEE10hipError_tPvRmT3_T4_T5_T6_T7_T9_mT8_P12ihipStream_tbDpT10_ENKUlT_T0_E_clISt17integral_constantIbLb1EES16_EEDaS11_S12_EUlS11_E_NS1_11comp_targetILNS1_3genE0ELNS1_11target_archE4294967295ELNS1_3gpuE0ELNS1_3repE0EEENS1_30default_config_static_selectorELNS0_4arch9wavefront6targetE1EEEvT1_,comdat
.Lfunc_end234:
	.size	_ZN7rocprim17ROCPRIM_400000_NS6detail17trampoline_kernelINS0_14default_configENS1_25partition_config_selectorILNS1_17partition_subalgoE8ElNS0_10empty_typeEbEEZZNS1_14partition_implILS5_8ELb0ES3_jPKlPS6_PKS6_NS0_5tupleIJPlS6_EEENSE_IJSB_SB_EEENS0_18inequality_wrapperIN6hipcub16HIPCUB_304000_NS8EqualityEEESF_JS6_EEE10hipError_tPvRmT3_T4_T5_T6_T7_T9_mT8_P12ihipStream_tbDpT10_ENKUlT_T0_E_clISt17integral_constantIbLb1EES16_EEDaS11_S12_EUlS11_E_NS1_11comp_targetILNS1_3genE0ELNS1_11target_archE4294967295ELNS1_3gpuE0ELNS1_3repE0EEENS1_30default_config_static_selectorELNS0_4arch9wavefront6targetE1EEEvT1_, .Lfunc_end234-_ZN7rocprim17ROCPRIM_400000_NS6detail17trampoline_kernelINS0_14default_configENS1_25partition_config_selectorILNS1_17partition_subalgoE8ElNS0_10empty_typeEbEEZZNS1_14partition_implILS5_8ELb0ES3_jPKlPS6_PKS6_NS0_5tupleIJPlS6_EEENSE_IJSB_SB_EEENS0_18inequality_wrapperIN6hipcub16HIPCUB_304000_NS8EqualityEEESF_JS6_EEE10hipError_tPvRmT3_T4_T5_T6_T7_T9_mT8_P12ihipStream_tbDpT10_ENKUlT_T0_E_clISt17integral_constantIbLb1EES16_EEDaS11_S12_EUlS11_E_NS1_11comp_targetILNS1_3genE0ELNS1_11target_archE4294967295ELNS1_3gpuE0ELNS1_3repE0EEENS1_30default_config_static_selectorELNS0_4arch9wavefront6targetE1EEEvT1_
                                        ; -- End function
	.set _ZN7rocprim17ROCPRIM_400000_NS6detail17trampoline_kernelINS0_14default_configENS1_25partition_config_selectorILNS1_17partition_subalgoE8ElNS0_10empty_typeEbEEZZNS1_14partition_implILS5_8ELb0ES3_jPKlPS6_PKS6_NS0_5tupleIJPlS6_EEENSE_IJSB_SB_EEENS0_18inequality_wrapperIN6hipcub16HIPCUB_304000_NS8EqualityEEESF_JS6_EEE10hipError_tPvRmT3_T4_T5_T6_T7_T9_mT8_P12ihipStream_tbDpT10_ENKUlT_T0_E_clISt17integral_constantIbLb1EES16_EEDaS11_S12_EUlS11_E_NS1_11comp_targetILNS1_3genE0ELNS1_11target_archE4294967295ELNS1_3gpuE0ELNS1_3repE0EEENS1_30default_config_static_selectorELNS0_4arch9wavefront6targetE1EEEvT1_.num_vgpr, 0
	.set _ZN7rocprim17ROCPRIM_400000_NS6detail17trampoline_kernelINS0_14default_configENS1_25partition_config_selectorILNS1_17partition_subalgoE8ElNS0_10empty_typeEbEEZZNS1_14partition_implILS5_8ELb0ES3_jPKlPS6_PKS6_NS0_5tupleIJPlS6_EEENSE_IJSB_SB_EEENS0_18inequality_wrapperIN6hipcub16HIPCUB_304000_NS8EqualityEEESF_JS6_EEE10hipError_tPvRmT3_T4_T5_T6_T7_T9_mT8_P12ihipStream_tbDpT10_ENKUlT_T0_E_clISt17integral_constantIbLb1EES16_EEDaS11_S12_EUlS11_E_NS1_11comp_targetILNS1_3genE0ELNS1_11target_archE4294967295ELNS1_3gpuE0ELNS1_3repE0EEENS1_30default_config_static_selectorELNS0_4arch9wavefront6targetE1EEEvT1_.num_agpr, 0
	.set _ZN7rocprim17ROCPRIM_400000_NS6detail17trampoline_kernelINS0_14default_configENS1_25partition_config_selectorILNS1_17partition_subalgoE8ElNS0_10empty_typeEbEEZZNS1_14partition_implILS5_8ELb0ES3_jPKlPS6_PKS6_NS0_5tupleIJPlS6_EEENSE_IJSB_SB_EEENS0_18inequality_wrapperIN6hipcub16HIPCUB_304000_NS8EqualityEEESF_JS6_EEE10hipError_tPvRmT3_T4_T5_T6_T7_T9_mT8_P12ihipStream_tbDpT10_ENKUlT_T0_E_clISt17integral_constantIbLb1EES16_EEDaS11_S12_EUlS11_E_NS1_11comp_targetILNS1_3genE0ELNS1_11target_archE4294967295ELNS1_3gpuE0ELNS1_3repE0EEENS1_30default_config_static_selectorELNS0_4arch9wavefront6targetE1EEEvT1_.numbered_sgpr, 0
	.set _ZN7rocprim17ROCPRIM_400000_NS6detail17trampoline_kernelINS0_14default_configENS1_25partition_config_selectorILNS1_17partition_subalgoE8ElNS0_10empty_typeEbEEZZNS1_14partition_implILS5_8ELb0ES3_jPKlPS6_PKS6_NS0_5tupleIJPlS6_EEENSE_IJSB_SB_EEENS0_18inequality_wrapperIN6hipcub16HIPCUB_304000_NS8EqualityEEESF_JS6_EEE10hipError_tPvRmT3_T4_T5_T6_T7_T9_mT8_P12ihipStream_tbDpT10_ENKUlT_T0_E_clISt17integral_constantIbLb1EES16_EEDaS11_S12_EUlS11_E_NS1_11comp_targetILNS1_3genE0ELNS1_11target_archE4294967295ELNS1_3gpuE0ELNS1_3repE0EEENS1_30default_config_static_selectorELNS0_4arch9wavefront6targetE1EEEvT1_.num_named_barrier, 0
	.set _ZN7rocprim17ROCPRIM_400000_NS6detail17trampoline_kernelINS0_14default_configENS1_25partition_config_selectorILNS1_17partition_subalgoE8ElNS0_10empty_typeEbEEZZNS1_14partition_implILS5_8ELb0ES3_jPKlPS6_PKS6_NS0_5tupleIJPlS6_EEENSE_IJSB_SB_EEENS0_18inequality_wrapperIN6hipcub16HIPCUB_304000_NS8EqualityEEESF_JS6_EEE10hipError_tPvRmT3_T4_T5_T6_T7_T9_mT8_P12ihipStream_tbDpT10_ENKUlT_T0_E_clISt17integral_constantIbLb1EES16_EEDaS11_S12_EUlS11_E_NS1_11comp_targetILNS1_3genE0ELNS1_11target_archE4294967295ELNS1_3gpuE0ELNS1_3repE0EEENS1_30default_config_static_selectorELNS0_4arch9wavefront6targetE1EEEvT1_.private_seg_size, 0
	.set _ZN7rocprim17ROCPRIM_400000_NS6detail17trampoline_kernelINS0_14default_configENS1_25partition_config_selectorILNS1_17partition_subalgoE8ElNS0_10empty_typeEbEEZZNS1_14partition_implILS5_8ELb0ES3_jPKlPS6_PKS6_NS0_5tupleIJPlS6_EEENSE_IJSB_SB_EEENS0_18inequality_wrapperIN6hipcub16HIPCUB_304000_NS8EqualityEEESF_JS6_EEE10hipError_tPvRmT3_T4_T5_T6_T7_T9_mT8_P12ihipStream_tbDpT10_ENKUlT_T0_E_clISt17integral_constantIbLb1EES16_EEDaS11_S12_EUlS11_E_NS1_11comp_targetILNS1_3genE0ELNS1_11target_archE4294967295ELNS1_3gpuE0ELNS1_3repE0EEENS1_30default_config_static_selectorELNS0_4arch9wavefront6targetE1EEEvT1_.uses_vcc, 0
	.set _ZN7rocprim17ROCPRIM_400000_NS6detail17trampoline_kernelINS0_14default_configENS1_25partition_config_selectorILNS1_17partition_subalgoE8ElNS0_10empty_typeEbEEZZNS1_14partition_implILS5_8ELb0ES3_jPKlPS6_PKS6_NS0_5tupleIJPlS6_EEENSE_IJSB_SB_EEENS0_18inequality_wrapperIN6hipcub16HIPCUB_304000_NS8EqualityEEESF_JS6_EEE10hipError_tPvRmT3_T4_T5_T6_T7_T9_mT8_P12ihipStream_tbDpT10_ENKUlT_T0_E_clISt17integral_constantIbLb1EES16_EEDaS11_S12_EUlS11_E_NS1_11comp_targetILNS1_3genE0ELNS1_11target_archE4294967295ELNS1_3gpuE0ELNS1_3repE0EEENS1_30default_config_static_selectorELNS0_4arch9wavefront6targetE1EEEvT1_.uses_flat_scratch, 0
	.set _ZN7rocprim17ROCPRIM_400000_NS6detail17trampoline_kernelINS0_14default_configENS1_25partition_config_selectorILNS1_17partition_subalgoE8ElNS0_10empty_typeEbEEZZNS1_14partition_implILS5_8ELb0ES3_jPKlPS6_PKS6_NS0_5tupleIJPlS6_EEENSE_IJSB_SB_EEENS0_18inequality_wrapperIN6hipcub16HIPCUB_304000_NS8EqualityEEESF_JS6_EEE10hipError_tPvRmT3_T4_T5_T6_T7_T9_mT8_P12ihipStream_tbDpT10_ENKUlT_T0_E_clISt17integral_constantIbLb1EES16_EEDaS11_S12_EUlS11_E_NS1_11comp_targetILNS1_3genE0ELNS1_11target_archE4294967295ELNS1_3gpuE0ELNS1_3repE0EEENS1_30default_config_static_selectorELNS0_4arch9wavefront6targetE1EEEvT1_.has_dyn_sized_stack, 0
	.set _ZN7rocprim17ROCPRIM_400000_NS6detail17trampoline_kernelINS0_14default_configENS1_25partition_config_selectorILNS1_17partition_subalgoE8ElNS0_10empty_typeEbEEZZNS1_14partition_implILS5_8ELb0ES3_jPKlPS6_PKS6_NS0_5tupleIJPlS6_EEENSE_IJSB_SB_EEENS0_18inequality_wrapperIN6hipcub16HIPCUB_304000_NS8EqualityEEESF_JS6_EEE10hipError_tPvRmT3_T4_T5_T6_T7_T9_mT8_P12ihipStream_tbDpT10_ENKUlT_T0_E_clISt17integral_constantIbLb1EES16_EEDaS11_S12_EUlS11_E_NS1_11comp_targetILNS1_3genE0ELNS1_11target_archE4294967295ELNS1_3gpuE0ELNS1_3repE0EEENS1_30default_config_static_selectorELNS0_4arch9wavefront6targetE1EEEvT1_.has_recursion, 0
	.set _ZN7rocprim17ROCPRIM_400000_NS6detail17trampoline_kernelINS0_14default_configENS1_25partition_config_selectorILNS1_17partition_subalgoE8ElNS0_10empty_typeEbEEZZNS1_14partition_implILS5_8ELb0ES3_jPKlPS6_PKS6_NS0_5tupleIJPlS6_EEENSE_IJSB_SB_EEENS0_18inequality_wrapperIN6hipcub16HIPCUB_304000_NS8EqualityEEESF_JS6_EEE10hipError_tPvRmT3_T4_T5_T6_T7_T9_mT8_P12ihipStream_tbDpT10_ENKUlT_T0_E_clISt17integral_constantIbLb1EES16_EEDaS11_S12_EUlS11_E_NS1_11comp_targetILNS1_3genE0ELNS1_11target_archE4294967295ELNS1_3gpuE0ELNS1_3repE0EEENS1_30default_config_static_selectorELNS0_4arch9wavefront6targetE1EEEvT1_.has_indirect_call, 0
	.section	.AMDGPU.csdata,"",@progbits
; Kernel info:
; codeLenInByte = 4
; TotalNumSgprs: 6
; NumVgprs: 0
; NumAgprs: 0
; TotalNumVgprs: 0
; ScratchSize: 0
; MemoryBound: 0
; FloatMode: 240
; IeeeMode: 1
; LDSByteSize: 0 bytes/workgroup (compile time only)
; SGPRBlocks: 0
; VGPRBlocks: 0
; NumSGPRsForWavesPerEU: 6
; NumVGPRsForWavesPerEU: 1
; AccumOffset: 4
; Occupancy: 8
; WaveLimiterHint : 0
; COMPUTE_PGM_RSRC2:SCRATCH_EN: 0
; COMPUTE_PGM_RSRC2:USER_SGPR: 2
; COMPUTE_PGM_RSRC2:TRAP_HANDLER: 0
; COMPUTE_PGM_RSRC2:TGID_X_EN: 1
; COMPUTE_PGM_RSRC2:TGID_Y_EN: 0
; COMPUTE_PGM_RSRC2:TGID_Z_EN: 0
; COMPUTE_PGM_RSRC2:TIDIG_COMP_CNT: 0
; COMPUTE_PGM_RSRC3_GFX90A:ACCUM_OFFSET: 0
; COMPUTE_PGM_RSRC3_GFX90A:TG_SPLIT: 0
	.section	.text._ZN7rocprim17ROCPRIM_400000_NS6detail17trampoline_kernelINS0_14default_configENS1_25partition_config_selectorILNS1_17partition_subalgoE8ElNS0_10empty_typeEbEEZZNS1_14partition_implILS5_8ELb0ES3_jPKlPS6_PKS6_NS0_5tupleIJPlS6_EEENSE_IJSB_SB_EEENS0_18inequality_wrapperIN6hipcub16HIPCUB_304000_NS8EqualityEEESF_JS6_EEE10hipError_tPvRmT3_T4_T5_T6_T7_T9_mT8_P12ihipStream_tbDpT10_ENKUlT_T0_E_clISt17integral_constantIbLb1EES16_EEDaS11_S12_EUlS11_E_NS1_11comp_targetILNS1_3genE5ELNS1_11target_archE942ELNS1_3gpuE9ELNS1_3repE0EEENS1_30default_config_static_selectorELNS0_4arch9wavefront6targetE1EEEvT1_,"axG",@progbits,_ZN7rocprim17ROCPRIM_400000_NS6detail17trampoline_kernelINS0_14default_configENS1_25partition_config_selectorILNS1_17partition_subalgoE8ElNS0_10empty_typeEbEEZZNS1_14partition_implILS5_8ELb0ES3_jPKlPS6_PKS6_NS0_5tupleIJPlS6_EEENSE_IJSB_SB_EEENS0_18inequality_wrapperIN6hipcub16HIPCUB_304000_NS8EqualityEEESF_JS6_EEE10hipError_tPvRmT3_T4_T5_T6_T7_T9_mT8_P12ihipStream_tbDpT10_ENKUlT_T0_E_clISt17integral_constantIbLb1EES16_EEDaS11_S12_EUlS11_E_NS1_11comp_targetILNS1_3genE5ELNS1_11target_archE942ELNS1_3gpuE9ELNS1_3repE0EEENS1_30default_config_static_selectorELNS0_4arch9wavefront6targetE1EEEvT1_,comdat
	.protected	_ZN7rocprim17ROCPRIM_400000_NS6detail17trampoline_kernelINS0_14default_configENS1_25partition_config_selectorILNS1_17partition_subalgoE8ElNS0_10empty_typeEbEEZZNS1_14partition_implILS5_8ELb0ES3_jPKlPS6_PKS6_NS0_5tupleIJPlS6_EEENSE_IJSB_SB_EEENS0_18inequality_wrapperIN6hipcub16HIPCUB_304000_NS8EqualityEEESF_JS6_EEE10hipError_tPvRmT3_T4_T5_T6_T7_T9_mT8_P12ihipStream_tbDpT10_ENKUlT_T0_E_clISt17integral_constantIbLb1EES16_EEDaS11_S12_EUlS11_E_NS1_11comp_targetILNS1_3genE5ELNS1_11target_archE942ELNS1_3gpuE9ELNS1_3repE0EEENS1_30default_config_static_selectorELNS0_4arch9wavefront6targetE1EEEvT1_ ; -- Begin function _ZN7rocprim17ROCPRIM_400000_NS6detail17trampoline_kernelINS0_14default_configENS1_25partition_config_selectorILNS1_17partition_subalgoE8ElNS0_10empty_typeEbEEZZNS1_14partition_implILS5_8ELb0ES3_jPKlPS6_PKS6_NS0_5tupleIJPlS6_EEENSE_IJSB_SB_EEENS0_18inequality_wrapperIN6hipcub16HIPCUB_304000_NS8EqualityEEESF_JS6_EEE10hipError_tPvRmT3_T4_T5_T6_T7_T9_mT8_P12ihipStream_tbDpT10_ENKUlT_T0_E_clISt17integral_constantIbLb1EES16_EEDaS11_S12_EUlS11_E_NS1_11comp_targetILNS1_3genE5ELNS1_11target_archE942ELNS1_3gpuE9ELNS1_3repE0EEENS1_30default_config_static_selectorELNS0_4arch9wavefront6targetE1EEEvT1_
	.globl	_ZN7rocprim17ROCPRIM_400000_NS6detail17trampoline_kernelINS0_14default_configENS1_25partition_config_selectorILNS1_17partition_subalgoE8ElNS0_10empty_typeEbEEZZNS1_14partition_implILS5_8ELb0ES3_jPKlPS6_PKS6_NS0_5tupleIJPlS6_EEENSE_IJSB_SB_EEENS0_18inequality_wrapperIN6hipcub16HIPCUB_304000_NS8EqualityEEESF_JS6_EEE10hipError_tPvRmT3_T4_T5_T6_T7_T9_mT8_P12ihipStream_tbDpT10_ENKUlT_T0_E_clISt17integral_constantIbLb1EES16_EEDaS11_S12_EUlS11_E_NS1_11comp_targetILNS1_3genE5ELNS1_11target_archE942ELNS1_3gpuE9ELNS1_3repE0EEENS1_30default_config_static_selectorELNS0_4arch9wavefront6targetE1EEEvT1_
	.p2align	8
	.type	_ZN7rocprim17ROCPRIM_400000_NS6detail17trampoline_kernelINS0_14default_configENS1_25partition_config_selectorILNS1_17partition_subalgoE8ElNS0_10empty_typeEbEEZZNS1_14partition_implILS5_8ELb0ES3_jPKlPS6_PKS6_NS0_5tupleIJPlS6_EEENSE_IJSB_SB_EEENS0_18inequality_wrapperIN6hipcub16HIPCUB_304000_NS8EqualityEEESF_JS6_EEE10hipError_tPvRmT3_T4_T5_T6_T7_T9_mT8_P12ihipStream_tbDpT10_ENKUlT_T0_E_clISt17integral_constantIbLb1EES16_EEDaS11_S12_EUlS11_E_NS1_11comp_targetILNS1_3genE5ELNS1_11target_archE942ELNS1_3gpuE9ELNS1_3repE0EEENS1_30default_config_static_selectorELNS0_4arch9wavefront6targetE1EEEvT1_,@function
_ZN7rocprim17ROCPRIM_400000_NS6detail17trampoline_kernelINS0_14default_configENS1_25partition_config_selectorILNS1_17partition_subalgoE8ElNS0_10empty_typeEbEEZZNS1_14partition_implILS5_8ELb0ES3_jPKlPS6_PKS6_NS0_5tupleIJPlS6_EEENSE_IJSB_SB_EEENS0_18inequality_wrapperIN6hipcub16HIPCUB_304000_NS8EqualityEEESF_JS6_EEE10hipError_tPvRmT3_T4_T5_T6_T7_T9_mT8_P12ihipStream_tbDpT10_ENKUlT_T0_E_clISt17integral_constantIbLb1EES16_EEDaS11_S12_EUlS11_E_NS1_11comp_targetILNS1_3genE5ELNS1_11target_archE942ELNS1_3gpuE9ELNS1_3repE0EEENS1_30default_config_static_selectorELNS0_4arch9wavefront6targetE1EEEvT1_: ; @_ZN7rocprim17ROCPRIM_400000_NS6detail17trampoline_kernelINS0_14default_configENS1_25partition_config_selectorILNS1_17partition_subalgoE8ElNS0_10empty_typeEbEEZZNS1_14partition_implILS5_8ELb0ES3_jPKlPS6_PKS6_NS0_5tupleIJPlS6_EEENSE_IJSB_SB_EEENS0_18inequality_wrapperIN6hipcub16HIPCUB_304000_NS8EqualityEEESF_JS6_EEE10hipError_tPvRmT3_T4_T5_T6_T7_T9_mT8_P12ihipStream_tbDpT10_ENKUlT_T0_E_clISt17integral_constantIbLb1EES16_EEDaS11_S12_EUlS11_E_NS1_11comp_targetILNS1_3genE5ELNS1_11target_archE942ELNS1_3gpuE9ELNS1_3repE0EEENS1_30default_config_static_selectorELNS0_4arch9wavefront6targetE1EEEvT1_
; %bb.0:
	.section	.rodata,"a",@progbits
	.p2align	6, 0x0
	.amdhsa_kernel _ZN7rocprim17ROCPRIM_400000_NS6detail17trampoline_kernelINS0_14default_configENS1_25partition_config_selectorILNS1_17partition_subalgoE8ElNS0_10empty_typeEbEEZZNS1_14partition_implILS5_8ELb0ES3_jPKlPS6_PKS6_NS0_5tupleIJPlS6_EEENSE_IJSB_SB_EEENS0_18inequality_wrapperIN6hipcub16HIPCUB_304000_NS8EqualityEEESF_JS6_EEE10hipError_tPvRmT3_T4_T5_T6_T7_T9_mT8_P12ihipStream_tbDpT10_ENKUlT_T0_E_clISt17integral_constantIbLb1EES16_EEDaS11_S12_EUlS11_E_NS1_11comp_targetILNS1_3genE5ELNS1_11target_archE942ELNS1_3gpuE9ELNS1_3repE0EEENS1_30default_config_static_selectorELNS0_4arch9wavefront6targetE1EEEvT1_
		.amdhsa_group_segment_fixed_size 0
		.amdhsa_private_segment_fixed_size 0
		.amdhsa_kernarg_size 128
		.amdhsa_user_sgpr_count 2
		.amdhsa_user_sgpr_dispatch_ptr 0
		.amdhsa_user_sgpr_queue_ptr 0
		.amdhsa_user_sgpr_kernarg_segment_ptr 1
		.amdhsa_user_sgpr_dispatch_id 0
		.amdhsa_user_sgpr_kernarg_preload_length 0
		.amdhsa_user_sgpr_kernarg_preload_offset 0
		.amdhsa_user_sgpr_private_segment_size 0
		.amdhsa_uses_dynamic_stack 0
		.amdhsa_enable_private_segment 0
		.amdhsa_system_sgpr_workgroup_id_x 1
		.amdhsa_system_sgpr_workgroup_id_y 0
		.amdhsa_system_sgpr_workgroup_id_z 0
		.amdhsa_system_sgpr_workgroup_info 0
		.amdhsa_system_vgpr_workitem_id 0
		.amdhsa_next_free_vgpr 1
		.amdhsa_next_free_sgpr 0
		.amdhsa_accum_offset 4
		.amdhsa_reserve_vcc 0
		.amdhsa_float_round_mode_32 0
		.amdhsa_float_round_mode_16_64 0
		.amdhsa_float_denorm_mode_32 3
		.amdhsa_float_denorm_mode_16_64 3
		.amdhsa_dx10_clamp 1
		.amdhsa_ieee_mode 1
		.amdhsa_fp16_overflow 0
		.amdhsa_tg_split 0
		.amdhsa_exception_fp_ieee_invalid_op 0
		.amdhsa_exception_fp_denorm_src 0
		.amdhsa_exception_fp_ieee_div_zero 0
		.amdhsa_exception_fp_ieee_overflow 0
		.amdhsa_exception_fp_ieee_underflow 0
		.amdhsa_exception_fp_ieee_inexact 0
		.amdhsa_exception_int_div_zero 0
	.end_amdhsa_kernel
	.section	.text._ZN7rocprim17ROCPRIM_400000_NS6detail17trampoline_kernelINS0_14default_configENS1_25partition_config_selectorILNS1_17partition_subalgoE8ElNS0_10empty_typeEbEEZZNS1_14partition_implILS5_8ELb0ES3_jPKlPS6_PKS6_NS0_5tupleIJPlS6_EEENSE_IJSB_SB_EEENS0_18inequality_wrapperIN6hipcub16HIPCUB_304000_NS8EqualityEEESF_JS6_EEE10hipError_tPvRmT3_T4_T5_T6_T7_T9_mT8_P12ihipStream_tbDpT10_ENKUlT_T0_E_clISt17integral_constantIbLb1EES16_EEDaS11_S12_EUlS11_E_NS1_11comp_targetILNS1_3genE5ELNS1_11target_archE942ELNS1_3gpuE9ELNS1_3repE0EEENS1_30default_config_static_selectorELNS0_4arch9wavefront6targetE1EEEvT1_,"axG",@progbits,_ZN7rocprim17ROCPRIM_400000_NS6detail17trampoline_kernelINS0_14default_configENS1_25partition_config_selectorILNS1_17partition_subalgoE8ElNS0_10empty_typeEbEEZZNS1_14partition_implILS5_8ELb0ES3_jPKlPS6_PKS6_NS0_5tupleIJPlS6_EEENSE_IJSB_SB_EEENS0_18inequality_wrapperIN6hipcub16HIPCUB_304000_NS8EqualityEEESF_JS6_EEE10hipError_tPvRmT3_T4_T5_T6_T7_T9_mT8_P12ihipStream_tbDpT10_ENKUlT_T0_E_clISt17integral_constantIbLb1EES16_EEDaS11_S12_EUlS11_E_NS1_11comp_targetILNS1_3genE5ELNS1_11target_archE942ELNS1_3gpuE9ELNS1_3repE0EEENS1_30default_config_static_selectorELNS0_4arch9wavefront6targetE1EEEvT1_,comdat
.Lfunc_end235:
	.size	_ZN7rocprim17ROCPRIM_400000_NS6detail17trampoline_kernelINS0_14default_configENS1_25partition_config_selectorILNS1_17partition_subalgoE8ElNS0_10empty_typeEbEEZZNS1_14partition_implILS5_8ELb0ES3_jPKlPS6_PKS6_NS0_5tupleIJPlS6_EEENSE_IJSB_SB_EEENS0_18inequality_wrapperIN6hipcub16HIPCUB_304000_NS8EqualityEEESF_JS6_EEE10hipError_tPvRmT3_T4_T5_T6_T7_T9_mT8_P12ihipStream_tbDpT10_ENKUlT_T0_E_clISt17integral_constantIbLb1EES16_EEDaS11_S12_EUlS11_E_NS1_11comp_targetILNS1_3genE5ELNS1_11target_archE942ELNS1_3gpuE9ELNS1_3repE0EEENS1_30default_config_static_selectorELNS0_4arch9wavefront6targetE1EEEvT1_, .Lfunc_end235-_ZN7rocprim17ROCPRIM_400000_NS6detail17trampoline_kernelINS0_14default_configENS1_25partition_config_selectorILNS1_17partition_subalgoE8ElNS0_10empty_typeEbEEZZNS1_14partition_implILS5_8ELb0ES3_jPKlPS6_PKS6_NS0_5tupleIJPlS6_EEENSE_IJSB_SB_EEENS0_18inequality_wrapperIN6hipcub16HIPCUB_304000_NS8EqualityEEESF_JS6_EEE10hipError_tPvRmT3_T4_T5_T6_T7_T9_mT8_P12ihipStream_tbDpT10_ENKUlT_T0_E_clISt17integral_constantIbLb1EES16_EEDaS11_S12_EUlS11_E_NS1_11comp_targetILNS1_3genE5ELNS1_11target_archE942ELNS1_3gpuE9ELNS1_3repE0EEENS1_30default_config_static_selectorELNS0_4arch9wavefront6targetE1EEEvT1_
                                        ; -- End function
	.set _ZN7rocprim17ROCPRIM_400000_NS6detail17trampoline_kernelINS0_14default_configENS1_25partition_config_selectorILNS1_17partition_subalgoE8ElNS0_10empty_typeEbEEZZNS1_14partition_implILS5_8ELb0ES3_jPKlPS6_PKS6_NS0_5tupleIJPlS6_EEENSE_IJSB_SB_EEENS0_18inequality_wrapperIN6hipcub16HIPCUB_304000_NS8EqualityEEESF_JS6_EEE10hipError_tPvRmT3_T4_T5_T6_T7_T9_mT8_P12ihipStream_tbDpT10_ENKUlT_T0_E_clISt17integral_constantIbLb1EES16_EEDaS11_S12_EUlS11_E_NS1_11comp_targetILNS1_3genE5ELNS1_11target_archE942ELNS1_3gpuE9ELNS1_3repE0EEENS1_30default_config_static_selectorELNS0_4arch9wavefront6targetE1EEEvT1_.num_vgpr, 0
	.set _ZN7rocprim17ROCPRIM_400000_NS6detail17trampoline_kernelINS0_14default_configENS1_25partition_config_selectorILNS1_17partition_subalgoE8ElNS0_10empty_typeEbEEZZNS1_14partition_implILS5_8ELb0ES3_jPKlPS6_PKS6_NS0_5tupleIJPlS6_EEENSE_IJSB_SB_EEENS0_18inequality_wrapperIN6hipcub16HIPCUB_304000_NS8EqualityEEESF_JS6_EEE10hipError_tPvRmT3_T4_T5_T6_T7_T9_mT8_P12ihipStream_tbDpT10_ENKUlT_T0_E_clISt17integral_constantIbLb1EES16_EEDaS11_S12_EUlS11_E_NS1_11comp_targetILNS1_3genE5ELNS1_11target_archE942ELNS1_3gpuE9ELNS1_3repE0EEENS1_30default_config_static_selectorELNS0_4arch9wavefront6targetE1EEEvT1_.num_agpr, 0
	.set _ZN7rocprim17ROCPRIM_400000_NS6detail17trampoline_kernelINS0_14default_configENS1_25partition_config_selectorILNS1_17partition_subalgoE8ElNS0_10empty_typeEbEEZZNS1_14partition_implILS5_8ELb0ES3_jPKlPS6_PKS6_NS0_5tupleIJPlS6_EEENSE_IJSB_SB_EEENS0_18inequality_wrapperIN6hipcub16HIPCUB_304000_NS8EqualityEEESF_JS6_EEE10hipError_tPvRmT3_T4_T5_T6_T7_T9_mT8_P12ihipStream_tbDpT10_ENKUlT_T0_E_clISt17integral_constantIbLb1EES16_EEDaS11_S12_EUlS11_E_NS1_11comp_targetILNS1_3genE5ELNS1_11target_archE942ELNS1_3gpuE9ELNS1_3repE0EEENS1_30default_config_static_selectorELNS0_4arch9wavefront6targetE1EEEvT1_.numbered_sgpr, 0
	.set _ZN7rocprim17ROCPRIM_400000_NS6detail17trampoline_kernelINS0_14default_configENS1_25partition_config_selectorILNS1_17partition_subalgoE8ElNS0_10empty_typeEbEEZZNS1_14partition_implILS5_8ELb0ES3_jPKlPS6_PKS6_NS0_5tupleIJPlS6_EEENSE_IJSB_SB_EEENS0_18inequality_wrapperIN6hipcub16HIPCUB_304000_NS8EqualityEEESF_JS6_EEE10hipError_tPvRmT3_T4_T5_T6_T7_T9_mT8_P12ihipStream_tbDpT10_ENKUlT_T0_E_clISt17integral_constantIbLb1EES16_EEDaS11_S12_EUlS11_E_NS1_11comp_targetILNS1_3genE5ELNS1_11target_archE942ELNS1_3gpuE9ELNS1_3repE0EEENS1_30default_config_static_selectorELNS0_4arch9wavefront6targetE1EEEvT1_.num_named_barrier, 0
	.set _ZN7rocprim17ROCPRIM_400000_NS6detail17trampoline_kernelINS0_14default_configENS1_25partition_config_selectorILNS1_17partition_subalgoE8ElNS0_10empty_typeEbEEZZNS1_14partition_implILS5_8ELb0ES3_jPKlPS6_PKS6_NS0_5tupleIJPlS6_EEENSE_IJSB_SB_EEENS0_18inequality_wrapperIN6hipcub16HIPCUB_304000_NS8EqualityEEESF_JS6_EEE10hipError_tPvRmT3_T4_T5_T6_T7_T9_mT8_P12ihipStream_tbDpT10_ENKUlT_T0_E_clISt17integral_constantIbLb1EES16_EEDaS11_S12_EUlS11_E_NS1_11comp_targetILNS1_3genE5ELNS1_11target_archE942ELNS1_3gpuE9ELNS1_3repE0EEENS1_30default_config_static_selectorELNS0_4arch9wavefront6targetE1EEEvT1_.private_seg_size, 0
	.set _ZN7rocprim17ROCPRIM_400000_NS6detail17trampoline_kernelINS0_14default_configENS1_25partition_config_selectorILNS1_17partition_subalgoE8ElNS0_10empty_typeEbEEZZNS1_14partition_implILS5_8ELb0ES3_jPKlPS6_PKS6_NS0_5tupleIJPlS6_EEENSE_IJSB_SB_EEENS0_18inequality_wrapperIN6hipcub16HIPCUB_304000_NS8EqualityEEESF_JS6_EEE10hipError_tPvRmT3_T4_T5_T6_T7_T9_mT8_P12ihipStream_tbDpT10_ENKUlT_T0_E_clISt17integral_constantIbLb1EES16_EEDaS11_S12_EUlS11_E_NS1_11comp_targetILNS1_3genE5ELNS1_11target_archE942ELNS1_3gpuE9ELNS1_3repE0EEENS1_30default_config_static_selectorELNS0_4arch9wavefront6targetE1EEEvT1_.uses_vcc, 0
	.set _ZN7rocprim17ROCPRIM_400000_NS6detail17trampoline_kernelINS0_14default_configENS1_25partition_config_selectorILNS1_17partition_subalgoE8ElNS0_10empty_typeEbEEZZNS1_14partition_implILS5_8ELb0ES3_jPKlPS6_PKS6_NS0_5tupleIJPlS6_EEENSE_IJSB_SB_EEENS0_18inequality_wrapperIN6hipcub16HIPCUB_304000_NS8EqualityEEESF_JS6_EEE10hipError_tPvRmT3_T4_T5_T6_T7_T9_mT8_P12ihipStream_tbDpT10_ENKUlT_T0_E_clISt17integral_constantIbLb1EES16_EEDaS11_S12_EUlS11_E_NS1_11comp_targetILNS1_3genE5ELNS1_11target_archE942ELNS1_3gpuE9ELNS1_3repE0EEENS1_30default_config_static_selectorELNS0_4arch9wavefront6targetE1EEEvT1_.uses_flat_scratch, 0
	.set _ZN7rocprim17ROCPRIM_400000_NS6detail17trampoline_kernelINS0_14default_configENS1_25partition_config_selectorILNS1_17partition_subalgoE8ElNS0_10empty_typeEbEEZZNS1_14partition_implILS5_8ELb0ES3_jPKlPS6_PKS6_NS0_5tupleIJPlS6_EEENSE_IJSB_SB_EEENS0_18inequality_wrapperIN6hipcub16HIPCUB_304000_NS8EqualityEEESF_JS6_EEE10hipError_tPvRmT3_T4_T5_T6_T7_T9_mT8_P12ihipStream_tbDpT10_ENKUlT_T0_E_clISt17integral_constantIbLb1EES16_EEDaS11_S12_EUlS11_E_NS1_11comp_targetILNS1_3genE5ELNS1_11target_archE942ELNS1_3gpuE9ELNS1_3repE0EEENS1_30default_config_static_selectorELNS0_4arch9wavefront6targetE1EEEvT1_.has_dyn_sized_stack, 0
	.set _ZN7rocprim17ROCPRIM_400000_NS6detail17trampoline_kernelINS0_14default_configENS1_25partition_config_selectorILNS1_17partition_subalgoE8ElNS0_10empty_typeEbEEZZNS1_14partition_implILS5_8ELb0ES3_jPKlPS6_PKS6_NS0_5tupleIJPlS6_EEENSE_IJSB_SB_EEENS0_18inequality_wrapperIN6hipcub16HIPCUB_304000_NS8EqualityEEESF_JS6_EEE10hipError_tPvRmT3_T4_T5_T6_T7_T9_mT8_P12ihipStream_tbDpT10_ENKUlT_T0_E_clISt17integral_constantIbLb1EES16_EEDaS11_S12_EUlS11_E_NS1_11comp_targetILNS1_3genE5ELNS1_11target_archE942ELNS1_3gpuE9ELNS1_3repE0EEENS1_30default_config_static_selectorELNS0_4arch9wavefront6targetE1EEEvT1_.has_recursion, 0
	.set _ZN7rocprim17ROCPRIM_400000_NS6detail17trampoline_kernelINS0_14default_configENS1_25partition_config_selectorILNS1_17partition_subalgoE8ElNS0_10empty_typeEbEEZZNS1_14partition_implILS5_8ELb0ES3_jPKlPS6_PKS6_NS0_5tupleIJPlS6_EEENSE_IJSB_SB_EEENS0_18inequality_wrapperIN6hipcub16HIPCUB_304000_NS8EqualityEEESF_JS6_EEE10hipError_tPvRmT3_T4_T5_T6_T7_T9_mT8_P12ihipStream_tbDpT10_ENKUlT_T0_E_clISt17integral_constantIbLb1EES16_EEDaS11_S12_EUlS11_E_NS1_11comp_targetILNS1_3genE5ELNS1_11target_archE942ELNS1_3gpuE9ELNS1_3repE0EEENS1_30default_config_static_selectorELNS0_4arch9wavefront6targetE1EEEvT1_.has_indirect_call, 0
	.section	.AMDGPU.csdata,"",@progbits
; Kernel info:
; codeLenInByte = 0
; TotalNumSgprs: 6
; NumVgprs: 0
; NumAgprs: 0
; TotalNumVgprs: 0
; ScratchSize: 0
; MemoryBound: 0
; FloatMode: 240
; IeeeMode: 1
; LDSByteSize: 0 bytes/workgroup (compile time only)
; SGPRBlocks: 0
; VGPRBlocks: 0
; NumSGPRsForWavesPerEU: 6
; NumVGPRsForWavesPerEU: 1
; AccumOffset: 4
; Occupancy: 8
; WaveLimiterHint : 0
; COMPUTE_PGM_RSRC2:SCRATCH_EN: 0
; COMPUTE_PGM_RSRC2:USER_SGPR: 2
; COMPUTE_PGM_RSRC2:TRAP_HANDLER: 0
; COMPUTE_PGM_RSRC2:TGID_X_EN: 1
; COMPUTE_PGM_RSRC2:TGID_Y_EN: 0
; COMPUTE_PGM_RSRC2:TGID_Z_EN: 0
; COMPUTE_PGM_RSRC2:TIDIG_COMP_CNT: 0
; COMPUTE_PGM_RSRC3_GFX90A:ACCUM_OFFSET: 0
; COMPUTE_PGM_RSRC3_GFX90A:TG_SPLIT: 0
	.section	.text._ZN7rocprim17ROCPRIM_400000_NS6detail17trampoline_kernelINS0_14default_configENS1_25partition_config_selectorILNS1_17partition_subalgoE8ElNS0_10empty_typeEbEEZZNS1_14partition_implILS5_8ELb0ES3_jPKlPS6_PKS6_NS0_5tupleIJPlS6_EEENSE_IJSB_SB_EEENS0_18inequality_wrapperIN6hipcub16HIPCUB_304000_NS8EqualityEEESF_JS6_EEE10hipError_tPvRmT3_T4_T5_T6_T7_T9_mT8_P12ihipStream_tbDpT10_ENKUlT_T0_E_clISt17integral_constantIbLb1EES16_EEDaS11_S12_EUlS11_E_NS1_11comp_targetILNS1_3genE4ELNS1_11target_archE910ELNS1_3gpuE8ELNS1_3repE0EEENS1_30default_config_static_selectorELNS0_4arch9wavefront6targetE1EEEvT1_,"axG",@progbits,_ZN7rocprim17ROCPRIM_400000_NS6detail17trampoline_kernelINS0_14default_configENS1_25partition_config_selectorILNS1_17partition_subalgoE8ElNS0_10empty_typeEbEEZZNS1_14partition_implILS5_8ELb0ES3_jPKlPS6_PKS6_NS0_5tupleIJPlS6_EEENSE_IJSB_SB_EEENS0_18inequality_wrapperIN6hipcub16HIPCUB_304000_NS8EqualityEEESF_JS6_EEE10hipError_tPvRmT3_T4_T5_T6_T7_T9_mT8_P12ihipStream_tbDpT10_ENKUlT_T0_E_clISt17integral_constantIbLb1EES16_EEDaS11_S12_EUlS11_E_NS1_11comp_targetILNS1_3genE4ELNS1_11target_archE910ELNS1_3gpuE8ELNS1_3repE0EEENS1_30default_config_static_selectorELNS0_4arch9wavefront6targetE1EEEvT1_,comdat
	.protected	_ZN7rocprim17ROCPRIM_400000_NS6detail17trampoline_kernelINS0_14default_configENS1_25partition_config_selectorILNS1_17partition_subalgoE8ElNS0_10empty_typeEbEEZZNS1_14partition_implILS5_8ELb0ES3_jPKlPS6_PKS6_NS0_5tupleIJPlS6_EEENSE_IJSB_SB_EEENS0_18inequality_wrapperIN6hipcub16HIPCUB_304000_NS8EqualityEEESF_JS6_EEE10hipError_tPvRmT3_T4_T5_T6_T7_T9_mT8_P12ihipStream_tbDpT10_ENKUlT_T0_E_clISt17integral_constantIbLb1EES16_EEDaS11_S12_EUlS11_E_NS1_11comp_targetILNS1_3genE4ELNS1_11target_archE910ELNS1_3gpuE8ELNS1_3repE0EEENS1_30default_config_static_selectorELNS0_4arch9wavefront6targetE1EEEvT1_ ; -- Begin function _ZN7rocprim17ROCPRIM_400000_NS6detail17trampoline_kernelINS0_14default_configENS1_25partition_config_selectorILNS1_17partition_subalgoE8ElNS0_10empty_typeEbEEZZNS1_14partition_implILS5_8ELb0ES3_jPKlPS6_PKS6_NS0_5tupleIJPlS6_EEENSE_IJSB_SB_EEENS0_18inequality_wrapperIN6hipcub16HIPCUB_304000_NS8EqualityEEESF_JS6_EEE10hipError_tPvRmT3_T4_T5_T6_T7_T9_mT8_P12ihipStream_tbDpT10_ENKUlT_T0_E_clISt17integral_constantIbLb1EES16_EEDaS11_S12_EUlS11_E_NS1_11comp_targetILNS1_3genE4ELNS1_11target_archE910ELNS1_3gpuE8ELNS1_3repE0EEENS1_30default_config_static_selectorELNS0_4arch9wavefront6targetE1EEEvT1_
	.globl	_ZN7rocprim17ROCPRIM_400000_NS6detail17trampoline_kernelINS0_14default_configENS1_25partition_config_selectorILNS1_17partition_subalgoE8ElNS0_10empty_typeEbEEZZNS1_14partition_implILS5_8ELb0ES3_jPKlPS6_PKS6_NS0_5tupleIJPlS6_EEENSE_IJSB_SB_EEENS0_18inequality_wrapperIN6hipcub16HIPCUB_304000_NS8EqualityEEESF_JS6_EEE10hipError_tPvRmT3_T4_T5_T6_T7_T9_mT8_P12ihipStream_tbDpT10_ENKUlT_T0_E_clISt17integral_constantIbLb1EES16_EEDaS11_S12_EUlS11_E_NS1_11comp_targetILNS1_3genE4ELNS1_11target_archE910ELNS1_3gpuE8ELNS1_3repE0EEENS1_30default_config_static_selectorELNS0_4arch9wavefront6targetE1EEEvT1_
	.p2align	8
	.type	_ZN7rocprim17ROCPRIM_400000_NS6detail17trampoline_kernelINS0_14default_configENS1_25partition_config_selectorILNS1_17partition_subalgoE8ElNS0_10empty_typeEbEEZZNS1_14partition_implILS5_8ELb0ES3_jPKlPS6_PKS6_NS0_5tupleIJPlS6_EEENSE_IJSB_SB_EEENS0_18inequality_wrapperIN6hipcub16HIPCUB_304000_NS8EqualityEEESF_JS6_EEE10hipError_tPvRmT3_T4_T5_T6_T7_T9_mT8_P12ihipStream_tbDpT10_ENKUlT_T0_E_clISt17integral_constantIbLb1EES16_EEDaS11_S12_EUlS11_E_NS1_11comp_targetILNS1_3genE4ELNS1_11target_archE910ELNS1_3gpuE8ELNS1_3repE0EEENS1_30default_config_static_selectorELNS0_4arch9wavefront6targetE1EEEvT1_,@function
_ZN7rocprim17ROCPRIM_400000_NS6detail17trampoline_kernelINS0_14default_configENS1_25partition_config_selectorILNS1_17partition_subalgoE8ElNS0_10empty_typeEbEEZZNS1_14partition_implILS5_8ELb0ES3_jPKlPS6_PKS6_NS0_5tupleIJPlS6_EEENSE_IJSB_SB_EEENS0_18inequality_wrapperIN6hipcub16HIPCUB_304000_NS8EqualityEEESF_JS6_EEE10hipError_tPvRmT3_T4_T5_T6_T7_T9_mT8_P12ihipStream_tbDpT10_ENKUlT_T0_E_clISt17integral_constantIbLb1EES16_EEDaS11_S12_EUlS11_E_NS1_11comp_targetILNS1_3genE4ELNS1_11target_archE910ELNS1_3gpuE8ELNS1_3repE0EEENS1_30default_config_static_selectorELNS0_4arch9wavefront6targetE1EEEvT1_: ; @_ZN7rocprim17ROCPRIM_400000_NS6detail17trampoline_kernelINS0_14default_configENS1_25partition_config_selectorILNS1_17partition_subalgoE8ElNS0_10empty_typeEbEEZZNS1_14partition_implILS5_8ELb0ES3_jPKlPS6_PKS6_NS0_5tupleIJPlS6_EEENSE_IJSB_SB_EEENS0_18inequality_wrapperIN6hipcub16HIPCUB_304000_NS8EqualityEEESF_JS6_EEE10hipError_tPvRmT3_T4_T5_T6_T7_T9_mT8_P12ihipStream_tbDpT10_ENKUlT_T0_E_clISt17integral_constantIbLb1EES16_EEDaS11_S12_EUlS11_E_NS1_11comp_targetILNS1_3genE4ELNS1_11target_archE910ELNS1_3gpuE8ELNS1_3repE0EEENS1_30default_config_static_selectorELNS0_4arch9wavefront6targetE1EEEvT1_
; %bb.0:
	.section	.rodata,"a",@progbits
	.p2align	6, 0x0
	.amdhsa_kernel _ZN7rocprim17ROCPRIM_400000_NS6detail17trampoline_kernelINS0_14default_configENS1_25partition_config_selectorILNS1_17partition_subalgoE8ElNS0_10empty_typeEbEEZZNS1_14partition_implILS5_8ELb0ES3_jPKlPS6_PKS6_NS0_5tupleIJPlS6_EEENSE_IJSB_SB_EEENS0_18inequality_wrapperIN6hipcub16HIPCUB_304000_NS8EqualityEEESF_JS6_EEE10hipError_tPvRmT3_T4_T5_T6_T7_T9_mT8_P12ihipStream_tbDpT10_ENKUlT_T0_E_clISt17integral_constantIbLb1EES16_EEDaS11_S12_EUlS11_E_NS1_11comp_targetILNS1_3genE4ELNS1_11target_archE910ELNS1_3gpuE8ELNS1_3repE0EEENS1_30default_config_static_selectorELNS0_4arch9wavefront6targetE1EEEvT1_
		.amdhsa_group_segment_fixed_size 0
		.amdhsa_private_segment_fixed_size 0
		.amdhsa_kernarg_size 128
		.amdhsa_user_sgpr_count 2
		.amdhsa_user_sgpr_dispatch_ptr 0
		.amdhsa_user_sgpr_queue_ptr 0
		.amdhsa_user_sgpr_kernarg_segment_ptr 1
		.amdhsa_user_sgpr_dispatch_id 0
		.amdhsa_user_sgpr_kernarg_preload_length 0
		.amdhsa_user_sgpr_kernarg_preload_offset 0
		.amdhsa_user_sgpr_private_segment_size 0
		.amdhsa_uses_dynamic_stack 0
		.amdhsa_enable_private_segment 0
		.amdhsa_system_sgpr_workgroup_id_x 1
		.amdhsa_system_sgpr_workgroup_id_y 0
		.amdhsa_system_sgpr_workgroup_id_z 0
		.amdhsa_system_sgpr_workgroup_info 0
		.amdhsa_system_vgpr_workitem_id 0
		.amdhsa_next_free_vgpr 1
		.amdhsa_next_free_sgpr 0
		.amdhsa_accum_offset 4
		.amdhsa_reserve_vcc 0
		.amdhsa_float_round_mode_32 0
		.amdhsa_float_round_mode_16_64 0
		.amdhsa_float_denorm_mode_32 3
		.amdhsa_float_denorm_mode_16_64 3
		.amdhsa_dx10_clamp 1
		.amdhsa_ieee_mode 1
		.amdhsa_fp16_overflow 0
		.amdhsa_tg_split 0
		.amdhsa_exception_fp_ieee_invalid_op 0
		.amdhsa_exception_fp_denorm_src 0
		.amdhsa_exception_fp_ieee_div_zero 0
		.amdhsa_exception_fp_ieee_overflow 0
		.amdhsa_exception_fp_ieee_underflow 0
		.amdhsa_exception_fp_ieee_inexact 0
		.amdhsa_exception_int_div_zero 0
	.end_amdhsa_kernel
	.section	.text._ZN7rocprim17ROCPRIM_400000_NS6detail17trampoline_kernelINS0_14default_configENS1_25partition_config_selectorILNS1_17partition_subalgoE8ElNS0_10empty_typeEbEEZZNS1_14partition_implILS5_8ELb0ES3_jPKlPS6_PKS6_NS0_5tupleIJPlS6_EEENSE_IJSB_SB_EEENS0_18inequality_wrapperIN6hipcub16HIPCUB_304000_NS8EqualityEEESF_JS6_EEE10hipError_tPvRmT3_T4_T5_T6_T7_T9_mT8_P12ihipStream_tbDpT10_ENKUlT_T0_E_clISt17integral_constantIbLb1EES16_EEDaS11_S12_EUlS11_E_NS1_11comp_targetILNS1_3genE4ELNS1_11target_archE910ELNS1_3gpuE8ELNS1_3repE0EEENS1_30default_config_static_selectorELNS0_4arch9wavefront6targetE1EEEvT1_,"axG",@progbits,_ZN7rocprim17ROCPRIM_400000_NS6detail17trampoline_kernelINS0_14default_configENS1_25partition_config_selectorILNS1_17partition_subalgoE8ElNS0_10empty_typeEbEEZZNS1_14partition_implILS5_8ELb0ES3_jPKlPS6_PKS6_NS0_5tupleIJPlS6_EEENSE_IJSB_SB_EEENS0_18inequality_wrapperIN6hipcub16HIPCUB_304000_NS8EqualityEEESF_JS6_EEE10hipError_tPvRmT3_T4_T5_T6_T7_T9_mT8_P12ihipStream_tbDpT10_ENKUlT_T0_E_clISt17integral_constantIbLb1EES16_EEDaS11_S12_EUlS11_E_NS1_11comp_targetILNS1_3genE4ELNS1_11target_archE910ELNS1_3gpuE8ELNS1_3repE0EEENS1_30default_config_static_selectorELNS0_4arch9wavefront6targetE1EEEvT1_,comdat
.Lfunc_end236:
	.size	_ZN7rocprim17ROCPRIM_400000_NS6detail17trampoline_kernelINS0_14default_configENS1_25partition_config_selectorILNS1_17partition_subalgoE8ElNS0_10empty_typeEbEEZZNS1_14partition_implILS5_8ELb0ES3_jPKlPS6_PKS6_NS0_5tupleIJPlS6_EEENSE_IJSB_SB_EEENS0_18inequality_wrapperIN6hipcub16HIPCUB_304000_NS8EqualityEEESF_JS6_EEE10hipError_tPvRmT3_T4_T5_T6_T7_T9_mT8_P12ihipStream_tbDpT10_ENKUlT_T0_E_clISt17integral_constantIbLb1EES16_EEDaS11_S12_EUlS11_E_NS1_11comp_targetILNS1_3genE4ELNS1_11target_archE910ELNS1_3gpuE8ELNS1_3repE0EEENS1_30default_config_static_selectorELNS0_4arch9wavefront6targetE1EEEvT1_, .Lfunc_end236-_ZN7rocprim17ROCPRIM_400000_NS6detail17trampoline_kernelINS0_14default_configENS1_25partition_config_selectorILNS1_17partition_subalgoE8ElNS0_10empty_typeEbEEZZNS1_14partition_implILS5_8ELb0ES3_jPKlPS6_PKS6_NS0_5tupleIJPlS6_EEENSE_IJSB_SB_EEENS0_18inequality_wrapperIN6hipcub16HIPCUB_304000_NS8EqualityEEESF_JS6_EEE10hipError_tPvRmT3_T4_T5_T6_T7_T9_mT8_P12ihipStream_tbDpT10_ENKUlT_T0_E_clISt17integral_constantIbLb1EES16_EEDaS11_S12_EUlS11_E_NS1_11comp_targetILNS1_3genE4ELNS1_11target_archE910ELNS1_3gpuE8ELNS1_3repE0EEENS1_30default_config_static_selectorELNS0_4arch9wavefront6targetE1EEEvT1_
                                        ; -- End function
	.set _ZN7rocprim17ROCPRIM_400000_NS6detail17trampoline_kernelINS0_14default_configENS1_25partition_config_selectorILNS1_17partition_subalgoE8ElNS0_10empty_typeEbEEZZNS1_14partition_implILS5_8ELb0ES3_jPKlPS6_PKS6_NS0_5tupleIJPlS6_EEENSE_IJSB_SB_EEENS0_18inequality_wrapperIN6hipcub16HIPCUB_304000_NS8EqualityEEESF_JS6_EEE10hipError_tPvRmT3_T4_T5_T6_T7_T9_mT8_P12ihipStream_tbDpT10_ENKUlT_T0_E_clISt17integral_constantIbLb1EES16_EEDaS11_S12_EUlS11_E_NS1_11comp_targetILNS1_3genE4ELNS1_11target_archE910ELNS1_3gpuE8ELNS1_3repE0EEENS1_30default_config_static_selectorELNS0_4arch9wavefront6targetE1EEEvT1_.num_vgpr, 0
	.set _ZN7rocprim17ROCPRIM_400000_NS6detail17trampoline_kernelINS0_14default_configENS1_25partition_config_selectorILNS1_17partition_subalgoE8ElNS0_10empty_typeEbEEZZNS1_14partition_implILS5_8ELb0ES3_jPKlPS6_PKS6_NS0_5tupleIJPlS6_EEENSE_IJSB_SB_EEENS0_18inequality_wrapperIN6hipcub16HIPCUB_304000_NS8EqualityEEESF_JS6_EEE10hipError_tPvRmT3_T4_T5_T6_T7_T9_mT8_P12ihipStream_tbDpT10_ENKUlT_T0_E_clISt17integral_constantIbLb1EES16_EEDaS11_S12_EUlS11_E_NS1_11comp_targetILNS1_3genE4ELNS1_11target_archE910ELNS1_3gpuE8ELNS1_3repE0EEENS1_30default_config_static_selectorELNS0_4arch9wavefront6targetE1EEEvT1_.num_agpr, 0
	.set _ZN7rocprim17ROCPRIM_400000_NS6detail17trampoline_kernelINS0_14default_configENS1_25partition_config_selectorILNS1_17partition_subalgoE8ElNS0_10empty_typeEbEEZZNS1_14partition_implILS5_8ELb0ES3_jPKlPS6_PKS6_NS0_5tupleIJPlS6_EEENSE_IJSB_SB_EEENS0_18inequality_wrapperIN6hipcub16HIPCUB_304000_NS8EqualityEEESF_JS6_EEE10hipError_tPvRmT3_T4_T5_T6_T7_T9_mT8_P12ihipStream_tbDpT10_ENKUlT_T0_E_clISt17integral_constantIbLb1EES16_EEDaS11_S12_EUlS11_E_NS1_11comp_targetILNS1_3genE4ELNS1_11target_archE910ELNS1_3gpuE8ELNS1_3repE0EEENS1_30default_config_static_selectorELNS0_4arch9wavefront6targetE1EEEvT1_.numbered_sgpr, 0
	.set _ZN7rocprim17ROCPRIM_400000_NS6detail17trampoline_kernelINS0_14default_configENS1_25partition_config_selectorILNS1_17partition_subalgoE8ElNS0_10empty_typeEbEEZZNS1_14partition_implILS5_8ELb0ES3_jPKlPS6_PKS6_NS0_5tupleIJPlS6_EEENSE_IJSB_SB_EEENS0_18inequality_wrapperIN6hipcub16HIPCUB_304000_NS8EqualityEEESF_JS6_EEE10hipError_tPvRmT3_T4_T5_T6_T7_T9_mT8_P12ihipStream_tbDpT10_ENKUlT_T0_E_clISt17integral_constantIbLb1EES16_EEDaS11_S12_EUlS11_E_NS1_11comp_targetILNS1_3genE4ELNS1_11target_archE910ELNS1_3gpuE8ELNS1_3repE0EEENS1_30default_config_static_selectorELNS0_4arch9wavefront6targetE1EEEvT1_.num_named_barrier, 0
	.set _ZN7rocprim17ROCPRIM_400000_NS6detail17trampoline_kernelINS0_14default_configENS1_25partition_config_selectorILNS1_17partition_subalgoE8ElNS0_10empty_typeEbEEZZNS1_14partition_implILS5_8ELb0ES3_jPKlPS6_PKS6_NS0_5tupleIJPlS6_EEENSE_IJSB_SB_EEENS0_18inequality_wrapperIN6hipcub16HIPCUB_304000_NS8EqualityEEESF_JS6_EEE10hipError_tPvRmT3_T4_T5_T6_T7_T9_mT8_P12ihipStream_tbDpT10_ENKUlT_T0_E_clISt17integral_constantIbLb1EES16_EEDaS11_S12_EUlS11_E_NS1_11comp_targetILNS1_3genE4ELNS1_11target_archE910ELNS1_3gpuE8ELNS1_3repE0EEENS1_30default_config_static_selectorELNS0_4arch9wavefront6targetE1EEEvT1_.private_seg_size, 0
	.set _ZN7rocprim17ROCPRIM_400000_NS6detail17trampoline_kernelINS0_14default_configENS1_25partition_config_selectorILNS1_17partition_subalgoE8ElNS0_10empty_typeEbEEZZNS1_14partition_implILS5_8ELb0ES3_jPKlPS6_PKS6_NS0_5tupleIJPlS6_EEENSE_IJSB_SB_EEENS0_18inequality_wrapperIN6hipcub16HIPCUB_304000_NS8EqualityEEESF_JS6_EEE10hipError_tPvRmT3_T4_T5_T6_T7_T9_mT8_P12ihipStream_tbDpT10_ENKUlT_T0_E_clISt17integral_constantIbLb1EES16_EEDaS11_S12_EUlS11_E_NS1_11comp_targetILNS1_3genE4ELNS1_11target_archE910ELNS1_3gpuE8ELNS1_3repE0EEENS1_30default_config_static_selectorELNS0_4arch9wavefront6targetE1EEEvT1_.uses_vcc, 0
	.set _ZN7rocprim17ROCPRIM_400000_NS6detail17trampoline_kernelINS0_14default_configENS1_25partition_config_selectorILNS1_17partition_subalgoE8ElNS0_10empty_typeEbEEZZNS1_14partition_implILS5_8ELb0ES3_jPKlPS6_PKS6_NS0_5tupleIJPlS6_EEENSE_IJSB_SB_EEENS0_18inequality_wrapperIN6hipcub16HIPCUB_304000_NS8EqualityEEESF_JS6_EEE10hipError_tPvRmT3_T4_T5_T6_T7_T9_mT8_P12ihipStream_tbDpT10_ENKUlT_T0_E_clISt17integral_constantIbLb1EES16_EEDaS11_S12_EUlS11_E_NS1_11comp_targetILNS1_3genE4ELNS1_11target_archE910ELNS1_3gpuE8ELNS1_3repE0EEENS1_30default_config_static_selectorELNS0_4arch9wavefront6targetE1EEEvT1_.uses_flat_scratch, 0
	.set _ZN7rocprim17ROCPRIM_400000_NS6detail17trampoline_kernelINS0_14default_configENS1_25partition_config_selectorILNS1_17partition_subalgoE8ElNS0_10empty_typeEbEEZZNS1_14partition_implILS5_8ELb0ES3_jPKlPS6_PKS6_NS0_5tupleIJPlS6_EEENSE_IJSB_SB_EEENS0_18inequality_wrapperIN6hipcub16HIPCUB_304000_NS8EqualityEEESF_JS6_EEE10hipError_tPvRmT3_T4_T5_T6_T7_T9_mT8_P12ihipStream_tbDpT10_ENKUlT_T0_E_clISt17integral_constantIbLb1EES16_EEDaS11_S12_EUlS11_E_NS1_11comp_targetILNS1_3genE4ELNS1_11target_archE910ELNS1_3gpuE8ELNS1_3repE0EEENS1_30default_config_static_selectorELNS0_4arch9wavefront6targetE1EEEvT1_.has_dyn_sized_stack, 0
	.set _ZN7rocprim17ROCPRIM_400000_NS6detail17trampoline_kernelINS0_14default_configENS1_25partition_config_selectorILNS1_17partition_subalgoE8ElNS0_10empty_typeEbEEZZNS1_14partition_implILS5_8ELb0ES3_jPKlPS6_PKS6_NS0_5tupleIJPlS6_EEENSE_IJSB_SB_EEENS0_18inequality_wrapperIN6hipcub16HIPCUB_304000_NS8EqualityEEESF_JS6_EEE10hipError_tPvRmT3_T4_T5_T6_T7_T9_mT8_P12ihipStream_tbDpT10_ENKUlT_T0_E_clISt17integral_constantIbLb1EES16_EEDaS11_S12_EUlS11_E_NS1_11comp_targetILNS1_3genE4ELNS1_11target_archE910ELNS1_3gpuE8ELNS1_3repE0EEENS1_30default_config_static_selectorELNS0_4arch9wavefront6targetE1EEEvT1_.has_recursion, 0
	.set _ZN7rocprim17ROCPRIM_400000_NS6detail17trampoline_kernelINS0_14default_configENS1_25partition_config_selectorILNS1_17partition_subalgoE8ElNS0_10empty_typeEbEEZZNS1_14partition_implILS5_8ELb0ES3_jPKlPS6_PKS6_NS0_5tupleIJPlS6_EEENSE_IJSB_SB_EEENS0_18inequality_wrapperIN6hipcub16HIPCUB_304000_NS8EqualityEEESF_JS6_EEE10hipError_tPvRmT3_T4_T5_T6_T7_T9_mT8_P12ihipStream_tbDpT10_ENKUlT_T0_E_clISt17integral_constantIbLb1EES16_EEDaS11_S12_EUlS11_E_NS1_11comp_targetILNS1_3genE4ELNS1_11target_archE910ELNS1_3gpuE8ELNS1_3repE0EEENS1_30default_config_static_selectorELNS0_4arch9wavefront6targetE1EEEvT1_.has_indirect_call, 0
	.section	.AMDGPU.csdata,"",@progbits
; Kernel info:
; codeLenInByte = 0
; TotalNumSgprs: 6
; NumVgprs: 0
; NumAgprs: 0
; TotalNumVgprs: 0
; ScratchSize: 0
; MemoryBound: 0
; FloatMode: 240
; IeeeMode: 1
; LDSByteSize: 0 bytes/workgroup (compile time only)
; SGPRBlocks: 0
; VGPRBlocks: 0
; NumSGPRsForWavesPerEU: 6
; NumVGPRsForWavesPerEU: 1
; AccumOffset: 4
; Occupancy: 8
; WaveLimiterHint : 0
; COMPUTE_PGM_RSRC2:SCRATCH_EN: 0
; COMPUTE_PGM_RSRC2:USER_SGPR: 2
; COMPUTE_PGM_RSRC2:TRAP_HANDLER: 0
; COMPUTE_PGM_RSRC2:TGID_X_EN: 1
; COMPUTE_PGM_RSRC2:TGID_Y_EN: 0
; COMPUTE_PGM_RSRC2:TGID_Z_EN: 0
; COMPUTE_PGM_RSRC2:TIDIG_COMP_CNT: 0
; COMPUTE_PGM_RSRC3_GFX90A:ACCUM_OFFSET: 0
; COMPUTE_PGM_RSRC3_GFX90A:TG_SPLIT: 0
	.section	.text._ZN7rocprim17ROCPRIM_400000_NS6detail17trampoline_kernelINS0_14default_configENS1_25partition_config_selectorILNS1_17partition_subalgoE8ElNS0_10empty_typeEbEEZZNS1_14partition_implILS5_8ELb0ES3_jPKlPS6_PKS6_NS0_5tupleIJPlS6_EEENSE_IJSB_SB_EEENS0_18inequality_wrapperIN6hipcub16HIPCUB_304000_NS8EqualityEEESF_JS6_EEE10hipError_tPvRmT3_T4_T5_T6_T7_T9_mT8_P12ihipStream_tbDpT10_ENKUlT_T0_E_clISt17integral_constantIbLb1EES16_EEDaS11_S12_EUlS11_E_NS1_11comp_targetILNS1_3genE3ELNS1_11target_archE908ELNS1_3gpuE7ELNS1_3repE0EEENS1_30default_config_static_selectorELNS0_4arch9wavefront6targetE1EEEvT1_,"axG",@progbits,_ZN7rocprim17ROCPRIM_400000_NS6detail17trampoline_kernelINS0_14default_configENS1_25partition_config_selectorILNS1_17partition_subalgoE8ElNS0_10empty_typeEbEEZZNS1_14partition_implILS5_8ELb0ES3_jPKlPS6_PKS6_NS0_5tupleIJPlS6_EEENSE_IJSB_SB_EEENS0_18inequality_wrapperIN6hipcub16HIPCUB_304000_NS8EqualityEEESF_JS6_EEE10hipError_tPvRmT3_T4_T5_T6_T7_T9_mT8_P12ihipStream_tbDpT10_ENKUlT_T0_E_clISt17integral_constantIbLb1EES16_EEDaS11_S12_EUlS11_E_NS1_11comp_targetILNS1_3genE3ELNS1_11target_archE908ELNS1_3gpuE7ELNS1_3repE0EEENS1_30default_config_static_selectorELNS0_4arch9wavefront6targetE1EEEvT1_,comdat
	.protected	_ZN7rocprim17ROCPRIM_400000_NS6detail17trampoline_kernelINS0_14default_configENS1_25partition_config_selectorILNS1_17partition_subalgoE8ElNS0_10empty_typeEbEEZZNS1_14partition_implILS5_8ELb0ES3_jPKlPS6_PKS6_NS0_5tupleIJPlS6_EEENSE_IJSB_SB_EEENS0_18inequality_wrapperIN6hipcub16HIPCUB_304000_NS8EqualityEEESF_JS6_EEE10hipError_tPvRmT3_T4_T5_T6_T7_T9_mT8_P12ihipStream_tbDpT10_ENKUlT_T0_E_clISt17integral_constantIbLb1EES16_EEDaS11_S12_EUlS11_E_NS1_11comp_targetILNS1_3genE3ELNS1_11target_archE908ELNS1_3gpuE7ELNS1_3repE0EEENS1_30default_config_static_selectorELNS0_4arch9wavefront6targetE1EEEvT1_ ; -- Begin function _ZN7rocprim17ROCPRIM_400000_NS6detail17trampoline_kernelINS0_14default_configENS1_25partition_config_selectorILNS1_17partition_subalgoE8ElNS0_10empty_typeEbEEZZNS1_14partition_implILS5_8ELb0ES3_jPKlPS6_PKS6_NS0_5tupleIJPlS6_EEENSE_IJSB_SB_EEENS0_18inequality_wrapperIN6hipcub16HIPCUB_304000_NS8EqualityEEESF_JS6_EEE10hipError_tPvRmT3_T4_T5_T6_T7_T9_mT8_P12ihipStream_tbDpT10_ENKUlT_T0_E_clISt17integral_constantIbLb1EES16_EEDaS11_S12_EUlS11_E_NS1_11comp_targetILNS1_3genE3ELNS1_11target_archE908ELNS1_3gpuE7ELNS1_3repE0EEENS1_30default_config_static_selectorELNS0_4arch9wavefront6targetE1EEEvT1_
	.globl	_ZN7rocprim17ROCPRIM_400000_NS6detail17trampoline_kernelINS0_14default_configENS1_25partition_config_selectorILNS1_17partition_subalgoE8ElNS0_10empty_typeEbEEZZNS1_14partition_implILS5_8ELb0ES3_jPKlPS6_PKS6_NS0_5tupleIJPlS6_EEENSE_IJSB_SB_EEENS0_18inequality_wrapperIN6hipcub16HIPCUB_304000_NS8EqualityEEESF_JS6_EEE10hipError_tPvRmT3_T4_T5_T6_T7_T9_mT8_P12ihipStream_tbDpT10_ENKUlT_T0_E_clISt17integral_constantIbLb1EES16_EEDaS11_S12_EUlS11_E_NS1_11comp_targetILNS1_3genE3ELNS1_11target_archE908ELNS1_3gpuE7ELNS1_3repE0EEENS1_30default_config_static_selectorELNS0_4arch9wavefront6targetE1EEEvT1_
	.p2align	8
	.type	_ZN7rocprim17ROCPRIM_400000_NS6detail17trampoline_kernelINS0_14default_configENS1_25partition_config_selectorILNS1_17partition_subalgoE8ElNS0_10empty_typeEbEEZZNS1_14partition_implILS5_8ELb0ES3_jPKlPS6_PKS6_NS0_5tupleIJPlS6_EEENSE_IJSB_SB_EEENS0_18inequality_wrapperIN6hipcub16HIPCUB_304000_NS8EqualityEEESF_JS6_EEE10hipError_tPvRmT3_T4_T5_T6_T7_T9_mT8_P12ihipStream_tbDpT10_ENKUlT_T0_E_clISt17integral_constantIbLb1EES16_EEDaS11_S12_EUlS11_E_NS1_11comp_targetILNS1_3genE3ELNS1_11target_archE908ELNS1_3gpuE7ELNS1_3repE0EEENS1_30default_config_static_selectorELNS0_4arch9wavefront6targetE1EEEvT1_,@function
_ZN7rocprim17ROCPRIM_400000_NS6detail17trampoline_kernelINS0_14default_configENS1_25partition_config_selectorILNS1_17partition_subalgoE8ElNS0_10empty_typeEbEEZZNS1_14partition_implILS5_8ELb0ES3_jPKlPS6_PKS6_NS0_5tupleIJPlS6_EEENSE_IJSB_SB_EEENS0_18inequality_wrapperIN6hipcub16HIPCUB_304000_NS8EqualityEEESF_JS6_EEE10hipError_tPvRmT3_T4_T5_T6_T7_T9_mT8_P12ihipStream_tbDpT10_ENKUlT_T0_E_clISt17integral_constantIbLb1EES16_EEDaS11_S12_EUlS11_E_NS1_11comp_targetILNS1_3genE3ELNS1_11target_archE908ELNS1_3gpuE7ELNS1_3repE0EEENS1_30default_config_static_selectorELNS0_4arch9wavefront6targetE1EEEvT1_: ; @_ZN7rocprim17ROCPRIM_400000_NS6detail17trampoline_kernelINS0_14default_configENS1_25partition_config_selectorILNS1_17partition_subalgoE8ElNS0_10empty_typeEbEEZZNS1_14partition_implILS5_8ELb0ES3_jPKlPS6_PKS6_NS0_5tupleIJPlS6_EEENSE_IJSB_SB_EEENS0_18inequality_wrapperIN6hipcub16HIPCUB_304000_NS8EqualityEEESF_JS6_EEE10hipError_tPvRmT3_T4_T5_T6_T7_T9_mT8_P12ihipStream_tbDpT10_ENKUlT_T0_E_clISt17integral_constantIbLb1EES16_EEDaS11_S12_EUlS11_E_NS1_11comp_targetILNS1_3genE3ELNS1_11target_archE908ELNS1_3gpuE7ELNS1_3repE0EEENS1_30default_config_static_selectorELNS0_4arch9wavefront6targetE1EEEvT1_
; %bb.0:
	.section	.rodata,"a",@progbits
	.p2align	6, 0x0
	.amdhsa_kernel _ZN7rocprim17ROCPRIM_400000_NS6detail17trampoline_kernelINS0_14default_configENS1_25partition_config_selectorILNS1_17partition_subalgoE8ElNS0_10empty_typeEbEEZZNS1_14partition_implILS5_8ELb0ES3_jPKlPS6_PKS6_NS0_5tupleIJPlS6_EEENSE_IJSB_SB_EEENS0_18inequality_wrapperIN6hipcub16HIPCUB_304000_NS8EqualityEEESF_JS6_EEE10hipError_tPvRmT3_T4_T5_T6_T7_T9_mT8_P12ihipStream_tbDpT10_ENKUlT_T0_E_clISt17integral_constantIbLb1EES16_EEDaS11_S12_EUlS11_E_NS1_11comp_targetILNS1_3genE3ELNS1_11target_archE908ELNS1_3gpuE7ELNS1_3repE0EEENS1_30default_config_static_selectorELNS0_4arch9wavefront6targetE1EEEvT1_
		.amdhsa_group_segment_fixed_size 0
		.amdhsa_private_segment_fixed_size 0
		.amdhsa_kernarg_size 128
		.amdhsa_user_sgpr_count 2
		.amdhsa_user_sgpr_dispatch_ptr 0
		.amdhsa_user_sgpr_queue_ptr 0
		.amdhsa_user_sgpr_kernarg_segment_ptr 1
		.amdhsa_user_sgpr_dispatch_id 0
		.amdhsa_user_sgpr_kernarg_preload_length 0
		.amdhsa_user_sgpr_kernarg_preload_offset 0
		.amdhsa_user_sgpr_private_segment_size 0
		.amdhsa_uses_dynamic_stack 0
		.amdhsa_enable_private_segment 0
		.amdhsa_system_sgpr_workgroup_id_x 1
		.amdhsa_system_sgpr_workgroup_id_y 0
		.amdhsa_system_sgpr_workgroup_id_z 0
		.amdhsa_system_sgpr_workgroup_info 0
		.amdhsa_system_vgpr_workitem_id 0
		.amdhsa_next_free_vgpr 1
		.amdhsa_next_free_sgpr 0
		.amdhsa_accum_offset 4
		.amdhsa_reserve_vcc 0
		.amdhsa_float_round_mode_32 0
		.amdhsa_float_round_mode_16_64 0
		.amdhsa_float_denorm_mode_32 3
		.amdhsa_float_denorm_mode_16_64 3
		.amdhsa_dx10_clamp 1
		.amdhsa_ieee_mode 1
		.amdhsa_fp16_overflow 0
		.amdhsa_tg_split 0
		.amdhsa_exception_fp_ieee_invalid_op 0
		.amdhsa_exception_fp_denorm_src 0
		.amdhsa_exception_fp_ieee_div_zero 0
		.amdhsa_exception_fp_ieee_overflow 0
		.amdhsa_exception_fp_ieee_underflow 0
		.amdhsa_exception_fp_ieee_inexact 0
		.amdhsa_exception_int_div_zero 0
	.end_amdhsa_kernel
	.section	.text._ZN7rocprim17ROCPRIM_400000_NS6detail17trampoline_kernelINS0_14default_configENS1_25partition_config_selectorILNS1_17partition_subalgoE8ElNS0_10empty_typeEbEEZZNS1_14partition_implILS5_8ELb0ES3_jPKlPS6_PKS6_NS0_5tupleIJPlS6_EEENSE_IJSB_SB_EEENS0_18inequality_wrapperIN6hipcub16HIPCUB_304000_NS8EqualityEEESF_JS6_EEE10hipError_tPvRmT3_T4_T5_T6_T7_T9_mT8_P12ihipStream_tbDpT10_ENKUlT_T0_E_clISt17integral_constantIbLb1EES16_EEDaS11_S12_EUlS11_E_NS1_11comp_targetILNS1_3genE3ELNS1_11target_archE908ELNS1_3gpuE7ELNS1_3repE0EEENS1_30default_config_static_selectorELNS0_4arch9wavefront6targetE1EEEvT1_,"axG",@progbits,_ZN7rocprim17ROCPRIM_400000_NS6detail17trampoline_kernelINS0_14default_configENS1_25partition_config_selectorILNS1_17partition_subalgoE8ElNS0_10empty_typeEbEEZZNS1_14partition_implILS5_8ELb0ES3_jPKlPS6_PKS6_NS0_5tupleIJPlS6_EEENSE_IJSB_SB_EEENS0_18inequality_wrapperIN6hipcub16HIPCUB_304000_NS8EqualityEEESF_JS6_EEE10hipError_tPvRmT3_T4_T5_T6_T7_T9_mT8_P12ihipStream_tbDpT10_ENKUlT_T0_E_clISt17integral_constantIbLb1EES16_EEDaS11_S12_EUlS11_E_NS1_11comp_targetILNS1_3genE3ELNS1_11target_archE908ELNS1_3gpuE7ELNS1_3repE0EEENS1_30default_config_static_selectorELNS0_4arch9wavefront6targetE1EEEvT1_,comdat
.Lfunc_end237:
	.size	_ZN7rocprim17ROCPRIM_400000_NS6detail17trampoline_kernelINS0_14default_configENS1_25partition_config_selectorILNS1_17partition_subalgoE8ElNS0_10empty_typeEbEEZZNS1_14partition_implILS5_8ELb0ES3_jPKlPS6_PKS6_NS0_5tupleIJPlS6_EEENSE_IJSB_SB_EEENS0_18inequality_wrapperIN6hipcub16HIPCUB_304000_NS8EqualityEEESF_JS6_EEE10hipError_tPvRmT3_T4_T5_T6_T7_T9_mT8_P12ihipStream_tbDpT10_ENKUlT_T0_E_clISt17integral_constantIbLb1EES16_EEDaS11_S12_EUlS11_E_NS1_11comp_targetILNS1_3genE3ELNS1_11target_archE908ELNS1_3gpuE7ELNS1_3repE0EEENS1_30default_config_static_selectorELNS0_4arch9wavefront6targetE1EEEvT1_, .Lfunc_end237-_ZN7rocprim17ROCPRIM_400000_NS6detail17trampoline_kernelINS0_14default_configENS1_25partition_config_selectorILNS1_17partition_subalgoE8ElNS0_10empty_typeEbEEZZNS1_14partition_implILS5_8ELb0ES3_jPKlPS6_PKS6_NS0_5tupleIJPlS6_EEENSE_IJSB_SB_EEENS0_18inequality_wrapperIN6hipcub16HIPCUB_304000_NS8EqualityEEESF_JS6_EEE10hipError_tPvRmT3_T4_T5_T6_T7_T9_mT8_P12ihipStream_tbDpT10_ENKUlT_T0_E_clISt17integral_constantIbLb1EES16_EEDaS11_S12_EUlS11_E_NS1_11comp_targetILNS1_3genE3ELNS1_11target_archE908ELNS1_3gpuE7ELNS1_3repE0EEENS1_30default_config_static_selectorELNS0_4arch9wavefront6targetE1EEEvT1_
                                        ; -- End function
	.set _ZN7rocprim17ROCPRIM_400000_NS6detail17trampoline_kernelINS0_14default_configENS1_25partition_config_selectorILNS1_17partition_subalgoE8ElNS0_10empty_typeEbEEZZNS1_14partition_implILS5_8ELb0ES3_jPKlPS6_PKS6_NS0_5tupleIJPlS6_EEENSE_IJSB_SB_EEENS0_18inequality_wrapperIN6hipcub16HIPCUB_304000_NS8EqualityEEESF_JS6_EEE10hipError_tPvRmT3_T4_T5_T6_T7_T9_mT8_P12ihipStream_tbDpT10_ENKUlT_T0_E_clISt17integral_constantIbLb1EES16_EEDaS11_S12_EUlS11_E_NS1_11comp_targetILNS1_3genE3ELNS1_11target_archE908ELNS1_3gpuE7ELNS1_3repE0EEENS1_30default_config_static_selectorELNS0_4arch9wavefront6targetE1EEEvT1_.num_vgpr, 0
	.set _ZN7rocprim17ROCPRIM_400000_NS6detail17trampoline_kernelINS0_14default_configENS1_25partition_config_selectorILNS1_17partition_subalgoE8ElNS0_10empty_typeEbEEZZNS1_14partition_implILS5_8ELb0ES3_jPKlPS6_PKS6_NS0_5tupleIJPlS6_EEENSE_IJSB_SB_EEENS0_18inequality_wrapperIN6hipcub16HIPCUB_304000_NS8EqualityEEESF_JS6_EEE10hipError_tPvRmT3_T4_T5_T6_T7_T9_mT8_P12ihipStream_tbDpT10_ENKUlT_T0_E_clISt17integral_constantIbLb1EES16_EEDaS11_S12_EUlS11_E_NS1_11comp_targetILNS1_3genE3ELNS1_11target_archE908ELNS1_3gpuE7ELNS1_3repE0EEENS1_30default_config_static_selectorELNS0_4arch9wavefront6targetE1EEEvT1_.num_agpr, 0
	.set _ZN7rocprim17ROCPRIM_400000_NS6detail17trampoline_kernelINS0_14default_configENS1_25partition_config_selectorILNS1_17partition_subalgoE8ElNS0_10empty_typeEbEEZZNS1_14partition_implILS5_8ELb0ES3_jPKlPS6_PKS6_NS0_5tupleIJPlS6_EEENSE_IJSB_SB_EEENS0_18inequality_wrapperIN6hipcub16HIPCUB_304000_NS8EqualityEEESF_JS6_EEE10hipError_tPvRmT3_T4_T5_T6_T7_T9_mT8_P12ihipStream_tbDpT10_ENKUlT_T0_E_clISt17integral_constantIbLb1EES16_EEDaS11_S12_EUlS11_E_NS1_11comp_targetILNS1_3genE3ELNS1_11target_archE908ELNS1_3gpuE7ELNS1_3repE0EEENS1_30default_config_static_selectorELNS0_4arch9wavefront6targetE1EEEvT1_.numbered_sgpr, 0
	.set _ZN7rocprim17ROCPRIM_400000_NS6detail17trampoline_kernelINS0_14default_configENS1_25partition_config_selectorILNS1_17partition_subalgoE8ElNS0_10empty_typeEbEEZZNS1_14partition_implILS5_8ELb0ES3_jPKlPS6_PKS6_NS0_5tupleIJPlS6_EEENSE_IJSB_SB_EEENS0_18inequality_wrapperIN6hipcub16HIPCUB_304000_NS8EqualityEEESF_JS6_EEE10hipError_tPvRmT3_T4_T5_T6_T7_T9_mT8_P12ihipStream_tbDpT10_ENKUlT_T0_E_clISt17integral_constantIbLb1EES16_EEDaS11_S12_EUlS11_E_NS1_11comp_targetILNS1_3genE3ELNS1_11target_archE908ELNS1_3gpuE7ELNS1_3repE0EEENS1_30default_config_static_selectorELNS0_4arch9wavefront6targetE1EEEvT1_.num_named_barrier, 0
	.set _ZN7rocprim17ROCPRIM_400000_NS6detail17trampoline_kernelINS0_14default_configENS1_25partition_config_selectorILNS1_17partition_subalgoE8ElNS0_10empty_typeEbEEZZNS1_14partition_implILS5_8ELb0ES3_jPKlPS6_PKS6_NS0_5tupleIJPlS6_EEENSE_IJSB_SB_EEENS0_18inequality_wrapperIN6hipcub16HIPCUB_304000_NS8EqualityEEESF_JS6_EEE10hipError_tPvRmT3_T4_T5_T6_T7_T9_mT8_P12ihipStream_tbDpT10_ENKUlT_T0_E_clISt17integral_constantIbLb1EES16_EEDaS11_S12_EUlS11_E_NS1_11comp_targetILNS1_3genE3ELNS1_11target_archE908ELNS1_3gpuE7ELNS1_3repE0EEENS1_30default_config_static_selectorELNS0_4arch9wavefront6targetE1EEEvT1_.private_seg_size, 0
	.set _ZN7rocprim17ROCPRIM_400000_NS6detail17trampoline_kernelINS0_14default_configENS1_25partition_config_selectorILNS1_17partition_subalgoE8ElNS0_10empty_typeEbEEZZNS1_14partition_implILS5_8ELb0ES3_jPKlPS6_PKS6_NS0_5tupleIJPlS6_EEENSE_IJSB_SB_EEENS0_18inequality_wrapperIN6hipcub16HIPCUB_304000_NS8EqualityEEESF_JS6_EEE10hipError_tPvRmT3_T4_T5_T6_T7_T9_mT8_P12ihipStream_tbDpT10_ENKUlT_T0_E_clISt17integral_constantIbLb1EES16_EEDaS11_S12_EUlS11_E_NS1_11comp_targetILNS1_3genE3ELNS1_11target_archE908ELNS1_3gpuE7ELNS1_3repE0EEENS1_30default_config_static_selectorELNS0_4arch9wavefront6targetE1EEEvT1_.uses_vcc, 0
	.set _ZN7rocprim17ROCPRIM_400000_NS6detail17trampoline_kernelINS0_14default_configENS1_25partition_config_selectorILNS1_17partition_subalgoE8ElNS0_10empty_typeEbEEZZNS1_14partition_implILS5_8ELb0ES3_jPKlPS6_PKS6_NS0_5tupleIJPlS6_EEENSE_IJSB_SB_EEENS0_18inequality_wrapperIN6hipcub16HIPCUB_304000_NS8EqualityEEESF_JS6_EEE10hipError_tPvRmT3_T4_T5_T6_T7_T9_mT8_P12ihipStream_tbDpT10_ENKUlT_T0_E_clISt17integral_constantIbLb1EES16_EEDaS11_S12_EUlS11_E_NS1_11comp_targetILNS1_3genE3ELNS1_11target_archE908ELNS1_3gpuE7ELNS1_3repE0EEENS1_30default_config_static_selectorELNS0_4arch9wavefront6targetE1EEEvT1_.uses_flat_scratch, 0
	.set _ZN7rocprim17ROCPRIM_400000_NS6detail17trampoline_kernelINS0_14default_configENS1_25partition_config_selectorILNS1_17partition_subalgoE8ElNS0_10empty_typeEbEEZZNS1_14partition_implILS5_8ELb0ES3_jPKlPS6_PKS6_NS0_5tupleIJPlS6_EEENSE_IJSB_SB_EEENS0_18inequality_wrapperIN6hipcub16HIPCUB_304000_NS8EqualityEEESF_JS6_EEE10hipError_tPvRmT3_T4_T5_T6_T7_T9_mT8_P12ihipStream_tbDpT10_ENKUlT_T0_E_clISt17integral_constantIbLb1EES16_EEDaS11_S12_EUlS11_E_NS1_11comp_targetILNS1_3genE3ELNS1_11target_archE908ELNS1_3gpuE7ELNS1_3repE0EEENS1_30default_config_static_selectorELNS0_4arch9wavefront6targetE1EEEvT1_.has_dyn_sized_stack, 0
	.set _ZN7rocprim17ROCPRIM_400000_NS6detail17trampoline_kernelINS0_14default_configENS1_25partition_config_selectorILNS1_17partition_subalgoE8ElNS0_10empty_typeEbEEZZNS1_14partition_implILS5_8ELb0ES3_jPKlPS6_PKS6_NS0_5tupleIJPlS6_EEENSE_IJSB_SB_EEENS0_18inequality_wrapperIN6hipcub16HIPCUB_304000_NS8EqualityEEESF_JS6_EEE10hipError_tPvRmT3_T4_T5_T6_T7_T9_mT8_P12ihipStream_tbDpT10_ENKUlT_T0_E_clISt17integral_constantIbLb1EES16_EEDaS11_S12_EUlS11_E_NS1_11comp_targetILNS1_3genE3ELNS1_11target_archE908ELNS1_3gpuE7ELNS1_3repE0EEENS1_30default_config_static_selectorELNS0_4arch9wavefront6targetE1EEEvT1_.has_recursion, 0
	.set _ZN7rocprim17ROCPRIM_400000_NS6detail17trampoline_kernelINS0_14default_configENS1_25partition_config_selectorILNS1_17partition_subalgoE8ElNS0_10empty_typeEbEEZZNS1_14partition_implILS5_8ELb0ES3_jPKlPS6_PKS6_NS0_5tupleIJPlS6_EEENSE_IJSB_SB_EEENS0_18inequality_wrapperIN6hipcub16HIPCUB_304000_NS8EqualityEEESF_JS6_EEE10hipError_tPvRmT3_T4_T5_T6_T7_T9_mT8_P12ihipStream_tbDpT10_ENKUlT_T0_E_clISt17integral_constantIbLb1EES16_EEDaS11_S12_EUlS11_E_NS1_11comp_targetILNS1_3genE3ELNS1_11target_archE908ELNS1_3gpuE7ELNS1_3repE0EEENS1_30default_config_static_selectorELNS0_4arch9wavefront6targetE1EEEvT1_.has_indirect_call, 0
	.section	.AMDGPU.csdata,"",@progbits
; Kernel info:
; codeLenInByte = 0
; TotalNumSgprs: 6
; NumVgprs: 0
; NumAgprs: 0
; TotalNumVgprs: 0
; ScratchSize: 0
; MemoryBound: 0
; FloatMode: 240
; IeeeMode: 1
; LDSByteSize: 0 bytes/workgroup (compile time only)
; SGPRBlocks: 0
; VGPRBlocks: 0
; NumSGPRsForWavesPerEU: 6
; NumVGPRsForWavesPerEU: 1
; AccumOffset: 4
; Occupancy: 8
; WaveLimiterHint : 0
; COMPUTE_PGM_RSRC2:SCRATCH_EN: 0
; COMPUTE_PGM_RSRC2:USER_SGPR: 2
; COMPUTE_PGM_RSRC2:TRAP_HANDLER: 0
; COMPUTE_PGM_RSRC2:TGID_X_EN: 1
; COMPUTE_PGM_RSRC2:TGID_Y_EN: 0
; COMPUTE_PGM_RSRC2:TGID_Z_EN: 0
; COMPUTE_PGM_RSRC2:TIDIG_COMP_CNT: 0
; COMPUTE_PGM_RSRC3_GFX90A:ACCUM_OFFSET: 0
; COMPUTE_PGM_RSRC3_GFX90A:TG_SPLIT: 0
	.section	.text._ZN7rocprim17ROCPRIM_400000_NS6detail17trampoline_kernelINS0_14default_configENS1_25partition_config_selectorILNS1_17partition_subalgoE8ElNS0_10empty_typeEbEEZZNS1_14partition_implILS5_8ELb0ES3_jPKlPS6_PKS6_NS0_5tupleIJPlS6_EEENSE_IJSB_SB_EEENS0_18inequality_wrapperIN6hipcub16HIPCUB_304000_NS8EqualityEEESF_JS6_EEE10hipError_tPvRmT3_T4_T5_T6_T7_T9_mT8_P12ihipStream_tbDpT10_ENKUlT_T0_E_clISt17integral_constantIbLb1EES16_EEDaS11_S12_EUlS11_E_NS1_11comp_targetILNS1_3genE2ELNS1_11target_archE906ELNS1_3gpuE6ELNS1_3repE0EEENS1_30default_config_static_selectorELNS0_4arch9wavefront6targetE1EEEvT1_,"axG",@progbits,_ZN7rocprim17ROCPRIM_400000_NS6detail17trampoline_kernelINS0_14default_configENS1_25partition_config_selectorILNS1_17partition_subalgoE8ElNS0_10empty_typeEbEEZZNS1_14partition_implILS5_8ELb0ES3_jPKlPS6_PKS6_NS0_5tupleIJPlS6_EEENSE_IJSB_SB_EEENS0_18inequality_wrapperIN6hipcub16HIPCUB_304000_NS8EqualityEEESF_JS6_EEE10hipError_tPvRmT3_T4_T5_T6_T7_T9_mT8_P12ihipStream_tbDpT10_ENKUlT_T0_E_clISt17integral_constantIbLb1EES16_EEDaS11_S12_EUlS11_E_NS1_11comp_targetILNS1_3genE2ELNS1_11target_archE906ELNS1_3gpuE6ELNS1_3repE0EEENS1_30default_config_static_selectorELNS0_4arch9wavefront6targetE1EEEvT1_,comdat
	.protected	_ZN7rocprim17ROCPRIM_400000_NS6detail17trampoline_kernelINS0_14default_configENS1_25partition_config_selectorILNS1_17partition_subalgoE8ElNS0_10empty_typeEbEEZZNS1_14partition_implILS5_8ELb0ES3_jPKlPS6_PKS6_NS0_5tupleIJPlS6_EEENSE_IJSB_SB_EEENS0_18inequality_wrapperIN6hipcub16HIPCUB_304000_NS8EqualityEEESF_JS6_EEE10hipError_tPvRmT3_T4_T5_T6_T7_T9_mT8_P12ihipStream_tbDpT10_ENKUlT_T0_E_clISt17integral_constantIbLb1EES16_EEDaS11_S12_EUlS11_E_NS1_11comp_targetILNS1_3genE2ELNS1_11target_archE906ELNS1_3gpuE6ELNS1_3repE0EEENS1_30default_config_static_selectorELNS0_4arch9wavefront6targetE1EEEvT1_ ; -- Begin function _ZN7rocprim17ROCPRIM_400000_NS6detail17trampoline_kernelINS0_14default_configENS1_25partition_config_selectorILNS1_17partition_subalgoE8ElNS0_10empty_typeEbEEZZNS1_14partition_implILS5_8ELb0ES3_jPKlPS6_PKS6_NS0_5tupleIJPlS6_EEENSE_IJSB_SB_EEENS0_18inequality_wrapperIN6hipcub16HIPCUB_304000_NS8EqualityEEESF_JS6_EEE10hipError_tPvRmT3_T4_T5_T6_T7_T9_mT8_P12ihipStream_tbDpT10_ENKUlT_T0_E_clISt17integral_constantIbLb1EES16_EEDaS11_S12_EUlS11_E_NS1_11comp_targetILNS1_3genE2ELNS1_11target_archE906ELNS1_3gpuE6ELNS1_3repE0EEENS1_30default_config_static_selectorELNS0_4arch9wavefront6targetE1EEEvT1_
	.globl	_ZN7rocprim17ROCPRIM_400000_NS6detail17trampoline_kernelINS0_14default_configENS1_25partition_config_selectorILNS1_17partition_subalgoE8ElNS0_10empty_typeEbEEZZNS1_14partition_implILS5_8ELb0ES3_jPKlPS6_PKS6_NS0_5tupleIJPlS6_EEENSE_IJSB_SB_EEENS0_18inequality_wrapperIN6hipcub16HIPCUB_304000_NS8EqualityEEESF_JS6_EEE10hipError_tPvRmT3_T4_T5_T6_T7_T9_mT8_P12ihipStream_tbDpT10_ENKUlT_T0_E_clISt17integral_constantIbLb1EES16_EEDaS11_S12_EUlS11_E_NS1_11comp_targetILNS1_3genE2ELNS1_11target_archE906ELNS1_3gpuE6ELNS1_3repE0EEENS1_30default_config_static_selectorELNS0_4arch9wavefront6targetE1EEEvT1_
	.p2align	8
	.type	_ZN7rocprim17ROCPRIM_400000_NS6detail17trampoline_kernelINS0_14default_configENS1_25partition_config_selectorILNS1_17partition_subalgoE8ElNS0_10empty_typeEbEEZZNS1_14partition_implILS5_8ELb0ES3_jPKlPS6_PKS6_NS0_5tupleIJPlS6_EEENSE_IJSB_SB_EEENS0_18inequality_wrapperIN6hipcub16HIPCUB_304000_NS8EqualityEEESF_JS6_EEE10hipError_tPvRmT3_T4_T5_T6_T7_T9_mT8_P12ihipStream_tbDpT10_ENKUlT_T0_E_clISt17integral_constantIbLb1EES16_EEDaS11_S12_EUlS11_E_NS1_11comp_targetILNS1_3genE2ELNS1_11target_archE906ELNS1_3gpuE6ELNS1_3repE0EEENS1_30default_config_static_selectorELNS0_4arch9wavefront6targetE1EEEvT1_,@function
_ZN7rocprim17ROCPRIM_400000_NS6detail17trampoline_kernelINS0_14default_configENS1_25partition_config_selectorILNS1_17partition_subalgoE8ElNS0_10empty_typeEbEEZZNS1_14partition_implILS5_8ELb0ES3_jPKlPS6_PKS6_NS0_5tupleIJPlS6_EEENSE_IJSB_SB_EEENS0_18inequality_wrapperIN6hipcub16HIPCUB_304000_NS8EqualityEEESF_JS6_EEE10hipError_tPvRmT3_T4_T5_T6_T7_T9_mT8_P12ihipStream_tbDpT10_ENKUlT_T0_E_clISt17integral_constantIbLb1EES16_EEDaS11_S12_EUlS11_E_NS1_11comp_targetILNS1_3genE2ELNS1_11target_archE906ELNS1_3gpuE6ELNS1_3repE0EEENS1_30default_config_static_selectorELNS0_4arch9wavefront6targetE1EEEvT1_: ; @_ZN7rocprim17ROCPRIM_400000_NS6detail17trampoline_kernelINS0_14default_configENS1_25partition_config_selectorILNS1_17partition_subalgoE8ElNS0_10empty_typeEbEEZZNS1_14partition_implILS5_8ELb0ES3_jPKlPS6_PKS6_NS0_5tupleIJPlS6_EEENSE_IJSB_SB_EEENS0_18inequality_wrapperIN6hipcub16HIPCUB_304000_NS8EqualityEEESF_JS6_EEE10hipError_tPvRmT3_T4_T5_T6_T7_T9_mT8_P12ihipStream_tbDpT10_ENKUlT_T0_E_clISt17integral_constantIbLb1EES16_EEDaS11_S12_EUlS11_E_NS1_11comp_targetILNS1_3genE2ELNS1_11target_archE906ELNS1_3gpuE6ELNS1_3repE0EEENS1_30default_config_static_selectorELNS0_4arch9wavefront6targetE1EEEvT1_
; %bb.0:
	.section	.rodata,"a",@progbits
	.p2align	6, 0x0
	.amdhsa_kernel _ZN7rocprim17ROCPRIM_400000_NS6detail17trampoline_kernelINS0_14default_configENS1_25partition_config_selectorILNS1_17partition_subalgoE8ElNS0_10empty_typeEbEEZZNS1_14partition_implILS5_8ELb0ES3_jPKlPS6_PKS6_NS0_5tupleIJPlS6_EEENSE_IJSB_SB_EEENS0_18inequality_wrapperIN6hipcub16HIPCUB_304000_NS8EqualityEEESF_JS6_EEE10hipError_tPvRmT3_T4_T5_T6_T7_T9_mT8_P12ihipStream_tbDpT10_ENKUlT_T0_E_clISt17integral_constantIbLb1EES16_EEDaS11_S12_EUlS11_E_NS1_11comp_targetILNS1_3genE2ELNS1_11target_archE906ELNS1_3gpuE6ELNS1_3repE0EEENS1_30default_config_static_selectorELNS0_4arch9wavefront6targetE1EEEvT1_
		.amdhsa_group_segment_fixed_size 0
		.amdhsa_private_segment_fixed_size 0
		.amdhsa_kernarg_size 128
		.amdhsa_user_sgpr_count 2
		.amdhsa_user_sgpr_dispatch_ptr 0
		.amdhsa_user_sgpr_queue_ptr 0
		.amdhsa_user_sgpr_kernarg_segment_ptr 1
		.amdhsa_user_sgpr_dispatch_id 0
		.amdhsa_user_sgpr_kernarg_preload_length 0
		.amdhsa_user_sgpr_kernarg_preload_offset 0
		.amdhsa_user_sgpr_private_segment_size 0
		.amdhsa_uses_dynamic_stack 0
		.amdhsa_enable_private_segment 0
		.amdhsa_system_sgpr_workgroup_id_x 1
		.amdhsa_system_sgpr_workgroup_id_y 0
		.amdhsa_system_sgpr_workgroup_id_z 0
		.amdhsa_system_sgpr_workgroup_info 0
		.amdhsa_system_vgpr_workitem_id 0
		.amdhsa_next_free_vgpr 1
		.amdhsa_next_free_sgpr 0
		.amdhsa_accum_offset 4
		.amdhsa_reserve_vcc 0
		.amdhsa_float_round_mode_32 0
		.amdhsa_float_round_mode_16_64 0
		.amdhsa_float_denorm_mode_32 3
		.amdhsa_float_denorm_mode_16_64 3
		.amdhsa_dx10_clamp 1
		.amdhsa_ieee_mode 1
		.amdhsa_fp16_overflow 0
		.amdhsa_tg_split 0
		.amdhsa_exception_fp_ieee_invalid_op 0
		.amdhsa_exception_fp_denorm_src 0
		.amdhsa_exception_fp_ieee_div_zero 0
		.amdhsa_exception_fp_ieee_overflow 0
		.amdhsa_exception_fp_ieee_underflow 0
		.amdhsa_exception_fp_ieee_inexact 0
		.amdhsa_exception_int_div_zero 0
	.end_amdhsa_kernel
	.section	.text._ZN7rocprim17ROCPRIM_400000_NS6detail17trampoline_kernelINS0_14default_configENS1_25partition_config_selectorILNS1_17partition_subalgoE8ElNS0_10empty_typeEbEEZZNS1_14partition_implILS5_8ELb0ES3_jPKlPS6_PKS6_NS0_5tupleIJPlS6_EEENSE_IJSB_SB_EEENS0_18inequality_wrapperIN6hipcub16HIPCUB_304000_NS8EqualityEEESF_JS6_EEE10hipError_tPvRmT3_T4_T5_T6_T7_T9_mT8_P12ihipStream_tbDpT10_ENKUlT_T0_E_clISt17integral_constantIbLb1EES16_EEDaS11_S12_EUlS11_E_NS1_11comp_targetILNS1_3genE2ELNS1_11target_archE906ELNS1_3gpuE6ELNS1_3repE0EEENS1_30default_config_static_selectorELNS0_4arch9wavefront6targetE1EEEvT1_,"axG",@progbits,_ZN7rocprim17ROCPRIM_400000_NS6detail17trampoline_kernelINS0_14default_configENS1_25partition_config_selectorILNS1_17partition_subalgoE8ElNS0_10empty_typeEbEEZZNS1_14partition_implILS5_8ELb0ES3_jPKlPS6_PKS6_NS0_5tupleIJPlS6_EEENSE_IJSB_SB_EEENS0_18inequality_wrapperIN6hipcub16HIPCUB_304000_NS8EqualityEEESF_JS6_EEE10hipError_tPvRmT3_T4_T5_T6_T7_T9_mT8_P12ihipStream_tbDpT10_ENKUlT_T0_E_clISt17integral_constantIbLb1EES16_EEDaS11_S12_EUlS11_E_NS1_11comp_targetILNS1_3genE2ELNS1_11target_archE906ELNS1_3gpuE6ELNS1_3repE0EEENS1_30default_config_static_selectorELNS0_4arch9wavefront6targetE1EEEvT1_,comdat
.Lfunc_end238:
	.size	_ZN7rocprim17ROCPRIM_400000_NS6detail17trampoline_kernelINS0_14default_configENS1_25partition_config_selectorILNS1_17partition_subalgoE8ElNS0_10empty_typeEbEEZZNS1_14partition_implILS5_8ELb0ES3_jPKlPS6_PKS6_NS0_5tupleIJPlS6_EEENSE_IJSB_SB_EEENS0_18inequality_wrapperIN6hipcub16HIPCUB_304000_NS8EqualityEEESF_JS6_EEE10hipError_tPvRmT3_T4_T5_T6_T7_T9_mT8_P12ihipStream_tbDpT10_ENKUlT_T0_E_clISt17integral_constantIbLb1EES16_EEDaS11_S12_EUlS11_E_NS1_11comp_targetILNS1_3genE2ELNS1_11target_archE906ELNS1_3gpuE6ELNS1_3repE0EEENS1_30default_config_static_selectorELNS0_4arch9wavefront6targetE1EEEvT1_, .Lfunc_end238-_ZN7rocprim17ROCPRIM_400000_NS6detail17trampoline_kernelINS0_14default_configENS1_25partition_config_selectorILNS1_17partition_subalgoE8ElNS0_10empty_typeEbEEZZNS1_14partition_implILS5_8ELb0ES3_jPKlPS6_PKS6_NS0_5tupleIJPlS6_EEENSE_IJSB_SB_EEENS0_18inequality_wrapperIN6hipcub16HIPCUB_304000_NS8EqualityEEESF_JS6_EEE10hipError_tPvRmT3_T4_T5_T6_T7_T9_mT8_P12ihipStream_tbDpT10_ENKUlT_T0_E_clISt17integral_constantIbLb1EES16_EEDaS11_S12_EUlS11_E_NS1_11comp_targetILNS1_3genE2ELNS1_11target_archE906ELNS1_3gpuE6ELNS1_3repE0EEENS1_30default_config_static_selectorELNS0_4arch9wavefront6targetE1EEEvT1_
                                        ; -- End function
	.set _ZN7rocprim17ROCPRIM_400000_NS6detail17trampoline_kernelINS0_14default_configENS1_25partition_config_selectorILNS1_17partition_subalgoE8ElNS0_10empty_typeEbEEZZNS1_14partition_implILS5_8ELb0ES3_jPKlPS6_PKS6_NS0_5tupleIJPlS6_EEENSE_IJSB_SB_EEENS0_18inequality_wrapperIN6hipcub16HIPCUB_304000_NS8EqualityEEESF_JS6_EEE10hipError_tPvRmT3_T4_T5_T6_T7_T9_mT8_P12ihipStream_tbDpT10_ENKUlT_T0_E_clISt17integral_constantIbLb1EES16_EEDaS11_S12_EUlS11_E_NS1_11comp_targetILNS1_3genE2ELNS1_11target_archE906ELNS1_3gpuE6ELNS1_3repE0EEENS1_30default_config_static_selectorELNS0_4arch9wavefront6targetE1EEEvT1_.num_vgpr, 0
	.set _ZN7rocprim17ROCPRIM_400000_NS6detail17trampoline_kernelINS0_14default_configENS1_25partition_config_selectorILNS1_17partition_subalgoE8ElNS0_10empty_typeEbEEZZNS1_14partition_implILS5_8ELb0ES3_jPKlPS6_PKS6_NS0_5tupleIJPlS6_EEENSE_IJSB_SB_EEENS0_18inequality_wrapperIN6hipcub16HIPCUB_304000_NS8EqualityEEESF_JS6_EEE10hipError_tPvRmT3_T4_T5_T6_T7_T9_mT8_P12ihipStream_tbDpT10_ENKUlT_T0_E_clISt17integral_constantIbLb1EES16_EEDaS11_S12_EUlS11_E_NS1_11comp_targetILNS1_3genE2ELNS1_11target_archE906ELNS1_3gpuE6ELNS1_3repE0EEENS1_30default_config_static_selectorELNS0_4arch9wavefront6targetE1EEEvT1_.num_agpr, 0
	.set _ZN7rocprim17ROCPRIM_400000_NS6detail17trampoline_kernelINS0_14default_configENS1_25partition_config_selectorILNS1_17partition_subalgoE8ElNS0_10empty_typeEbEEZZNS1_14partition_implILS5_8ELb0ES3_jPKlPS6_PKS6_NS0_5tupleIJPlS6_EEENSE_IJSB_SB_EEENS0_18inequality_wrapperIN6hipcub16HIPCUB_304000_NS8EqualityEEESF_JS6_EEE10hipError_tPvRmT3_T4_T5_T6_T7_T9_mT8_P12ihipStream_tbDpT10_ENKUlT_T0_E_clISt17integral_constantIbLb1EES16_EEDaS11_S12_EUlS11_E_NS1_11comp_targetILNS1_3genE2ELNS1_11target_archE906ELNS1_3gpuE6ELNS1_3repE0EEENS1_30default_config_static_selectorELNS0_4arch9wavefront6targetE1EEEvT1_.numbered_sgpr, 0
	.set _ZN7rocprim17ROCPRIM_400000_NS6detail17trampoline_kernelINS0_14default_configENS1_25partition_config_selectorILNS1_17partition_subalgoE8ElNS0_10empty_typeEbEEZZNS1_14partition_implILS5_8ELb0ES3_jPKlPS6_PKS6_NS0_5tupleIJPlS6_EEENSE_IJSB_SB_EEENS0_18inequality_wrapperIN6hipcub16HIPCUB_304000_NS8EqualityEEESF_JS6_EEE10hipError_tPvRmT3_T4_T5_T6_T7_T9_mT8_P12ihipStream_tbDpT10_ENKUlT_T0_E_clISt17integral_constantIbLb1EES16_EEDaS11_S12_EUlS11_E_NS1_11comp_targetILNS1_3genE2ELNS1_11target_archE906ELNS1_3gpuE6ELNS1_3repE0EEENS1_30default_config_static_selectorELNS0_4arch9wavefront6targetE1EEEvT1_.num_named_barrier, 0
	.set _ZN7rocprim17ROCPRIM_400000_NS6detail17trampoline_kernelINS0_14default_configENS1_25partition_config_selectorILNS1_17partition_subalgoE8ElNS0_10empty_typeEbEEZZNS1_14partition_implILS5_8ELb0ES3_jPKlPS6_PKS6_NS0_5tupleIJPlS6_EEENSE_IJSB_SB_EEENS0_18inequality_wrapperIN6hipcub16HIPCUB_304000_NS8EqualityEEESF_JS6_EEE10hipError_tPvRmT3_T4_T5_T6_T7_T9_mT8_P12ihipStream_tbDpT10_ENKUlT_T0_E_clISt17integral_constantIbLb1EES16_EEDaS11_S12_EUlS11_E_NS1_11comp_targetILNS1_3genE2ELNS1_11target_archE906ELNS1_3gpuE6ELNS1_3repE0EEENS1_30default_config_static_selectorELNS0_4arch9wavefront6targetE1EEEvT1_.private_seg_size, 0
	.set _ZN7rocprim17ROCPRIM_400000_NS6detail17trampoline_kernelINS0_14default_configENS1_25partition_config_selectorILNS1_17partition_subalgoE8ElNS0_10empty_typeEbEEZZNS1_14partition_implILS5_8ELb0ES3_jPKlPS6_PKS6_NS0_5tupleIJPlS6_EEENSE_IJSB_SB_EEENS0_18inequality_wrapperIN6hipcub16HIPCUB_304000_NS8EqualityEEESF_JS6_EEE10hipError_tPvRmT3_T4_T5_T6_T7_T9_mT8_P12ihipStream_tbDpT10_ENKUlT_T0_E_clISt17integral_constantIbLb1EES16_EEDaS11_S12_EUlS11_E_NS1_11comp_targetILNS1_3genE2ELNS1_11target_archE906ELNS1_3gpuE6ELNS1_3repE0EEENS1_30default_config_static_selectorELNS0_4arch9wavefront6targetE1EEEvT1_.uses_vcc, 0
	.set _ZN7rocprim17ROCPRIM_400000_NS6detail17trampoline_kernelINS0_14default_configENS1_25partition_config_selectorILNS1_17partition_subalgoE8ElNS0_10empty_typeEbEEZZNS1_14partition_implILS5_8ELb0ES3_jPKlPS6_PKS6_NS0_5tupleIJPlS6_EEENSE_IJSB_SB_EEENS0_18inequality_wrapperIN6hipcub16HIPCUB_304000_NS8EqualityEEESF_JS6_EEE10hipError_tPvRmT3_T4_T5_T6_T7_T9_mT8_P12ihipStream_tbDpT10_ENKUlT_T0_E_clISt17integral_constantIbLb1EES16_EEDaS11_S12_EUlS11_E_NS1_11comp_targetILNS1_3genE2ELNS1_11target_archE906ELNS1_3gpuE6ELNS1_3repE0EEENS1_30default_config_static_selectorELNS0_4arch9wavefront6targetE1EEEvT1_.uses_flat_scratch, 0
	.set _ZN7rocprim17ROCPRIM_400000_NS6detail17trampoline_kernelINS0_14default_configENS1_25partition_config_selectorILNS1_17partition_subalgoE8ElNS0_10empty_typeEbEEZZNS1_14partition_implILS5_8ELb0ES3_jPKlPS6_PKS6_NS0_5tupleIJPlS6_EEENSE_IJSB_SB_EEENS0_18inequality_wrapperIN6hipcub16HIPCUB_304000_NS8EqualityEEESF_JS6_EEE10hipError_tPvRmT3_T4_T5_T6_T7_T9_mT8_P12ihipStream_tbDpT10_ENKUlT_T0_E_clISt17integral_constantIbLb1EES16_EEDaS11_S12_EUlS11_E_NS1_11comp_targetILNS1_3genE2ELNS1_11target_archE906ELNS1_3gpuE6ELNS1_3repE0EEENS1_30default_config_static_selectorELNS0_4arch9wavefront6targetE1EEEvT1_.has_dyn_sized_stack, 0
	.set _ZN7rocprim17ROCPRIM_400000_NS6detail17trampoline_kernelINS0_14default_configENS1_25partition_config_selectorILNS1_17partition_subalgoE8ElNS0_10empty_typeEbEEZZNS1_14partition_implILS5_8ELb0ES3_jPKlPS6_PKS6_NS0_5tupleIJPlS6_EEENSE_IJSB_SB_EEENS0_18inequality_wrapperIN6hipcub16HIPCUB_304000_NS8EqualityEEESF_JS6_EEE10hipError_tPvRmT3_T4_T5_T6_T7_T9_mT8_P12ihipStream_tbDpT10_ENKUlT_T0_E_clISt17integral_constantIbLb1EES16_EEDaS11_S12_EUlS11_E_NS1_11comp_targetILNS1_3genE2ELNS1_11target_archE906ELNS1_3gpuE6ELNS1_3repE0EEENS1_30default_config_static_selectorELNS0_4arch9wavefront6targetE1EEEvT1_.has_recursion, 0
	.set _ZN7rocprim17ROCPRIM_400000_NS6detail17trampoline_kernelINS0_14default_configENS1_25partition_config_selectorILNS1_17partition_subalgoE8ElNS0_10empty_typeEbEEZZNS1_14partition_implILS5_8ELb0ES3_jPKlPS6_PKS6_NS0_5tupleIJPlS6_EEENSE_IJSB_SB_EEENS0_18inequality_wrapperIN6hipcub16HIPCUB_304000_NS8EqualityEEESF_JS6_EEE10hipError_tPvRmT3_T4_T5_T6_T7_T9_mT8_P12ihipStream_tbDpT10_ENKUlT_T0_E_clISt17integral_constantIbLb1EES16_EEDaS11_S12_EUlS11_E_NS1_11comp_targetILNS1_3genE2ELNS1_11target_archE906ELNS1_3gpuE6ELNS1_3repE0EEENS1_30default_config_static_selectorELNS0_4arch9wavefront6targetE1EEEvT1_.has_indirect_call, 0
	.section	.AMDGPU.csdata,"",@progbits
; Kernel info:
; codeLenInByte = 0
; TotalNumSgprs: 6
; NumVgprs: 0
; NumAgprs: 0
; TotalNumVgprs: 0
; ScratchSize: 0
; MemoryBound: 0
; FloatMode: 240
; IeeeMode: 1
; LDSByteSize: 0 bytes/workgroup (compile time only)
; SGPRBlocks: 0
; VGPRBlocks: 0
; NumSGPRsForWavesPerEU: 6
; NumVGPRsForWavesPerEU: 1
; AccumOffset: 4
; Occupancy: 8
; WaveLimiterHint : 0
; COMPUTE_PGM_RSRC2:SCRATCH_EN: 0
; COMPUTE_PGM_RSRC2:USER_SGPR: 2
; COMPUTE_PGM_RSRC2:TRAP_HANDLER: 0
; COMPUTE_PGM_RSRC2:TGID_X_EN: 1
; COMPUTE_PGM_RSRC2:TGID_Y_EN: 0
; COMPUTE_PGM_RSRC2:TGID_Z_EN: 0
; COMPUTE_PGM_RSRC2:TIDIG_COMP_CNT: 0
; COMPUTE_PGM_RSRC3_GFX90A:ACCUM_OFFSET: 0
; COMPUTE_PGM_RSRC3_GFX90A:TG_SPLIT: 0
	.section	.text._ZN7rocprim17ROCPRIM_400000_NS6detail17trampoline_kernelINS0_14default_configENS1_25partition_config_selectorILNS1_17partition_subalgoE8ElNS0_10empty_typeEbEEZZNS1_14partition_implILS5_8ELb0ES3_jPKlPS6_PKS6_NS0_5tupleIJPlS6_EEENSE_IJSB_SB_EEENS0_18inequality_wrapperIN6hipcub16HIPCUB_304000_NS8EqualityEEESF_JS6_EEE10hipError_tPvRmT3_T4_T5_T6_T7_T9_mT8_P12ihipStream_tbDpT10_ENKUlT_T0_E_clISt17integral_constantIbLb1EES16_EEDaS11_S12_EUlS11_E_NS1_11comp_targetILNS1_3genE10ELNS1_11target_archE1200ELNS1_3gpuE4ELNS1_3repE0EEENS1_30default_config_static_selectorELNS0_4arch9wavefront6targetE1EEEvT1_,"axG",@progbits,_ZN7rocprim17ROCPRIM_400000_NS6detail17trampoline_kernelINS0_14default_configENS1_25partition_config_selectorILNS1_17partition_subalgoE8ElNS0_10empty_typeEbEEZZNS1_14partition_implILS5_8ELb0ES3_jPKlPS6_PKS6_NS0_5tupleIJPlS6_EEENSE_IJSB_SB_EEENS0_18inequality_wrapperIN6hipcub16HIPCUB_304000_NS8EqualityEEESF_JS6_EEE10hipError_tPvRmT3_T4_T5_T6_T7_T9_mT8_P12ihipStream_tbDpT10_ENKUlT_T0_E_clISt17integral_constantIbLb1EES16_EEDaS11_S12_EUlS11_E_NS1_11comp_targetILNS1_3genE10ELNS1_11target_archE1200ELNS1_3gpuE4ELNS1_3repE0EEENS1_30default_config_static_selectorELNS0_4arch9wavefront6targetE1EEEvT1_,comdat
	.protected	_ZN7rocprim17ROCPRIM_400000_NS6detail17trampoline_kernelINS0_14default_configENS1_25partition_config_selectorILNS1_17partition_subalgoE8ElNS0_10empty_typeEbEEZZNS1_14partition_implILS5_8ELb0ES3_jPKlPS6_PKS6_NS0_5tupleIJPlS6_EEENSE_IJSB_SB_EEENS0_18inequality_wrapperIN6hipcub16HIPCUB_304000_NS8EqualityEEESF_JS6_EEE10hipError_tPvRmT3_T4_T5_T6_T7_T9_mT8_P12ihipStream_tbDpT10_ENKUlT_T0_E_clISt17integral_constantIbLb1EES16_EEDaS11_S12_EUlS11_E_NS1_11comp_targetILNS1_3genE10ELNS1_11target_archE1200ELNS1_3gpuE4ELNS1_3repE0EEENS1_30default_config_static_selectorELNS0_4arch9wavefront6targetE1EEEvT1_ ; -- Begin function _ZN7rocprim17ROCPRIM_400000_NS6detail17trampoline_kernelINS0_14default_configENS1_25partition_config_selectorILNS1_17partition_subalgoE8ElNS0_10empty_typeEbEEZZNS1_14partition_implILS5_8ELb0ES3_jPKlPS6_PKS6_NS0_5tupleIJPlS6_EEENSE_IJSB_SB_EEENS0_18inequality_wrapperIN6hipcub16HIPCUB_304000_NS8EqualityEEESF_JS6_EEE10hipError_tPvRmT3_T4_T5_T6_T7_T9_mT8_P12ihipStream_tbDpT10_ENKUlT_T0_E_clISt17integral_constantIbLb1EES16_EEDaS11_S12_EUlS11_E_NS1_11comp_targetILNS1_3genE10ELNS1_11target_archE1200ELNS1_3gpuE4ELNS1_3repE0EEENS1_30default_config_static_selectorELNS0_4arch9wavefront6targetE1EEEvT1_
	.globl	_ZN7rocprim17ROCPRIM_400000_NS6detail17trampoline_kernelINS0_14default_configENS1_25partition_config_selectorILNS1_17partition_subalgoE8ElNS0_10empty_typeEbEEZZNS1_14partition_implILS5_8ELb0ES3_jPKlPS6_PKS6_NS0_5tupleIJPlS6_EEENSE_IJSB_SB_EEENS0_18inequality_wrapperIN6hipcub16HIPCUB_304000_NS8EqualityEEESF_JS6_EEE10hipError_tPvRmT3_T4_T5_T6_T7_T9_mT8_P12ihipStream_tbDpT10_ENKUlT_T0_E_clISt17integral_constantIbLb1EES16_EEDaS11_S12_EUlS11_E_NS1_11comp_targetILNS1_3genE10ELNS1_11target_archE1200ELNS1_3gpuE4ELNS1_3repE0EEENS1_30default_config_static_selectorELNS0_4arch9wavefront6targetE1EEEvT1_
	.p2align	8
	.type	_ZN7rocprim17ROCPRIM_400000_NS6detail17trampoline_kernelINS0_14default_configENS1_25partition_config_selectorILNS1_17partition_subalgoE8ElNS0_10empty_typeEbEEZZNS1_14partition_implILS5_8ELb0ES3_jPKlPS6_PKS6_NS0_5tupleIJPlS6_EEENSE_IJSB_SB_EEENS0_18inequality_wrapperIN6hipcub16HIPCUB_304000_NS8EqualityEEESF_JS6_EEE10hipError_tPvRmT3_T4_T5_T6_T7_T9_mT8_P12ihipStream_tbDpT10_ENKUlT_T0_E_clISt17integral_constantIbLb1EES16_EEDaS11_S12_EUlS11_E_NS1_11comp_targetILNS1_3genE10ELNS1_11target_archE1200ELNS1_3gpuE4ELNS1_3repE0EEENS1_30default_config_static_selectorELNS0_4arch9wavefront6targetE1EEEvT1_,@function
_ZN7rocprim17ROCPRIM_400000_NS6detail17trampoline_kernelINS0_14default_configENS1_25partition_config_selectorILNS1_17partition_subalgoE8ElNS0_10empty_typeEbEEZZNS1_14partition_implILS5_8ELb0ES3_jPKlPS6_PKS6_NS0_5tupleIJPlS6_EEENSE_IJSB_SB_EEENS0_18inequality_wrapperIN6hipcub16HIPCUB_304000_NS8EqualityEEESF_JS6_EEE10hipError_tPvRmT3_T4_T5_T6_T7_T9_mT8_P12ihipStream_tbDpT10_ENKUlT_T0_E_clISt17integral_constantIbLb1EES16_EEDaS11_S12_EUlS11_E_NS1_11comp_targetILNS1_3genE10ELNS1_11target_archE1200ELNS1_3gpuE4ELNS1_3repE0EEENS1_30default_config_static_selectorELNS0_4arch9wavefront6targetE1EEEvT1_: ; @_ZN7rocprim17ROCPRIM_400000_NS6detail17trampoline_kernelINS0_14default_configENS1_25partition_config_selectorILNS1_17partition_subalgoE8ElNS0_10empty_typeEbEEZZNS1_14partition_implILS5_8ELb0ES3_jPKlPS6_PKS6_NS0_5tupleIJPlS6_EEENSE_IJSB_SB_EEENS0_18inequality_wrapperIN6hipcub16HIPCUB_304000_NS8EqualityEEESF_JS6_EEE10hipError_tPvRmT3_T4_T5_T6_T7_T9_mT8_P12ihipStream_tbDpT10_ENKUlT_T0_E_clISt17integral_constantIbLb1EES16_EEDaS11_S12_EUlS11_E_NS1_11comp_targetILNS1_3genE10ELNS1_11target_archE1200ELNS1_3gpuE4ELNS1_3repE0EEENS1_30default_config_static_selectorELNS0_4arch9wavefront6targetE1EEEvT1_
; %bb.0:
	.section	.rodata,"a",@progbits
	.p2align	6, 0x0
	.amdhsa_kernel _ZN7rocprim17ROCPRIM_400000_NS6detail17trampoline_kernelINS0_14default_configENS1_25partition_config_selectorILNS1_17partition_subalgoE8ElNS0_10empty_typeEbEEZZNS1_14partition_implILS5_8ELb0ES3_jPKlPS6_PKS6_NS0_5tupleIJPlS6_EEENSE_IJSB_SB_EEENS0_18inequality_wrapperIN6hipcub16HIPCUB_304000_NS8EqualityEEESF_JS6_EEE10hipError_tPvRmT3_T4_T5_T6_T7_T9_mT8_P12ihipStream_tbDpT10_ENKUlT_T0_E_clISt17integral_constantIbLb1EES16_EEDaS11_S12_EUlS11_E_NS1_11comp_targetILNS1_3genE10ELNS1_11target_archE1200ELNS1_3gpuE4ELNS1_3repE0EEENS1_30default_config_static_selectorELNS0_4arch9wavefront6targetE1EEEvT1_
		.amdhsa_group_segment_fixed_size 0
		.amdhsa_private_segment_fixed_size 0
		.amdhsa_kernarg_size 128
		.amdhsa_user_sgpr_count 2
		.amdhsa_user_sgpr_dispatch_ptr 0
		.amdhsa_user_sgpr_queue_ptr 0
		.amdhsa_user_sgpr_kernarg_segment_ptr 1
		.amdhsa_user_sgpr_dispatch_id 0
		.amdhsa_user_sgpr_kernarg_preload_length 0
		.amdhsa_user_sgpr_kernarg_preload_offset 0
		.amdhsa_user_sgpr_private_segment_size 0
		.amdhsa_uses_dynamic_stack 0
		.amdhsa_enable_private_segment 0
		.amdhsa_system_sgpr_workgroup_id_x 1
		.amdhsa_system_sgpr_workgroup_id_y 0
		.amdhsa_system_sgpr_workgroup_id_z 0
		.amdhsa_system_sgpr_workgroup_info 0
		.amdhsa_system_vgpr_workitem_id 0
		.amdhsa_next_free_vgpr 1
		.amdhsa_next_free_sgpr 0
		.amdhsa_accum_offset 4
		.amdhsa_reserve_vcc 0
		.amdhsa_float_round_mode_32 0
		.amdhsa_float_round_mode_16_64 0
		.amdhsa_float_denorm_mode_32 3
		.amdhsa_float_denorm_mode_16_64 3
		.amdhsa_dx10_clamp 1
		.amdhsa_ieee_mode 1
		.amdhsa_fp16_overflow 0
		.amdhsa_tg_split 0
		.amdhsa_exception_fp_ieee_invalid_op 0
		.amdhsa_exception_fp_denorm_src 0
		.amdhsa_exception_fp_ieee_div_zero 0
		.amdhsa_exception_fp_ieee_overflow 0
		.amdhsa_exception_fp_ieee_underflow 0
		.amdhsa_exception_fp_ieee_inexact 0
		.amdhsa_exception_int_div_zero 0
	.end_amdhsa_kernel
	.section	.text._ZN7rocprim17ROCPRIM_400000_NS6detail17trampoline_kernelINS0_14default_configENS1_25partition_config_selectorILNS1_17partition_subalgoE8ElNS0_10empty_typeEbEEZZNS1_14partition_implILS5_8ELb0ES3_jPKlPS6_PKS6_NS0_5tupleIJPlS6_EEENSE_IJSB_SB_EEENS0_18inequality_wrapperIN6hipcub16HIPCUB_304000_NS8EqualityEEESF_JS6_EEE10hipError_tPvRmT3_T4_T5_T6_T7_T9_mT8_P12ihipStream_tbDpT10_ENKUlT_T0_E_clISt17integral_constantIbLb1EES16_EEDaS11_S12_EUlS11_E_NS1_11comp_targetILNS1_3genE10ELNS1_11target_archE1200ELNS1_3gpuE4ELNS1_3repE0EEENS1_30default_config_static_selectorELNS0_4arch9wavefront6targetE1EEEvT1_,"axG",@progbits,_ZN7rocprim17ROCPRIM_400000_NS6detail17trampoline_kernelINS0_14default_configENS1_25partition_config_selectorILNS1_17partition_subalgoE8ElNS0_10empty_typeEbEEZZNS1_14partition_implILS5_8ELb0ES3_jPKlPS6_PKS6_NS0_5tupleIJPlS6_EEENSE_IJSB_SB_EEENS0_18inequality_wrapperIN6hipcub16HIPCUB_304000_NS8EqualityEEESF_JS6_EEE10hipError_tPvRmT3_T4_T5_T6_T7_T9_mT8_P12ihipStream_tbDpT10_ENKUlT_T0_E_clISt17integral_constantIbLb1EES16_EEDaS11_S12_EUlS11_E_NS1_11comp_targetILNS1_3genE10ELNS1_11target_archE1200ELNS1_3gpuE4ELNS1_3repE0EEENS1_30default_config_static_selectorELNS0_4arch9wavefront6targetE1EEEvT1_,comdat
.Lfunc_end239:
	.size	_ZN7rocprim17ROCPRIM_400000_NS6detail17trampoline_kernelINS0_14default_configENS1_25partition_config_selectorILNS1_17partition_subalgoE8ElNS0_10empty_typeEbEEZZNS1_14partition_implILS5_8ELb0ES3_jPKlPS6_PKS6_NS0_5tupleIJPlS6_EEENSE_IJSB_SB_EEENS0_18inequality_wrapperIN6hipcub16HIPCUB_304000_NS8EqualityEEESF_JS6_EEE10hipError_tPvRmT3_T4_T5_T6_T7_T9_mT8_P12ihipStream_tbDpT10_ENKUlT_T0_E_clISt17integral_constantIbLb1EES16_EEDaS11_S12_EUlS11_E_NS1_11comp_targetILNS1_3genE10ELNS1_11target_archE1200ELNS1_3gpuE4ELNS1_3repE0EEENS1_30default_config_static_selectorELNS0_4arch9wavefront6targetE1EEEvT1_, .Lfunc_end239-_ZN7rocprim17ROCPRIM_400000_NS6detail17trampoline_kernelINS0_14default_configENS1_25partition_config_selectorILNS1_17partition_subalgoE8ElNS0_10empty_typeEbEEZZNS1_14partition_implILS5_8ELb0ES3_jPKlPS6_PKS6_NS0_5tupleIJPlS6_EEENSE_IJSB_SB_EEENS0_18inequality_wrapperIN6hipcub16HIPCUB_304000_NS8EqualityEEESF_JS6_EEE10hipError_tPvRmT3_T4_T5_T6_T7_T9_mT8_P12ihipStream_tbDpT10_ENKUlT_T0_E_clISt17integral_constantIbLb1EES16_EEDaS11_S12_EUlS11_E_NS1_11comp_targetILNS1_3genE10ELNS1_11target_archE1200ELNS1_3gpuE4ELNS1_3repE0EEENS1_30default_config_static_selectorELNS0_4arch9wavefront6targetE1EEEvT1_
                                        ; -- End function
	.set _ZN7rocprim17ROCPRIM_400000_NS6detail17trampoline_kernelINS0_14default_configENS1_25partition_config_selectorILNS1_17partition_subalgoE8ElNS0_10empty_typeEbEEZZNS1_14partition_implILS5_8ELb0ES3_jPKlPS6_PKS6_NS0_5tupleIJPlS6_EEENSE_IJSB_SB_EEENS0_18inequality_wrapperIN6hipcub16HIPCUB_304000_NS8EqualityEEESF_JS6_EEE10hipError_tPvRmT3_T4_T5_T6_T7_T9_mT8_P12ihipStream_tbDpT10_ENKUlT_T0_E_clISt17integral_constantIbLb1EES16_EEDaS11_S12_EUlS11_E_NS1_11comp_targetILNS1_3genE10ELNS1_11target_archE1200ELNS1_3gpuE4ELNS1_3repE0EEENS1_30default_config_static_selectorELNS0_4arch9wavefront6targetE1EEEvT1_.num_vgpr, 0
	.set _ZN7rocprim17ROCPRIM_400000_NS6detail17trampoline_kernelINS0_14default_configENS1_25partition_config_selectorILNS1_17partition_subalgoE8ElNS0_10empty_typeEbEEZZNS1_14partition_implILS5_8ELb0ES3_jPKlPS6_PKS6_NS0_5tupleIJPlS6_EEENSE_IJSB_SB_EEENS0_18inequality_wrapperIN6hipcub16HIPCUB_304000_NS8EqualityEEESF_JS6_EEE10hipError_tPvRmT3_T4_T5_T6_T7_T9_mT8_P12ihipStream_tbDpT10_ENKUlT_T0_E_clISt17integral_constantIbLb1EES16_EEDaS11_S12_EUlS11_E_NS1_11comp_targetILNS1_3genE10ELNS1_11target_archE1200ELNS1_3gpuE4ELNS1_3repE0EEENS1_30default_config_static_selectorELNS0_4arch9wavefront6targetE1EEEvT1_.num_agpr, 0
	.set _ZN7rocprim17ROCPRIM_400000_NS6detail17trampoline_kernelINS0_14default_configENS1_25partition_config_selectorILNS1_17partition_subalgoE8ElNS0_10empty_typeEbEEZZNS1_14partition_implILS5_8ELb0ES3_jPKlPS6_PKS6_NS0_5tupleIJPlS6_EEENSE_IJSB_SB_EEENS0_18inequality_wrapperIN6hipcub16HIPCUB_304000_NS8EqualityEEESF_JS6_EEE10hipError_tPvRmT3_T4_T5_T6_T7_T9_mT8_P12ihipStream_tbDpT10_ENKUlT_T0_E_clISt17integral_constantIbLb1EES16_EEDaS11_S12_EUlS11_E_NS1_11comp_targetILNS1_3genE10ELNS1_11target_archE1200ELNS1_3gpuE4ELNS1_3repE0EEENS1_30default_config_static_selectorELNS0_4arch9wavefront6targetE1EEEvT1_.numbered_sgpr, 0
	.set _ZN7rocprim17ROCPRIM_400000_NS6detail17trampoline_kernelINS0_14default_configENS1_25partition_config_selectorILNS1_17partition_subalgoE8ElNS0_10empty_typeEbEEZZNS1_14partition_implILS5_8ELb0ES3_jPKlPS6_PKS6_NS0_5tupleIJPlS6_EEENSE_IJSB_SB_EEENS0_18inequality_wrapperIN6hipcub16HIPCUB_304000_NS8EqualityEEESF_JS6_EEE10hipError_tPvRmT3_T4_T5_T6_T7_T9_mT8_P12ihipStream_tbDpT10_ENKUlT_T0_E_clISt17integral_constantIbLb1EES16_EEDaS11_S12_EUlS11_E_NS1_11comp_targetILNS1_3genE10ELNS1_11target_archE1200ELNS1_3gpuE4ELNS1_3repE0EEENS1_30default_config_static_selectorELNS0_4arch9wavefront6targetE1EEEvT1_.num_named_barrier, 0
	.set _ZN7rocprim17ROCPRIM_400000_NS6detail17trampoline_kernelINS0_14default_configENS1_25partition_config_selectorILNS1_17partition_subalgoE8ElNS0_10empty_typeEbEEZZNS1_14partition_implILS5_8ELb0ES3_jPKlPS6_PKS6_NS0_5tupleIJPlS6_EEENSE_IJSB_SB_EEENS0_18inequality_wrapperIN6hipcub16HIPCUB_304000_NS8EqualityEEESF_JS6_EEE10hipError_tPvRmT3_T4_T5_T6_T7_T9_mT8_P12ihipStream_tbDpT10_ENKUlT_T0_E_clISt17integral_constantIbLb1EES16_EEDaS11_S12_EUlS11_E_NS1_11comp_targetILNS1_3genE10ELNS1_11target_archE1200ELNS1_3gpuE4ELNS1_3repE0EEENS1_30default_config_static_selectorELNS0_4arch9wavefront6targetE1EEEvT1_.private_seg_size, 0
	.set _ZN7rocprim17ROCPRIM_400000_NS6detail17trampoline_kernelINS0_14default_configENS1_25partition_config_selectorILNS1_17partition_subalgoE8ElNS0_10empty_typeEbEEZZNS1_14partition_implILS5_8ELb0ES3_jPKlPS6_PKS6_NS0_5tupleIJPlS6_EEENSE_IJSB_SB_EEENS0_18inequality_wrapperIN6hipcub16HIPCUB_304000_NS8EqualityEEESF_JS6_EEE10hipError_tPvRmT3_T4_T5_T6_T7_T9_mT8_P12ihipStream_tbDpT10_ENKUlT_T0_E_clISt17integral_constantIbLb1EES16_EEDaS11_S12_EUlS11_E_NS1_11comp_targetILNS1_3genE10ELNS1_11target_archE1200ELNS1_3gpuE4ELNS1_3repE0EEENS1_30default_config_static_selectorELNS0_4arch9wavefront6targetE1EEEvT1_.uses_vcc, 0
	.set _ZN7rocprim17ROCPRIM_400000_NS6detail17trampoline_kernelINS0_14default_configENS1_25partition_config_selectorILNS1_17partition_subalgoE8ElNS0_10empty_typeEbEEZZNS1_14partition_implILS5_8ELb0ES3_jPKlPS6_PKS6_NS0_5tupleIJPlS6_EEENSE_IJSB_SB_EEENS0_18inequality_wrapperIN6hipcub16HIPCUB_304000_NS8EqualityEEESF_JS6_EEE10hipError_tPvRmT3_T4_T5_T6_T7_T9_mT8_P12ihipStream_tbDpT10_ENKUlT_T0_E_clISt17integral_constantIbLb1EES16_EEDaS11_S12_EUlS11_E_NS1_11comp_targetILNS1_3genE10ELNS1_11target_archE1200ELNS1_3gpuE4ELNS1_3repE0EEENS1_30default_config_static_selectorELNS0_4arch9wavefront6targetE1EEEvT1_.uses_flat_scratch, 0
	.set _ZN7rocprim17ROCPRIM_400000_NS6detail17trampoline_kernelINS0_14default_configENS1_25partition_config_selectorILNS1_17partition_subalgoE8ElNS0_10empty_typeEbEEZZNS1_14partition_implILS5_8ELb0ES3_jPKlPS6_PKS6_NS0_5tupleIJPlS6_EEENSE_IJSB_SB_EEENS0_18inequality_wrapperIN6hipcub16HIPCUB_304000_NS8EqualityEEESF_JS6_EEE10hipError_tPvRmT3_T4_T5_T6_T7_T9_mT8_P12ihipStream_tbDpT10_ENKUlT_T0_E_clISt17integral_constantIbLb1EES16_EEDaS11_S12_EUlS11_E_NS1_11comp_targetILNS1_3genE10ELNS1_11target_archE1200ELNS1_3gpuE4ELNS1_3repE0EEENS1_30default_config_static_selectorELNS0_4arch9wavefront6targetE1EEEvT1_.has_dyn_sized_stack, 0
	.set _ZN7rocprim17ROCPRIM_400000_NS6detail17trampoline_kernelINS0_14default_configENS1_25partition_config_selectorILNS1_17partition_subalgoE8ElNS0_10empty_typeEbEEZZNS1_14partition_implILS5_8ELb0ES3_jPKlPS6_PKS6_NS0_5tupleIJPlS6_EEENSE_IJSB_SB_EEENS0_18inequality_wrapperIN6hipcub16HIPCUB_304000_NS8EqualityEEESF_JS6_EEE10hipError_tPvRmT3_T4_T5_T6_T7_T9_mT8_P12ihipStream_tbDpT10_ENKUlT_T0_E_clISt17integral_constantIbLb1EES16_EEDaS11_S12_EUlS11_E_NS1_11comp_targetILNS1_3genE10ELNS1_11target_archE1200ELNS1_3gpuE4ELNS1_3repE0EEENS1_30default_config_static_selectorELNS0_4arch9wavefront6targetE1EEEvT1_.has_recursion, 0
	.set _ZN7rocprim17ROCPRIM_400000_NS6detail17trampoline_kernelINS0_14default_configENS1_25partition_config_selectorILNS1_17partition_subalgoE8ElNS0_10empty_typeEbEEZZNS1_14partition_implILS5_8ELb0ES3_jPKlPS6_PKS6_NS0_5tupleIJPlS6_EEENSE_IJSB_SB_EEENS0_18inequality_wrapperIN6hipcub16HIPCUB_304000_NS8EqualityEEESF_JS6_EEE10hipError_tPvRmT3_T4_T5_T6_T7_T9_mT8_P12ihipStream_tbDpT10_ENKUlT_T0_E_clISt17integral_constantIbLb1EES16_EEDaS11_S12_EUlS11_E_NS1_11comp_targetILNS1_3genE10ELNS1_11target_archE1200ELNS1_3gpuE4ELNS1_3repE0EEENS1_30default_config_static_selectorELNS0_4arch9wavefront6targetE1EEEvT1_.has_indirect_call, 0
	.section	.AMDGPU.csdata,"",@progbits
; Kernel info:
; codeLenInByte = 0
; TotalNumSgprs: 6
; NumVgprs: 0
; NumAgprs: 0
; TotalNumVgprs: 0
; ScratchSize: 0
; MemoryBound: 0
; FloatMode: 240
; IeeeMode: 1
; LDSByteSize: 0 bytes/workgroup (compile time only)
; SGPRBlocks: 0
; VGPRBlocks: 0
; NumSGPRsForWavesPerEU: 6
; NumVGPRsForWavesPerEU: 1
; AccumOffset: 4
; Occupancy: 8
; WaveLimiterHint : 0
; COMPUTE_PGM_RSRC2:SCRATCH_EN: 0
; COMPUTE_PGM_RSRC2:USER_SGPR: 2
; COMPUTE_PGM_RSRC2:TRAP_HANDLER: 0
; COMPUTE_PGM_RSRC2:TGID_X_EN: 1
; COMPUTE_PGM_RSRC2:TGID_Y_EN: 0
; COMPUTE_PGM_RSRC2:TGID_Z_EN: 0
; COMPUTE_PGM_RSRC2:TIDIG_COMP_CNT: 0
; COMPUTE_PGM_RSRC3_GFX90A:ACCUM_OFFSET: 0
; COMPUTE_PGM_RSRC3_GFX90A:TG_SPLIT: 0
	.section	.text._ZN7rocprim17ROCPRIM_400000_NS6detail17trampoline_kernelINS0_14default_configENS1_25partition_config_selectorILNS1_17partition_subalgoE8ElNS0_10empty_typeEbEEZZNS1_14partition_implILS5_8ELb0ES3_jPKlPS6_PKS6_NS0_5tupleIJPlS6_EEENSE_IJSB_SB_EEENS0_18inequality_wrapperIN6hipcub16HIPCUB_304000_NS8EqualityEEESF_JS6_EEE10hipError_tPvRmT3_T4_T5_T6_T7_T9_mT8_P12ihipStream_tbDpT10_ENKUlT_T0_E_clISt17integral_constantIbLb1EES16_EEDaS11_S12_EUlS11_E_NS1_11comp_targetILNS1_3genE9ELNS1_11target_archE1100ELNS1_3gpuE3ELNS1_3repE0EEENS1_30default_config_static_selectorELNS0_4arch9wavefront6targetE1EEEvT1_,"axG",@progbits,_ZN7rocprim17ROCPRIM_400000_NS6detail17trampoline_kernelINS0_14default_configENS1_25partition_config_selectorILNS1_17partition_subalgoE8ElNS0_10empty_typeEbEEZZNS1_14partition_implILS5_8ELb0ES3_jPKlPS6_PKS6_NS0_5tupleIJPlS6_EEENSE_IJSB_SB_EEENS0_18inequality_wrapperIN6hipcub16HIPCUB_304000_NS8EqualityEEESF_JS6_EEE10hipError_tPvRmT3_T4_T5_T6_T7_T9_mT8_P12ihipStream_tbDpT10_ENKUlT_T0_E_clISt17integral_constantIbLb1EES16_EEDaS11_S12_EUlS11_E_NS1_11comp_targetILNS1_3genE9ELNS1_11target_archE1100ELNS1_3gpuE3ELNS1_3repE0EEENS1_30default_config_static_selectorELNS0_4arch9wavefront6targetE1EEEvT1_,comdat
	.protected	_ZN7rocprim17ROCPRIM_400000_NS6detail17trampoline_kernelINS0_14default_configENS1_25partition_config_selectorILNS1_17partition_subalgoE8ElNS0_10empty_typeEbEEZZNS1_14partition_implILS5_8ELb0ES3_jPKlPS6_PKS6_NS0_5tupleIJPlS6_EEENSE_IJSB_SB_EEENS0_18inequality_wrapperIN6hipcub16HIPCUB_304000_NS8EqualityEEESF_JS6_EEE10hipError_tPvRmT3_T4_T5_T6_T7_T9_mT8_P12ihipStream_tbDpT10_ENKUlT_T0_E_clISt17integral_constantIbLb1EES16_EEDaS11_S12_EUlS11_E_NS1_11comp_targetILNS1_3genE9ELNS1_11target_archE1100ELNS1_3gpuE3ELNS1_3repE0EEENS1_30default_config_static_selectorELNS0_4arch9wavefront6targetE1EEEvT1_ ; -- Begin function _ZN7rocprim17ROCPRIM_400000_NS6detail17trampoline_kernelINS0_14default_configENS1_25partition_config_selectorILNS1_17partition_subalgoE8ElNS0_10empty_typeEbEEZZNS1_14partition_implILS5_8ELb0ES3_jPKlPS6_PKS6_NS0_5tupleIJPlS6_EEENSE_IJSB_SB_EEENS0_18inequality_wrapperIN6hipcub16HIPCUB_304000_NS8EqualityEEESF_JS6_EEE10hipError_tPvRmT3_T4_T5_T6_T7_T9_mT8_P12ihipStream_tbDpT10_ENKUlT_T0_E_clISt17integral_constantIbLb1EES16_EEDaS11_S12_EUlS11_E_NS1_11comp_targetILNS1_3genE9ELNS1_11target_archE1100ELNS1_3gpuE3ELNS1_3repE0EEENS1_30default_config_static_selectorELNS0_4arch9wavefront6targetE1EEEvT1_
	.globl	_ZN7rocprim17ROCPRIM_400000_NS6detail17trampoline_kernelINS0_14default_configENS1_25partition_config_selectorILNS1_17partition_subalgoE8ElNS0_10empty_typeEbEEZZNS1_14partition_implILS5_8ELb0ES3_jPKlPS6_PKS6_NS0_5tupleIJPlS6_EEENSE_IJSB_SB_EEENS0_18inequality_wrapperIN6hipcub16HIPCUB_304000_NS8EqualityEEESF_JS6_EEE10hipError_tPvRmT3_T4_T5_T6_T7_T9_mT8_P12ihipStream_tbDpT10_ENKUlT_T0_E_clISt17integral_constantIbLb1EES16_EEDaS11_S12_EUlS11_E_NS1_11comp_targetILNS1_3genE9ELNS1_11target_archE1100ELNS1_3gpuE3ELNS1_3repE0EEENS1_30default_config_static_selectorELNS0_4arch9wavefront6targetE1EEEvT1_
	.p2align	8
	.type	_ZN7rocprim17ROCPRIM_400000_NS6detail17trampoline_kernelINS0_14default_configENS1_25partition_config_selectorILNS1_17partition_subalgoE8ElNS0_10empty_typeEbEEZZNS1_14partition_implILS5_8ELb0ES3_jPKlPS6_PKS6_NS0_5tupleIJPlS6_EEENSE_IJSB_SB_EEENS0_18inequality_wrapperIN6hipcub16HIPCUB_304000_NS8EqualityEEESF_JS6_EEE10hipError_tPvRmT3_T4_T5_T6_T7_T9_mT8_P12ihipStream_tbDpT10_ENKUlT_T0_E_clISt17integral_constantIbLb1EES16_EEDaS11_S12_EUlS11_E_NS1_11comp_targetILNS1_3genE9ELNS1_11target_archE1100ELNS1_3gpuE3ELNS1_3repE0EEENS1_30default_config_static_selectorELNS0_4arch9wavefront6targetE1EEEvT1_,@function
_ZN7rocprim17ROCPRIM_400000_NS6detail17trampoline_kernelINS0_14default_configENS1_25partition_config_selectorILNS1_17partition_subalgoE8ElNS0_10empty_typeEbEEZZNS1_14partition_implILS5_8ELb0ES3_jPKlPS6_PKS6_NS0_5tupleIJPlS6_EEENSE_IJSB_SB_EEENS0_18inequality_wrapperIN6hipcub16HIPCUB_304000_NS8EqualityEEESF_JS6_EEE10hipError_tPvRmT3_T4_T5_T6_T7_T9_mT8_P12ihipStream_tbDpT10_ENKUlT_T0_E_clISt17integral_constantIbLb1EES16_EEDaS11_S12_EUlS11_E_NS1_11comp_targetILNS1_3genE9ELNS1_11target_archE1100ELNS1_3gpuE3ELNS1_3repE0EEENS1_30default_config_static_selectorELNS0_4arch9wavefront6targetE1EEEvT1_: ; @_ZN7rocprim17ROCPRIM_400000_NS6detail17trampoline_kernelINS0_14default_configENS1_25partition_config_selectorILNS1_17partition_subalgoE8ElNS0_10empty_typeEbEEZZNS1_14partition_implILS5_8ELb0ES3_jPKlPS6_PKS6_NS0_5tupleIJPlS6_EEENSE_IJSB_SB_EEENS0_18inequality_wrapperIN6hipcub16HIPCUB_304000_NS8EqualityEEESF_JS6_EEE10hipError_tPvRmT3_T4_T5_T6_T7_T9_mT8_P12ihipStream_tbDpT10_ENKUlT_T0_E_clISt17integral_constantIbLb1EES16_EEDaS11_S12_EUlS11_E_NS1_11comp_targetILNS1_3genE9ELNS1_11target_archE1100ELNS1_3gpuE3ELNS1_3repE0EEENS1_30default_config_static_selectorELNS0_4arch9wavefront6targetE1EEEvT1_
; %bb.0:
	.section	.rodata,"a",@progbits
	.p2align	6, 0x0
	.amdhsa_kernel _ZN7rocprim17ROCPRIM_400000_NS6detail17trampoline_kernelINS0_14default_configENS1_25partition_config_selectorILNS1_17partition_subalgoE8ElNS0_10empty_typeEbEEZZNS1_14partition_implILS5_8ELb0ES3_jPKlPS6_PKS6_NS0_5tupleIJPlS6_EEENSE_IJSB_SB_EEENS0_18inequality_wrapperIN6hipcub16HIPCUB_304000_NS8EqualityEEESF_JS6_EEE10hipError_tPvRmT3_T4_T5_T6_T7_T9_mT8_P12ihipStream_tbDpT10_ENKUlT_T0_E_clISt17integral_constantIbLb1EES16_EEDaS11_S12_EUlS11_E_NS1_11comp_targetILNS1_3genE9ELNS1_11target_archE1100ELNS1_3gpuE3ELNS1_3repE0EEENS1_30default_config_static_selectorELNS0_4arch9wavefront6targetE1EEEvT1_
		.amdhsa_group_segment_fixed_size 0
		.amdhsa_private_segment_fixed_size 0
		.amdhsa_kernarg_size 128
		.amdhsa_user_sgpr_count 2
		.amdhsa_user_sgpr_dispatch_ptr 0
		.amdhsa_user_sgpr_queue_ptr 0
		.amdhsa_user_sgpr_kernarg_segment_ptr 1
		.amdhsa_user_sgpr_dispatch_id 0
		.amdhsa_user_sgpr_kernarg_preload_length 0
		.amdhsa_user_sgpr_kernarg_preload_offset 0
		.amdhsa_user_sgpr_private_segment_size 0
		.amdhsa_uses_dynamic_stack 0
		.amdhsa_enable_private_segment 0
		.amdhsa_system_sgpr_workgroup_id_x 1
		.amdhsa_system_sgpr_workgroup_id_y 0
		.amdhsa_system_sgpr_workgroup_id_z 0
		.amdhsa_system_sgpr_workgroup_info 0
		.amdhsa_system_vgpr_workitem_id 0
		.amdhsa_next_free_vgpr 1
		.amdhsa_next_free_sgpr 0
		.amdhsa_accum_offset 4
		.amdhsa_reserve_vcc 0
		.amdhsa_float_round_mode_32 0
		.amdhsa_float_round_mode_16_64 0
		.amdhsa_float_denorm_mode_32 3
		.amdhsa_float_denorm_mode_16_64 3
		.amdhsa_dx10_clamp 1
		.amdhsa_ieee_mode 1
		.amdhsa_fp16_overflow 0
		.amdhsa_tg_split 0
		.amdhsa_exception_fp_ieee_invalid_op 0
		.amdhsa_exception_fp_denorm_src 0
		.amdhsa_exception_fp_ieee_div_zero 0
		.amdhsa_exception_fp_ieee_overflow 0
		.amdhsa_exception_fp_ieee_underflow 0
		.amdhsa_exception_fp_ieee_inexact 0
		.amdhsa_exception_int_div_zero 0
	.end_amdhsa_kernel
	.section	.text._ZN7rocprim17ROCPRIM_400000_NS6detail17trampoline_kernelINS0_14default_configENS1_25partition_config_selectorILNS1_17partition_subalgoE8ElNS0_10empty_typeEbEEZZNS1_14partition_implILS5_8ELb0ES3_jPKlPS6_PKS6_NS0_5tupleIJPlS6_EEENSE_IJSB_SB_EEENS0_18inequality_wrapperIN6hipcub16HIPCUB_304000_NS8EqualityEEESF_JS6_EEE10hipError_tPvRmT3_T4_T5_T6_T7_T9_mT8_P12ihipStream_tbDpT10_ENKUlT_T0_E_clISt17integral_constantIbLb1EES16_EEDaS11_S12_EUlS11_E_NS1_11comp_targetILNS1_3genE9ELNS1_11target_archE1100ELNS1_3gpuE3ELNS1_3repE0EEENS1_30default_config_static_selectorELNS0_4arch9wavefront6targetE1EEEvT1_,"axG",@progbits,_ZN7rocprim17ROCPRIM_400000_NS6detail17trampoline_kernelINS0_14default_configENS1_25partition_config_selectorILNS1_17partition_subalgoE8ElNS0_10empty_typeEbEEZZNS1_14partition_implILS5_8ELb0ES3_jPKlPS6_PKS6_NS0_5tupleIJPlS6_EEENSE_IJSB_SB_EEENS0_18inequality_wrapperIN6hipcub16HIPCUB_304000_NS8EqualityEEESF_JS6_EEE10hipError_tPvRmT3_T4_T5_T6_T7_T9_mT8_P12ihipStream_tbDpT10_ENKUlT_T0_E_clISt17integral_constantIbLb1EES16_EEDaS11_S12_EUlS11_E_NS1_11comp_targetILNS1_3genE9ELNS1_11target_archE1100ELNS1_3gpuE3ELNS1_3repE0EEENS1_30default_config_static_selectorELNS0_4arch9wavefront6targetE1EEEvT1_,comdat
.Lfunc_end240:
	.size	_ZN7rocprim17ROCPRIM_400000_NS6detail17trampoline_kernelINS0_14default_configENS1_25partition_config_selectorILNS1_17partition_subalgoE8ElNS0_10empty_typeEbEEZZNS1_14partition_implILS5_8ELb0ES3_jPKlPS6_PKS6_NS0_5tupleIJPlS6_EEENSE_IJSB_SB_EEENS0_18inequality_wrapperIN6hipcub16HIPCUB_304000_NS8EqualityEEESF_JS6_EEE10hipError_tPvRmT3_T4_T5_T6_T7_T9_mT8_P12ihipStream_tbDpT10_ENKUlT_T0_E_clISt17integral_constantIbLb1EES16_EEDaS11_S12_EUlS11_E_NS1_11comp_targetILNS1_3genE9ELNS1_11target_archE1100ELNS1_3gpuE3ELNS1_3repE0EEENS1_30default_config_static_selectorELNS0_4arch9wavefront6targetE1EEEvT1_, .Lfunc_end240-_ZN7rocprim17ROCPRIM_400000_NS6detail17trampoline_kernelINS0_14default_configENS1_25partition_config_selectorILNS1_17partition_subalgoE8ElNS0_10empty_typeEbEEZZNS1_14partition_implILS5_8ELb0ES3_jPKlPS6_PKS6_NS0_5tupleIJPlS6_EEENSE_IJSB_SB_EEENS0_18inequality_wrapperIN6hipcub16HIPCUB_304000_NS8EqualityEEESF_JS6_EEE10hipError_tPvRmT3_T4_T5_T6_T7_T9_mT8_P12ihipStream_tbDpT10_ENKUlT_T0_E_clISt17integral_constantIbLb1EES16_EEDaS11_S12_EUlS11_E_NS1_11comp_targetILNS1_3genE9ELNS1_11target_archE1100ELNS1_3gpuE3ELNS1_3repE0EEENS1_30default_config_static_selectorELNS0_4arch9wavefront6targetE1EEEvT1_
                                        ; -- End function
	.set _ZN7rocprim17ROCPRIM_400000_NS6detail17trampoline_kernelINS0_14default_configENS1_25partition_config_selectorILNS1_17partition_subalgoE8ElNS0_10empty_typeEbEEZZNS1_14partition_implILS5_8ELb0ES3_jPKlPS6_PKS6_NS0_5tupleIJPlS6_EEENSE_IJSB_SB_EEENS0_18inequality_wrapperIN6hipcub16HIPCUB_304000_NS8EqualityEEESF_JS6_EEE10hipError_tPvRmT3_T4_T5_T6_T7_T9_mT8_P12ihipStream_tbDpT10_ENKUlT_T0_E_clISt17integral_constantIbLb1EES16_EEDaS11_S12_EUlS11_E_NS1_11comp_targetILNS1_3genE9ELNS1_11target_archE1100ELNS1_3gpuE3ELNS1_3repE0EEENS1_30default_config_static_selectorELNS0_4arch9wavefront6targetE1EEEvT1_.num_vgpr, 0
	.set _ZN7rocprim17ROCPRIM_400000_NS6detail17trampoline_kernelINS0_14default_configENS1_25partition_config_selectorILNS1_17partition_subalgoE8ElNS0_10empty_typeEbEEZZNS1_14partition_implILS5_8ELb0ES3_jPKlPS6_PKS6_NS0_5tupleIJPlS6_EEENSE_IJSB_SB_EEENS0_18inequality_wrapperIN6hipcub16HIPCUB_304000_NS8EqualityEEESF_JS6_EEE10hipError_tPvRmT3_T4_T5_T6_T7_T9_mT8_P12ihipStream_tbDpT10_ENKUlT_T0_E_clISt17integral_constantIbLb1EES16_EEDaS11_S12_EUlS11_E_NS1_11comp_targetILNS1_3genE9ELNS1_11target_archE1100ELNS1_3gpuE3ELNS1_3repE0EEENS1_30default_config_static_selectorELNS0_4arch9wavefront6targetE1EEEvT1_.num_agpr, 0
	.set _ZN7rocprim17ROCPRIM_400000_NS6detail17trampoline_kernelINS0_14default_configENS1_25partition_config_selectorILNS1_17partition_subalgoE8ElNS0_10empty_typeEbEEZZNS1_14partition_implILS5_8ELb0ES3_jPKlPS6_PKS6_NS0_5tupleIJPlS6_EEENSE_IJSB_SB_EEENS0_18inequality_wrapperIN6hipcub16HIPCUB_304000_NS8EqualityEEESF_JS6_EEE10hipError_tPvRmT3_T4_T5_T6_T7_T9_mT8_P12ihipStream_tbDpT10_ENKUlT_T0_E_clISt17integral_constantIbLb1EES16_EEDaS11_S12_EUlS11_E_NS1_11comp_targetILNS1_3genE9ELNS1_11target_archE1100ELNS1_3gpuE3ELNS1_3repE0EEENS1_30default_config_static_selectorELNS0_4arch9wavefront6targetE1EEEvT1_.numbered_sgpr, 0
	.set _ZN7rocprim17ROCPRIM_400000_NS6detail17trampoline_kernelINS0_14default_configENS1_25partition_config_selectorILNS1_17partition_subalgoE8ElNS0_10empty_typeEbEEZZNS1_14partition_implILS5_8ELb0ES3_jPKlPS6_PKS6_NS0_5tupleIJPlS6_EEENSE_IJSB_SB_EEENS0_18inequality_wrapperIN6hipcub16HIPCUB_304000_NS8EqualityEEESF_JS6_EEE10hipError_tPvRmT3_T4_T5_T6_T7_T9_mT8_P12ihipStream_tbDpT10_ENKUlT_T0_E_clISt17integral_constantIbLb1EES16_EEDaS11_S12_EUlS11_E_NS1_11comp_targetILNS1_3genE9ELNS1_11target_archE1100ELNS1_3gpuE3ELNS1_3repE0EEENS1_30default_config_static_selectorELNS0_4arch9wavefront6targetE1EEEvT1_.num_named_barrier, 0
	.set _ZN7rocprim17ROCPRIM_400000_NS6detail17trampoline_kernelINS0_14default_configENS1_25partition_config_selectorILNS1_17partition_subalgoE8ElNS0_10empty_typeEbEEZZNS1_14partition_implILS5_8ELb0ES3_jPKlPS6_PKS6_NS0_5tupleIJPlS6_EEENSE_IJSB_SB_EEENS0_18inequality_wrapperIN6hipcub16HIPCUB_304000_NS8EqualityEEESF_JS6_EEE10hipError_tPvRmT3_T4_T5_T6_T7_T9_mT8_P12ihipStream_tbDpT10_ENKUlT_T0_E_clISt17integral_constantIbLb1EES16_EEDaS11_S12_EUlS11_E_NS1_11comp_targetILNS1_3genE9ELNS1_11target_archE1100ELNS1_3gpuE3ELNS1_3repE0EEENS1_30default_config_static_selectorELNS0_4arch9wavefront6targetE1EEEvT1_.private_seg_size, 0
	.set _ZN7rocprim17ROCPRIM_400000_NS6detail17trampoline_kernelINS0_14default_configENS1_25partition_config_selectorILNS1_17partition_subalgoE8ElNS0_10empty_typeEbEEZZNS1_14partition_implILS5_8ELb0ES3_jPKlPS6_PKS6_NS0_5tupleIJPlS6_EEENSE_IJSB_SB_EEENS0_18inequality_wrapperIN6hipcub16HIPCUB_304000_NS8EqualityEEESF_JS6_EEE10hipError_tPvRmT3_T4_T5_T6_T7_T9_mT8_P12ihipStream_tbDpT10_ENKUlT_T0_E_clISt17integral_constantIbLb1EES16_EEDaS11_S12_EUlS11_E_NS1_11comp_targetILNS1_3genE9ELNS1_11target_archE1100ELNS1_3gpuE3ELNS1_3repE0EEENS1_30default_config_static_selectorELNS0_4arch9wavefront6targetE1EEEvT1_.uses_vcc, 0
	.set _ZN7rocprim17ROCPRIM_400000_NS6detail17trampoline_kernelINS0_14default_configENS1_25partition_config_selectorILNS1_17partition_subalgoE8ElNS0_10empty_typeEbEEZZNS1_14partition_implILS5_8ELb0ES3_jPKlPS6_PKS6_NS0_5tupleIJPlS6_EEENSE_IJSB_SB_EEENS0_18inequality_wrapperIN6hipcub16HIPCUB_304000_NS8EqualityEEESF_JS6_EEE10hipError_tPvRmT3_T4_T5_T6_T7_T9_mT8_P12ihipStream_tbDpT10_ENKUlT_T0_E_clISt17integral_constantIbLb1EES16_EEDaS11_S12_EUlS11_E_NS1_11comp_targetILNS1_3genE9ELNS1_11target_archE1100ELNS1_3gpuE3ELNS1_3repE0EEENS1_30default_config_static_selectorELNS0_4arch9wavefront6targetE1EEEvT1_.uses_flat_scratch, 0
	.set _ZN7rocprim17ROCPRIM_400000_NS6detail17trampoline_kernelINS0_14default_configENS1_25partition_config_selectorILNS1_17partition_subalgoE8ElNS0_10empty_typeEbEEZZNS1_14partition_implILS5_8ELb0ES3_jPKlPS6_PKS6_NS0_5tupleIJPlS6_EEENSE_IJSB_SB_EEENS0_18inequality_wrapperIN6hipcub16HIPCUB_304000_NS8EqualityEEESF_JS6_EEE10hipError_tPvRmT3_T4_T5_T6_T7_T9_mT8_P12ihipStream_tbDpT10_ENKUlT_T0_E_clISt17integral_constantIbLb1EES16_EEDaS11_S12_EUlS11_E_NS1_11comp_targetILNS1_3genE9ELNS1_11target_archE1100ELNS1_3gpuE3ELNS1_3repE0EEENS1_30default_config_static_selectorELNS0_4arch9wavefront6targetE1EEEvT1_.has_dyn_sized_stack, 0
	.set _ZN7rocprim17ROCPRIM_400000_NS6detail17trampoline_kernelINS0_14default_configENS1_25partition_config_selectorILNS1_17partition_subalgoE8ElNS0_10empty_typeEbEEZZNS1_14partition_implILS5_8ELb0ES3_jPKlPS6_PKS6_NS0_5tupleIJPlS6_EEENSE_IJSB_SB_EEENS0_18inequality_wrapperIN6hipcub16HIPCUB_304000_NS8EqualityEEESF_JS6_EEE10hipError_tPvRmT3_T4_T5_T6_T7_T9_mT8_P12ihipStream_tbDpT10_ENKUlT_T0_E_clISt17integral_constantIbLb1EES16_EEDaS11_S12_EUlS11_E_NS1_11comp_targetILNS1_3genE9ELNS1_11target_archE1100ELNS1_3gpuE3ELNS1_3repE0EEENS1_30default_config_static_selectorELNS0_4arch9wavefront6targetE1EEEvT1_.has_recursion, 0
	.set _ZN7rocprim17ROCPRIM_400000_NS6detail17trampoline_kernelINS0_14default_configENS1_25partition_config_selectorILNS1_17partition_subalgoE8ElNS0_10empty_typeEbEEZZNS1_14partition_implILS5_8ELb0ES3_jPKlPS6_PKS6_NS0_5tupleIJPlS6_EEENSE_IJSB_SB_EEENS0_18inequality_wrapperIN6hipcub16HIPCUB_304000_NS8EqualityEEESF_JS6_EEE10hipError_tPvRmT3_T4_T5_T6_T7_T9_mT8_P12ihipStream_tbDpT10_ENKUlT_T0_E_clISt17integral_constantIbLb1EES16_EEDaS11_S12_EUlS11_E_NS1_11comp_targetILNS1_3genE9ELNS1_11target_archE1100ELNS1_3gpuE3ELNS1_3repE0EEENS1_30default_config_static_selectorELNS0_4arch9wavefront6targetE1EEEvT1_.has_indirect_call, 0
	.section	.AMDGPU.csdata,"",@progbits
; Kernel info:
; codeLenInByte = 0
; TotalNumSgprs: 6
; NumVgprs: 0
; NumAgprs: 0
; TotalNumVgprs: 0
; ScratchSize: 0
; MemoryBound: 0
; FloatMode: 240
; IeeeMode: 1
; LDSByteSize: 0 bytes/workgroup (compile time only)
; SGPRBlocks: 0
; VGPRBlocks: 0
; NumSGPRsForWavesPerEU: 6
; NumVGPRsForWavesPerEU: 1
; AccumOffset: 4
; Occupancy: 8
; WaveLimiterHint : 0
; COMPUTE_PGM_RSRC2:SCRATCH_EN: 0
; COMPUTE_PGM_RSRC2:USER_SGPR: 2
; COMPUTE_PGM_RSRC2:TRAP_HANDLER: 0
; COMPUTE_PGM_RSRC2:TGID_X_EN: 1
; COMPUTE_PGM_RSRC2:TGID_Y_EN: 0
; COMPUTE_PGM_RSRC2:TGID_Z_EN: 0
; COMPUTE_PGM_RSRC2:TIDIG_COMP_CNT: 0
; COMPUTE_PGM_RSRC3_GFX90A:ACCUM_OFFSET: 0
; COMPUTE_PGM_RSRC3_GFX90A:TG_SPLIT: 0
	.section	.text._ZN7rocprim17ROCPRIM_400000_NS6detail17trampoline_kernelINS0_14default_configENS1_25partition_config_selectorILNS1_17partition_subalgoE8ElNS0_10empty_typeEbEEZZNS1_14partition_implILS5_8ELb0ES3_jPKlPS6_PKS6_NS0_5tupleIJPlS6_EEENSE_IJSB_SB_EEENS0_18inequality_wrapperIN6hipcub16HIPCUB_304000_NS8EqualityEEESF_JS6_EEE10hipError_tPvRmT3_T4_T5_T6_T7_T9_mT8_P12ihipStream_tbDpT10_ENKUlT_T0_E_clISt17integral_constantIbLb1EES16_EEDaS11_S12_EUlS11_E_NS1_11comp_targetILNS1_3genE8ELNS1_11target_archE1030ELNS1_3gpuE2ELNS1_3repE0EEENS1_30default_config_static_selectorELNS0_4arch9wavefront6targetE1EEEvT1_,"axG",@progbits,_ZN7rocprim17ROCPRIM_400000_NS6detail17trampoline_kernelINS0_14default_configENS1_25partition_config_selectorILNS1_17partition_subalgoE8ElNS0_10empty_typeEbEEZZNS1_14partition_implILS5_8ELb0ES3_jPKlPS6_PKS6_NS0_5tupleIJPlS6_EEENSE_IJSB_SB_EEENS0_18inequality_wrapperIN6hipcub16HIPCUB_304000_NS8EqualityEEESF_JS6_EEE10hipError_tPvRmT3_T4_T5_T6_T7_T9_mT8_P12ihipStream_tbDpT10_ENKUlT_T0_E_clISt17integral_constantIbLb1EES16_EEDaS11_S12_EUlS11_E_NS1_11comp_targetILNS1_3genE8ELNS1_11target_archE1030ELNS1_3gpuE2ELNS1_3repE0EEENS1_30default_config_static_selectorELNS0_4arch9wavefront6targetE1EEEvT1_,comdat
	.protected	_ZN7rocprim17ROCPRIM_400000_NS6detail17trampoline_kernelINS0_14default_configENS1_25partition_config_selectorILNS1_17partition_subalgoE8ElNS0_10empty_typeEbEEZZNS1_14partition_implILS5_8ELb0ES3_jPKlPS6_PKS6_NS0_5tupleIJPlS6_EEENSE_IJSB_SB_EEENS0_18inequality_wrapperIN6hipcub16HIPCUB_304000_NS8EqualityEEESF_JS6_EEE10hipError_tPvRmT3_T4_T5_T6_T7_T9_mT8_P12ihipStream_tbDpT10_ENKUlT_T0_E_clISt17integral_constantIbLb1EES16_EEDaS11_S12_EUlS11_E_NS1_11comp_targetILNS1_3genE8ELNS1_11target_archE1030ELNS1_3gpuE2ELNS1_3repE0EEENS1_30default_config_static_selectorELNS0_4arch9wavefront6targetE1EEEvT1_ ; -- Begin function _ZN7rocprim17ROCPRIM_400000_NS6detail17trampoline_kernelINS0_14default_configENS1_25partition_config_selectorILNS1_17partition_subalgoE8ElNS0_10empty_typeEbEEZZNS1_14partition_implILS5_8ELb0ES3_jPKlPS6_PKS6_NS0_5tupleIJPlS6_EEENSE_IJSB_SB_EEENS0_18inequality_wrapperIN6hipcub16HIPCUB_304000_NS8EqualityEEESF_JS6_EEE10hipError_tPvRmT3_T4_T5_T6_T7_T9_mT8_P12ihipStream_tbDpT10_ENKUlT_T0_E_clISt17integral_constantIbLb1EES16_EEDaS11_S12_EUlS11_E_NS1_11comp_targetILNS1_3genE8ELNS1_11target_archE1030ELNS1_3gpuE2ELNS1_3repE0EEENS1_30default_config_static_selectorELNS0_4arch9wavefront6targetE1EEEvT1_
	.globl	_ZN7rocprim17ROCPRIM_400000_NS6detail17trampoline_kernelINS0_14default_configENS1_25partition_config_selectorILNS1_17partition_subalgoE8ElNS0_10empty_typeEbEEZZNS1_14partition_implILS5_8ELb0ES3_jPKlPS6_PKS6_NS0_5tupleIJPlS6_EEENSE_IJSB_SB_EEENS0_18inequality_wrapperIN6hipcub16HIPCUB_304000_NS8EqualityEEESF_JS6_EEE10hipError_tPvRmT3_T4_T5_T6_T7_T9_mT8_P12ihipStream_tbDpT10_ENKUlT_T0_E_clISt17integral_constantIbLb1EES16_EEDaS11_S12_EUlS11_E_NS1_11comp_targetILNS1_3genE8ELNS1_11target_archE1030ELNS1_3gpuE2ELNS1_3repE0EEENS1_30default_config_static_selectorELNS0_4arch9wavefront6targetE1EEEvT1_
	.p2align	8
	.type	_ZN7rocprim17ROCPRIM_400000_NS6detail17trampoline_kernelINS0_14default_configENS1_25partition_config_selectorILNS1_17partition_subalgoE8ElNS0_10empty_typeEbEEZZNS1_14partition_implILS5_8ELb0ES3_jPKlPS6_PKS6_NS0_5tupleIJPlS6_EEENSE_IJSB_SB_EEENS0_18inequality_wrapperIN6hipcub16HIPCUB_304000_NS8EqualityEEESF_JS6_EEE10hipError_tPvRmT3_T4_T5_T6_T7_T9_mT8_P12ihipStream_tbDpT10_ENKUlT_T0_E_clISt17integral_constantIbLb1EES16_EEDaS11_S12_EUlS11_E_NS1_11comp_targetILNS1_3genE8ELNS1_11target_archE1030ELNS1_3gpuE2ELNS1_3repE0EEENS1_30default_config_static_selectorELNS0_4arch9wavefront6targetE1EEEvT1_,@function
_ZN7rocprim17ROCPRIM_400000_NS6detail17trampoline_kernelINS0_14default_configENS1_25partition_config_selectorILNS1_17partition_subalgoE8ElNS0_10empty_typeEbEEZZNS1_14partition_implILS5_8ELb0ES3_jPKlPS6_PKS6_NS0_5tupleIJPlS6_EEENSE_IJSB_SB_EEENS0_18inequality_wrapperIN6hipcub16HIPCUB_304000_NS8EqualityEEESF_JS6_EEE10hipError_tPvRmT3_T4_T5_T6_T7_T9_mT8_P12ihipStream_tbDpT10_ENKUlT_T0_E_clISt17integral_constantIbLb1EES16_EEDaS11_S12_EUlS11_E_NS1_11comp_targetILNS1_3genE8ELNS1_11target_archE1030ELNS1_3gpuE2ELNS1_3repE0EEENS1_30default_config_static_selectorELNS0_4arch9wavefront6targetE1EEEvT1_: ; @_ZN7rocprim17ROCPRIM_400000_NS6detail17trampoline_kernelINS0_14default_configENS1_25partition_config_selectorILNS1_17partition_subalgoE8ElNS0_10empty_typeEbEEZZNS1_14partition_implILS5_8ELb0ES3_jPKlPS6_PKS6_NS0_5tupleIJPlS6_EEENSE_IJSB_SB_EEENS0_18inequality_wrapperIN6hipcub16HIPCUB_304000_NS8EqualityEEESF_JS6_EEE10hipError_tPvRmT3_T4_T5_T6_T7_T9_mT8_P12ihipStream_tbDpT10_ENKUlT_T0_E_clISt17integral_constantIbLb1EES16_EEDaS11_S12_EUlS11_E_NS1_11comp_targetILNS1_3genE8ELNS1_11target_archE1030ELNS1_3gpuE2ELNS1_3repE0EEENS1_30default_config_static_selectorELNS0_4arch9wavefront6targetE1EEEvT1_
; %bb.0:
	.section	.rodata,"a",@progbits
	.p2align	6, 0x0
	.amdhsa_kernel _ZN7rocprim17ROCPRIM_400000_NS6detail17trampoline_kernelINS0_14default_configENS1_25partition_config_selectorILNS1_17partition_subalgoE8ElNS0_10empty_typeEbEEZZNS1_14partition_implILS5_8ELb0ES3_jPKlPS6_PKS6_NS0_5tupleIJPlS6_EEENSE_IJSB_SB_EEENS0_18inequality_wrapperIN6hipcub16HIPCUB_304000_NS8EqualityEEESF_JS6_EEE10hipError_tPvRmT3_T4_T5_T6_T7_T9_mT8_P12ihipStream_tbDpT10_ENKUlT_T0_E_clISt17integral_constantIbLb1EES16_EEDaS11_S12_EUlS11_E_NS1_11comp_targetILNS1_3genE8ELNS1_11target_archE1030ELNS1_3gpuE2ELNS1_3repE0EEENS1_30default_config_static_selectorELNS0_4arch9wavefront6targetE1EEEvT1_
		.amdhsa_group_segment_fixed_size 0
		.amdhsa_private_segment_fixed_size 0
		.amdhsa_kernarg_size 128
		.amdhsa_user_sgpr_count 2
		.amdhsa_user_sgpr_dispatch_ptr 0
		.amdhsa_user_sgpr_queue_ptr 0
		.amdhsa_user_sgpr_kernarg_segment_ptr 1
		.amdhsa_user_sgpr_dispatch_id 0
		.amdhsa_user_sgpr_kernarg_preload_length 0
		.amdhsa_user_sgpr_kernarg_preload_offset 0
		.amdhsa_user_sgpr_private_segment_size 0
		.amdhsa_uses_dynamic_stack 0
		.amdhsa_enable_private_segment 0
		.amdhsa_system_sgpr_workgroup_id_x 1
		.amdhsa_system_sgpr_workgroup_id_y 0
		.amdhsa_system_sgpr_workgroup_id_z 0
		.amdhsa_system_sgpr_workgroup_info 0
		.amdhsa_system_vgpr_workitem_id 0
		.amdhsa_next_free_vgpr 1
		.amdhsa_next_free_sgpr 0
		.amdhsa_accum_offset 4
		.amdhsa_reserve_vcc 0
		.amdhsa_float_round_mode_32 0
		.amdhsa_float_round_mode_16_64 0
		.amdhsa_float_denorm_mode_32 3
		.amdhsa_float_denorm_mode_16_64 3
		.amdhsa_dx10_clamp 1
		.amdhsa_ieee_mode 1
		.amdhsa_fp16_overflow 0
		.amdhsa_tg_split 0
		.amdhsa_exception_fp_ieee_invalid_op 0
		.amdhsa_exception_fp_denorm_src 0
		.amdhsa_exception_fp_ieee_div_zero 0
		.amdhsa_exception_fp_ieee_overflow 0
		.amdhsa_exception_fp_ieee_underflow 0
		.amdhsa_exception_fp_ieee_inexact 0
		.amdhsa_exception_int_div_zero 0
	.end_amdhsa_kernel
	.section	.text._ZN7rocprim17ROCPRIM_400000_NS6detail17trampoline_kernelINS0_14default_configENS1_25partition_config_selectorILNS1_17partition_subalgoE8ElNS0_10empty_typeEbEEZZNS1_14partition_implILS5_8ELb0ES3_jPKlPS6_PKS6_NS0_5tupleIJPlS6_EEENSE_IJSB_SB_EEENS0_18inequality_wrapperIN6hipcub16HIPCUB_304000_NS8EqualityEEESF_JS6_EEE10hipError_tPvRmT3_T4_T5_T6_T7_T9_mT8_P12ihipStream_tbDpT10_ENKUlT_T0_E_clISt17integral_constantIbLb1EES16_EEDaS11_S12_EUlS11_E_NS1_11comp_targetILNS1_3genE8ELNS1_11target_archE1030ELNS1_3gpuE2ELNS1_3repE0EEENS1_30default_config_static_selectorELNS0_4arch9wavefront6targetE1EEEvT1_,"axG",@progbits,_ZN7rocprim17ROCPRIM_400000_NS6detail17trampoline_kernelINS0_14default_configENS1_25partition_config_selectorILNS1_17partition_subalgoE8ElNS0_10empty_typeEbEEZZNS1_14partition_implILS5_8ELb0ES3_jPKlPS6_PKS6_NS0_5tupleIJPlS6_EEENSE_IJSB_SB_EEENS0_18inequality_wrapperIN6hipcub16HIPCUB_304000_NS8EqualityEEESF_JS6_EEE10hipError_tPvRmT3_T4_T5_T6_T7_T9_mT8_P12ihipStream_tbDpT10_ENKUlT_T0_E_clISt17integral_constantIbLb1EES16_EEDaS11_S12_EUlS11_E_NS1_11comp_targetILNS1_3genE8ELNS1_11target_archE1030ELNS1_3gpuE2ELNS1_3repE0EEENS1_30default_config_static_selectorELNS0_4arch9wavefront6targetE1EEEvT1_,comdat
.Lfunc_end241:
	.size	_ZN7rocprim17ROCPRIM_400000_NS6detail17trampoline_kernelINS0_14default_configENS1_25partition_config_selectorILNS1_17partition_subalgoE8ElNS0_10empty_typeEbEEZZNS1_14partition_implILS5_8ELb0ES3_jPKlPS6_PKS6_NS0_5tupleIJPlS6_EEENSE_IJSB_SB_EEENS0_18inequality_wrapperIN6hipcub16HIPCUB_304000_NS8EqualityEEESF_JS6_EEE10hipError_tPvRmT3_T4_T5_T6_T7_T9_mT8_P12ihipStream_tbDpT10_ENKUlT_T0_E_clISt17integral_constantIbLb1EES16_EEDaS11_S12_EUlS11_E_NS1_11comp_targetILNS1_3genE8ELNS1_11target_archE1030ELNS1_3gpuE2ELNS1_3repE0EEENS1_30default_config_static_selectorELNS0_4arch9wavefront6targetE1EEEvT1_, .Lfunc_end241-_ZN7rocprim17ROCPRIM_400000_NS6detail17trampoline_kernelINS0_14default_configENS1_25partition_config_selectorILNS1_17partition_subalgoE8ElNS0_10empty_typeEbEEZZNS1_14partition_implILS5_8ELb0ES3_jPKlPS6_PKS6_NS0_5tupleIJPlS6_EEENSE_IJSB_SB_EEENS0_18inequality_wrapperIN6hipcub16HIPCUB_304000_NS8EqualityEEESF_JS6_EEE10hipError_tPvRmT3_T4_T5_T6_T7_T9_mT8_P12ihipStream_tbDpT10_ENKUlT_T0_E_clISt17integral_constantIbLb1EES16_EEDaS11_S12_EUlS11_E_NS1_11comp_targetILNS1_3genE8ELNS1_11target_archE1030ELNS1_3gpuE2ELNS1_3repE0EEENS1_30default_config_static_selectorELNS0_4arch9wavefront6targetE1EEEvT1_
                                        ; -- End function
	.set _ZN7rocprim17ROCPRIM_400000_NS6detail17trampoline_kernelINS0_14default_configENS1_25partition_config_selectorILNS1_17partition_subalgoE8ElNS0_10empty_typeEbEEZZNS1_14partition_implILS5_8ELb0ES3_jPKlPS6_PKS6_NS0_5tupleIJPlS6_EEENSE_IJSB_SB_EEENS0_18inequality_wrapperIN6hipcub16HIPCUB_304000_NS8EqualityEEESF_JS6_EEE10hipError_tPvRmT3_T4_T5_T6_T7_T9_mT8_P12ihipStream_tbDpT10_ENKUlT_T0_E_clISt17integral_constantIbLb1EES16_EEDaS11_S12_EUlS11_E_NS1_11comp_targetILNS1_3genE8ELNS1_11target_archE1030ELNS1_3gpuE2ELNS1_3repE0EEENS1_30default_config_static_selectorELNS0_4arch9wavefront6targetE1EEEvT1_.num_vgpr, 0
	.set _ZN7rocprim17ROCPRIM_400000_NS6detail17trampoline_kernelINS0_14default_configENS1_25partition_config_selectorILNS1_17partition_subalgoE8ElNS0_10empty_typeEbEEZZNS1_14partition_implILS5_8ELb0ES3_jPKlPS6_PKS6_NS0_5tupleIJPlS6_EEENSE_IJSB_SB_EEENS0_18inequality_wrapperIN6hipcub16HIPCUB_304000_NS8EqualityEEESF_JS6_EEE10hipError_tPvRmT3_T4_T5_T6_T7_T9_mT8_P12ihipStream_tbDpT10_ENKUlT_T0_E_clISt17integral_constantIbLb1EES16_EEDaS11_S12_EUlS11_E_NS1_11comp_targetILNS1_3genE8ELNS1_11target_archE1030ELNS1_3gpuE2ELNS1_3repE0EEENS1_30default_config_static_selectorELNS0_4arch9wavefront6targetE1EEEvT1_.num_agpr, 0
	.set _ZN7rocprim17ROCPRIM_400000_NS6detail17trampoline_kernelINS0_14default_configENS1_25partition_config_selectorILNS1_17partition_subalgoE8ElNS0_10empty_typeEbEEZZNS1_14partition_implILS5_8ELb0ES3_jPKlPS6_PKS6_NS0_5tupleIJPlS6_EEENSE_IJSB_SB_EEENS0_18inequality_wrapperIN6hipcub16HIPCUB_304000_NS8EqualityEEESF_JS6_EEE10hipError_tPvRmT3_T4_T5_T6_T7_T9_mT8_P12ihipStream_tbDpT10_ENKUlT_T0_E_clISt17integral_constantIbLb1EES16_EEDaS11_S12_EUlS11_E_NS1_11comp_targetILNS1_3genE8ELNS1_11target_archE1030ELNS1_3gpuE2ELNS1_3repE0EEENS1_30default_config_static_selectorELNS0_4arch9wavefront6targetE1EEEvT1_.numbered_sgpr, 0
	.set _ZN7rocprim17ROCPRIM_400000_NS6detail17trampoline_kernelINS0_14default_configENS1_25partition_config_selectorILNS1_17partition_subalgoE8ElNS0_10empty_typeEbEEZZNS1_14partition_implILS5_8ELb0ES3_jPKlPS6_PKS6_NS0_5tupleIJPlS6_EEENSE_IJSB_SB_EEENS0_18inequality_wrapperIN6hipcub16HIPCUB_304000_NS8EqualityEEESF_JS6_EEE10hipError_tPvRmT3_T4_T5_T6_T7_T9_mT8_P12ihipStream_tbDpT10_ENKUlT_T0_E_clISt17integral_constantIbLb1EES16_EEDaS11_S12_EUlS11_E_NS1_11comp_targetILNS1_3genE8ELNS1_11target_archE1030ELNS1_3gpuE2ELNS1_3repE0EEENS1_30default_config_static_selectorELNS0_4arch9wavefront6targetE1EEEvT1_.num_named_barrier, 0
	.set _ZN7rocprim17ROCPRIM_400000_NS6detail17trampoline_kernelINS0_14default_configENS1_25partition_config_selectorILNS1_17partition_subalgoE8ElNS0_10empty_typeEbEEZZNS1_14partition_implILS5_8ELb0ES3_jPKlPS6_PKS6_NS0_5tupleIJPlS6_EEENSE_IJSB_SB_EEENS0_18inequality_wrapperIN6hipcub16HIPCUB_304000_NS8EqualityEEESF_JS6_EEE10hipError_tPvRmT3_T4_T5_T6_T7_T9_mT8_P12ihipStream_tbDpT10_ENKUlT_T0_E_clISt17integral_constantIbLb1EES16_EEDaS11_S12_EUlS11_E_NS1_11comp_targetILNS1_3genE8ELNS1_11target_archE1030ELNS1_3gpuE2ELNS1_3repE0EEENS1_30default_config_static_selectorELNS0_4arch9wavefront6targetE1EEEvT1_.private_seg_size, 0
	.set _ZN7rocprim17ROCPRIM_400000_NS6detail17trampoline_kernelINS0_14default_configENS1_25partition_config_selectorILNS1_17partition_subalgoE8ElNS0_10empty_typeEbEEZZNS1_14partition_implILS5_8ELb0ES3_jPKlPS6_PKS6_NS0_5tupleIJPlS6_EEENSE_IJSB_SB_EEENS0_18inequality_wrapperIN6hipcub16HIPCUB_304000_NS8EqualityEEESF_JS6_EEE10hipError_tPvRmT3_T4_T5_T6_T7_T9_mT8_P12ihipStream_tbDpT10_ENKUlT_T0_E_clISt17integral_constantIbLb1EES16_EEDaS11_S12_EUlS11_E_NS1_11comp_targetILNS1_3genE8ELNS1_11target_archE1030ELNS1_3gpuE2ELNS1_3repE0EEENS1_30default_config_static_selectorELNS0_4arch9wavefront6targetE1EEEvT1_.uses_vcc, 0
	.set _ZN7rocprim17ROCPRIM_400000_NS6detail17trampoline_kernelINS0_14default_configENS1_25partition_config_selectorILNS1_17partition_subalgoE8ElNS0_10empty_typeEbEEZZNS1_14partition_implILS5_8ELb0ES3_jPKlPS6_PKS6_NS0_5tupleIJPlS6_EEENSE_IJSB_SB_EEENS0_18inequality_wrapperIN6hipcub16HIPCUB_304000_NS8EqualityEEESF_JS6_EEE10hipError_tPvRmT3_T4_T5_T6_T7_T9_mT8_P12ihipStream_tbDpT10_ENKUlT_T0_E_clISt17integral_constantIbLb1EES16_EEDaS11_S12_EUlS11_E_NS1_11comp_targetILNS1_3genE8ELNS1_11target_archE1030ELNS1_3gpuE2ELNS1_3repE0EEENS1_30default_config_static_selectorELNS0_4arch9wavefront6targetE1EEEvT1_.uses_flat_scratch, 0
	.set _ZN7rocprim17ROCPRIM_400000_NS6detail17trampoline_kernelINS0_14default_configENS1_25partition_config_selectorILNS1_17partition_subalgoE8ElNS0_10empty_typeEbEEZZNS1_14partition_implILS5_8ELb0ES3_jPKlPS6_PKS6_NS0_5tupleIJPlS6_EEENSE_IJSB_SB_EEENS0_18inequality_wrapperIN6hipcub16HIPCUB_304000_NS8EqualityEEESF_JS6_EEE10hipError_tPvRmT3_T4_T5_T6_T7_T9_mT8_P12ihipStream_tbDpT10_ENKUlT_T0_E_clISt17integral_constantIbLb1EES16_EEDaS11_S12_EUlS11_E_NS1_11comp_targetILNS1_3genE8ELNS1_11target_archE1030ELNS1_3gpuE2ELNS1_3repE0EEENS1_30default_config_static_selectorELNS0_4arch9wavefront6targetE1EEEvT1_.has_dyn_sized_stack, 0
	.set _ZN7rocprim17ROCPRIM_400000_NS6detail17trampoline_kernelINS0_14default_configENS1_25partition_config_selectorILNS1_17partition_subalgoE8ElNS0_10empty_typeEbEEZZNS1_14partition_implILS5_8ELb0ES3_jPKlPS6_PKS6_NS0_5tupleIJPlS6_EEENSE_IJSB_SB_EEENS0_18inequality_wrapperIN6hipcub16HIPCUB_304000_NS8EqualityEEESF_JS6_EEE10hipError_tPvRmT3_T4_T5_T6_T7_T9_mT8_P12ihipStream_tbDpT10_ENKUlT_T0_E_clISt17integral_constantIbLb1EES16_EEDaS11_S12_EUlS11_E_NS1_11comp_targetILNS1_3genE8ELNS1_11target_archE1030ELNS1_3gpuE2ELNS1_3repE0EEENS1_30default_config_static_selectorELNS0_4arch9wavefront6targetE1EEEvT1_.has_recursion, 0
	.set _ZN7rocprim17ROCPRIM_400000_NS6detail17trampoline_kernelINS0_14default_configENS1_25partition_config_selectorILNS1_17partition_subalgoE8ElNS0_10empty_typeEbEEZZNS1_14partition_implILS5_8ELb0ES3_jPKlPS6_PKS6_NS0_5tupleIJPlS6_EEENSE_IJSB_SB_EEENS0_18inequality_wrapperIN6hipcub16HIPCUB_304000_NS8EqualityEEESF_JS6_EEE10hipError_tPvRmT3_T4_T5_T6_T7_T9_mT8_P12ihipStream_tbDpT10_ENKUlT_T0_E_clISt17integral_constantIbLb1EES16_EEDaS11_S12_EUlS11_E_NS1_11comp_targetILNS1_3genE8ELNS1_11target_archE1030ELNS1_3gpuE2ELNS1_3repE0EEENS1_30default_config_static_selectorELNS0_4arch9wavefront6targetE1EEEvT1_.has_indirect_call, 0
	.section	.AMDGPU.csdata,"",@progbits
; Kernel info:
; codeLenInByte = 0
; TotalNumSgprs: 6
; NumVgprs: 0
; NumAgprs: 0
; TotalNumVgprs: 0
; ScratchSize: 0
; MemoryBound: 0
; FloatMode: 240
; IeeeMode: 1
; LDSByteSize: 0 bytes/workgroup (compile time only)
; SGPRBlocks: 0
; VGPRBlocks: 0
; NumSGPRsForWavesPerEU: 6
; NumVGPRsForWavesPerEU: 1
; AccumOffset: 4
; Occupancy: 8
; WaveLimiterHint : 0
; COMPUTE_PGM_RSRC2:SCRATCH_EN: 0
; COMPUTE_PGM_RSRC2:USER_SGPR: 2
; COMPUTE_PGM_RSRC2:TRAP_HANDLER: 0
; COMPUTE_PGM_RSRC2:TGID_X_EN: 1
; COMPUTE_PGM_RSRC2:TGID_Y_EN: 0
; COMPUTE_PGM_RSRC2:TGID_Z_EN: 0
; COMPUTE_PGM_RSRC2:TIDIG_COMP_CNT: 0
; COMPUTE_PGM_RSRC3_GFX90A:ACCUM_OFFSET: 0
; COMPUTE_PGM_RSRC3_GFX90A:TG_SPLIT: 0
	.section	.text._ZN7rocprim17ROCPRIM_400000_NS6detail17trampoline_kernelINS0_14default_configENS1_25partition_config_selectorILNS1_17partition_subalgoE8ElNS0_10empty_typeEbEEZZNS1_14partition_implILS5_8ELb0ES3_jPKlPS6_PKS6_NS0_5tupleIJPlS6_EEENSE_IJSB_SB_EEENS0_18inequality_wrapperIN6hipcub16HIPCUB_304000_NS8EqualityEEESF_JS6_EEE10hipError_tPvRmT3_T4_T5_T6_T7_T9_mT8_P12ihipStream_tbDpT10_ENKUlT_T0_E_clISt17integral_constantIbLb1EES15_IbLb0EEEEDaS11_S12_EUlS11_E_NS1_11comp_targetILNS1_3genE0ELNS1_11target_archE4294967295ELNS1_3gpuE0ELNS1_3repE0EEENS1_30default_config_static_selectorELNS0_4arch9wavefront6targetE1EEEvT1_,"axG",@progbits,_ZN7rocprim17ROCPRIM_400000_NS6detail17trampoline_kernelINS0_14default_configENS1_25partition_config_selectorILNS1_17partition_subalgoE8ElNS0_10empty_typeEbEEZZNS1_14partition_implILS5_8ELb0ES3_jPKlPS6_PKS6_NS0_5tupleIJPlS6_EEENSE_IJSB_SB_EEENS0_18inequality_wrapperIN6hipcub16HIPCUB_304000_NS8EqualityEEESF_JS6_EEE10hipError_tPvRmT3_T4_T5_T6_T7_T9_mT8_P12ihipStream_tbDpT10_ENKUlT_T0_E_clISt17integral_constantIbLb1EES15_IbLb0EEEEDaS11_S12_EUlS11_E_NS1_11comp_targetILNS1_3genE0ELNS1_11target_archE4294967295ELNS1_3gpuE0ELNS1_3repE0EEENS1_30default_config_static_selectorELNS0_4arch9wavefront6targetE1EEEvT1_,comdat
	.protected	_ZN7rocprim17ROCPRIM_400000_NS6detail17trampoline_kernelINS0_14default_configENS1_25partition_config_selectorILNS1_17partition_subalgoE8ElNS0_10empty_typeEbEEZZNS1_14partition_implILS5_8ELb0ES3_jPKlPS6_PKS6_NS0_5tupleIJPlS6_EEENSE_IJSB_SB_EEENS0_18inequality_wrapperIN6hipcub16HIPCUB_304000_NS8EqualityEEESF_JS6_EEE10hipError_tPvRmT3_T4_T5_T6_T7_T9_mT8_P12ihipStream_tbDpT10_ENKUlT_T0_E_clISt17integral_constantIbLb1EES15_IbLb0EEEEDaS11_S12_EUlS11_E_NS1_11comp_targetILNS1_3genE0ELNS1_11target_archE4294967295ELNS1_3gpuE0ELNS1_3repE0EEENS1_30default_config_static_selectorELNS0_4arch9wavefront6targetE1EEEvT1_ ; -- Begin function _ZN7rocprim17ROCPRIM_400000_NS6detail17trampoline_kernelINS0_14default_configENS1_25partition_config_selectorILNS1_17partition_subalgoE8ElNS0_10empty_typeEbEEZZNS1_14partition_implILS5_8ELb0ES3_jPKlPS6_PKS6_NS0_5tupleIJPlS6_EEENSE_IJSB_SB_EEENS0_18inequality_wrapperIN6hipcub16HIPCUB_304000_NS8EqualityEEESF_JS6_EEE10hipError_tPvRmT3_T4_T5_T6_T7_T9_mT8_P12ihipStream_tbDpT10_ENKUlT_T0_E_clISt17integral_constantIbLb1EES15_IbLb0EEEEDaS11_S12_EUlS11_E_NS1_11comp_targetILNS1_3genE0ELNS1_11target_archE4294967295ELNS1_3gpuE0ELNS1_3repE0EEENS1_30default_config_static_selectorELNS0_4arch9wavefront6targetE1EEEvT1_
	.globl	_ZN7rocprim17ROCPRIM_400000_NS6detail17trampoline_kernelINS0_14default_configENS1_25partition_config_selectorILNS1_17partition_subalgoE8ElNS0_10empty_typeEbEEZZNS1_14partition_implILS5_8ELb0ES3_jPKlPS6_PKS6_NS0_5tupleIJPlS6_EEENSE_IJSB_SB_EEENS0_18inequality_wrapperIN6hipcub16HIPCUB_304000_NS8EqualityEEESF_JS6_EEE10hipError_tPvRmT3_T4_T5_T6_T7_T9_mT8_P12ihipStream_tbDpT10_ENKUlT_T0_E_clISt17integral_constantIbLb1EES15_IbLb0EEEEDaS11_S12_EUlS11_E_NS1_11comp_targetILNS1_3genE0ELNS1_11target_archE4294967295ELNS1_3gpuE0ELNS1_3repE0EEENS1_30default_config_static_selectorELNS0_4arch9wavefront6targetE1EEEvT1_
	.p2align	8
	.type	_ZN7rocprim17ROCPRIM_400000_NS6detail17trampoline_kernelINS0_14default_configENS1_25partition_config_selectorILNS1_17partition_subalgoE8ElNS0_10empty_typeEbEEZZNS1_14partition_implILS5_8ELb0ES3_jPKlPS6_PKS6_NS0_5tupleIJPlS6_EEENSE_IJSB_SB_EEENS0_18inequality_wrapperIN6hipcub16HIPCUB_304000_NS8EqualityEEESF_JS6_EEE10hipError_tPvRmT3_T4_T5_T6_T7_T9_mT8_P12ihipStream_tbDpT10_ENKUlT_T0_E_clISt17integral_constantIbLb1EES15_IbLb0EEEEDaS11_S12_EUlS11_E_NS1_11comp_targetILNS1_3genE0ELNS1_11target_archE4294967295ELNS1_3gpuE0ELNS1_3repE0EEENS1_30default_config_static_selectorELNS0_4arch9wavefront6targetE1EEEvT1_,@function
_ZN7rocprim17ROCPRIM_400000_NS6detail17trampoline_kernelINS0_14default_configENS1_25partition_config_selectorILNS1_17partition_subalgoE8ElNS0_10empty_typeEbEEZZNS1_14partition_implILS5_8ELb0ES3_jPKlPS6_PKS6_NS0_5tupleIJPlS6_EEENSE_IJSB_SB_EEENS0_18inequality_wrapperIN6hipcub16HIPCUB_304000_NS8EqualityEEESF_JS6_EEE10hipError_tPvRmT3_T4_T5_T6_T7_T9_mT8_P12ihipStream_tbDpT10_ENKUlT_T0_E_clISt17integral_constantIbLb1EES15_IbLb0EEEEDaS11_S12_EUlS11_E_NS1_11comp_targetILNS1_3genE0ELNS1_11target_archE4294967295ELNS1_3gpuE0ELNS1_3repE0EEENS1_30default_config_static_selectorELNS0_4arch9wavefront6targetE1EEEvT1_: ; @_ZN7rocprim17ROCPRIM_400000_NS6detail17trampoline_kernelINS0_14default_configENS1_25partition_config_selectorILNS1_17partition_subalgoE8ElNS0_10empty_typeEbEEZZNS1_14partition_implILS5_8ELb0ES3_jPKlPS6_PKS6_NS0_5tupleIJPlS6_EEENSE_IJSB_SB_EEENS0_18inequality_wrapperIN6hipcub16HIPCUB_304000_NS8EqualityEEESF_JS6_EEE10hipError_tPvRmT3_T4_T5_T6_T7_T9_mT8_P12ihipStream_tbDpT10_ENKUlT_T0_E_clISt17integral_constantIbLb1EES15_IbLb0EEEEDaS11_S12_EUlS11_E_NS1_11comp_targetILNS1_3genE0ELNS1_11target_archE4294967295ELNS1_3gpuE0ELNS1_3repE0EEENS1_30default_config_static_selectorELNS0_4arch9wavefront6targetE1EEEvT1_
; %bb.0:
	s_endpgm
	.section	.rodata,"a",@progbits
	.p2align	6, 0x0
	.amdhsa_kernel _ZN7rocprim17ROCPRIM_400000_NS6detail17trampoline_kernelINS0_14default_configENS1_25partition_config_selectorILNS1_17partition_subalgoE8ElNS0_10empty_typeEbEEZZNS1_14partition_implILS5_8ELb0ES3_jPKlPS6_PKS6_NS0_5tupleIJPlS6_EEENSE_IJSB_SB_EEENS0_18inequality_wrapperIN6hipcub16HIPCUB_304000_NS8EqualityEEESF_JS6_EEE10hipError_tPvRmT3_T4_T5_T6_T7_T9_mT8_P12ihipStream_tbDpT10_ENKUlT_T0_E_clISt17integral_constantIbLb1EES15_IbLb0EEEEDaS11_S12_EUlS11_E_NS1_11comp_targetILNS1_3genE0ELNS1_11target_archE4294967295ELNS1_3gpuE0ELNS1_3repE0EEENS1_30default_config_static_selectorELNS0_4arch9wavefront6targetE1EEEvT1_
		.amdhsa_group_segment_fixed_size 0
		.amdhsa_private_segment_fixed_size 0
		.amdhsa_kernarg_size 112
		.amdhsa_user_sgpr_count 2
		.amdhsa_user_sgpr_dispatch_ptr 0
		.amdhsa_user_sgpr_queue_ptr 0
		.amdhsa_user_sgpr_kernarg_segment_ptr 1
		.amdhsa_user_sgpr_dispatch_id 0
		.amdhsa_user_sgpr_kernarg_preload_length 0
		.amdhsa_user_sgpr_kernarg_preload_offset 0
		.amdhsa_user_sgpr_private_segment_size 0
		.amdhsa_uses_dynamic_stack 0
		.amdhsa_enable_private_segment 0
		.amdhsa_system_sgpr_workgroup_id_x 1
		.amdhsa_system_sgpr_workgroup_id_y 0
		.amdhsa_system_sgpr_workgroup_id_z 0
		.amdhsa_system_sgpr_workgroup_info 0
		.amdhsa_system_vgpr_workitem_id 0
		.amdhsa_next_free_vgpr 1
		.amdhsa_next_free_sgpr 0
		.amdhsa_accum_offset 4
		.amdhsa_reserve_vcc 0
		.amdhsa_float_round_mode_32 0
		.amdhsa_float_round_mode_16_64 0
		.amdhsa_float_denorm_mode_32 3
		.amdhsa_float_denorm_mode_16_64 3
		.amdhsa_dx10_clamp 1
		.amdhsa_ieee_mode 1
		.amdhsa_fp16_overflow 0
		.amdhsa_tg_split 0
		.amdhsa_exception_fp_ieee_invalid_op 0
		.amdhsa_exception_fp_denorm_src 0
		.amdhsa_exception_fp_ieee_div_zero 0
		.amdhsa_exception_fp_ieee_overflow 0
		.amdhsa_exception_fp_ieee_underflow 0
		.amdhsa_exception_fp_ieee_inexact 0
		.amdhsa_exception_int_div_zero 0
	.end_amdhsa_kernel
	.section	.text._ZN7rocprim17ROCPRIM_400000_NS6detail17trampoline_kernelINS0_14default_configENS1_25partition_config_selectorILNS1_17partition_subalgoE8ElNS0_10empty_typeEbEEZZNS1_14partition_implILS5_8ELb0ES3_jPKlPS6_PKS6_NS0_5tupleIJPlS6_EEENSE_IJSB_SB_EEENS0_18inequality_wrapperIN6hipcub16HIPCUB_304000_NS8EqualityEEESF_JS6_EEE10hipError_tPvRmT3_T4_T5_T6_T7_T9_mT8_P12ihipStream_tbDpT10_ENKUlT_T0_E_clISt17integral_constantIbLb1EES15_IbLb0EEEEDaS11_S12_EUlS11_E_NS1_11comp_targetILNS1_3genE0ELNS1_11target_archE4294967295ELNS1_3gpuE0ELNS1_3repE0EEENS1_30default_config_static_selectorELNS0_4arch9wavefront6targetE1EEEvT1_,"axG",@progbits,_ZN7rocprim17ROCPRIM_400000_NS6detail17trampoline_kernelINS0_14default_configENS1_25partition_config_selectorILNS1_17partition_subalgoE8ElNS0_10empty_typeEbEEZZNS1_14partition_implILS5_8ELb0ES3_jPKlPS6_PKS6_NS0_5tupleIJPlS6_EEENSE_IJSB_SB_EEENS0_18inequality_wrapperIN6hipcub16HIPCUB_304000_NS8EqualityEEESF_JS6_EEE10hipError_tPvRmT3_T4_T5_T6_T7_T9_mT8_P12ihipStream_tbDpT10_ENKUlT_T0_E_clISt17integral_constantIbLb1EES15_IbLb0EEEEDaS11_S12_EUlS11_E_NS1_11comp_targetILNS1_3genE0ELNS1_11target_archE4294967295ELNS1_3gpuE0ELNS1_3repE0EEENS1_30default_config_static_selectorELNS0_4arch9wavefront6targetE1EEEvT1_,comdat
.Lfunc_end242:
	.size	_ZN7rocprim17ROCPRIM_400000_NS6detail17trampoline_kernelINS0_14default_configENS1_25partition_config_selectorILNS1_17partition_subalgoE8ElNS0_10empty_typeEbEEZZNS1_14partition_implILS5_8ELb0ES3_jPKlPS6_PKS6_NS0_5tupleIJPlS6_EEENSE_IJSB_SB_EEENS0_18inequality_wrapperIN6hipcub16HIPCUB_304000_NS8EqualityEEESF_JS6_EEE10hipError_tPvRmT3_T4_T5_T6_T7_T9_mT8_P12ihipStream_tbDpT10_ENKUlT_T0_E_clISt17integral_constantIbLb1EES15_IbLb0EEEEDaS11_S12_EUlS11_E_NS1_11comp_targetILNS1_3genE0ELNS1_11target_archE4294967295ELNS1_3gpuE0ELNS1_3repE0EEENS1_30default_config_static_selectorELNS0_4arch9wavefront6targetE1EEEvT1_, .Lfunc_end242-_ZN7rocprim17ROCPRIM_400000_NS6detail17trampoline_kernelINS0_14default_configENS1_25partition_config_selectorILNS1_17partition_subalgoE8ElNS0_10empty_typeEbEEZZNS1_14partition_implILS5_8ELb0ES3_jPKlPS6_PKS6_NS0_5tupleIJPlS6_EEENSE_IJSB_SB_EEENS0_18inequality_wrapperIN6hipcub16HIPCUB_304000_NS8EqualityEEESF_JS6_EEE10hipError_tPvRmT3_T4_T5_T6_T7_T9_mT8_P12ihipStream_tbDpT10_ENKUlT_T0_E_clISt17integral_constantIbLb1EES15_IbLb0EEEEDaS11_S12_EUlS11_E_NS1_11comp_targetILNS1_3genE0ELNS1_11target_archE4294967295ELNS1_3gpuE0ELNS1_3repE0EEENS1_30default_config_static_selectorELNS0_4arch9wavefront6targetE1EEEvT1_
                                        ; -- End function
	.set _ZN7rocprim17ROCPRIM_400000_NS6detail17trampoline_kernelINS0_14default_configENS1_25partition_config_selectorILNS1_17partition_subalgoE8ElNS0_10empty_typeEbEEZZNS1_14partition_implILS5_8ELb0ES3_jPKlPS6_PKS6_NS0_5tupleIJPlS6_EEENSE_IJSB_SB_EEENS0_18inequality_wrapperIN6hipcub16HIPCUB_304000_NS8EqualityEEESF_JS6_EEE10hipError_tPvRmT3_T4_T5_T6_T7_T9_mT8_P12ihipStream_tbDpT10_ENKUlT_T0_E_clISt17integral_constantIbLb1EES15_IbLb0EEEEDaS11_S12_EUlS11_E_NS1_11comp_targetILNS1_3genE0ELNS1_11target_archE4294967295ELNS1_3gpuE0ELNS1_3repE0EEENS1_30default_config_static_selectorELNS0_4arch9wavefront6targetE1EEEvT1_.num_vgpr, 0
	.set _ZN7rocprim17ROCPRIM_400000_NS6detail17trampoline_kernelINS0_14default_configENS1_25partition_config_selectorILNS1_17partition_subalgoE8ElNS0_10empty_typeEbEEZZNS1_14partition_implILS5_8ELb0ES3_jPKlPS6_PKS6_NS0_5tupleIJPlS6_EEENSE_IJSB_SB_EEENS0_18inequality_wrapperIN6hipcub16HIPCUB_304000_NS8EqualityEEESF_JS6_EEE10hipError_tPvRmT3_T4_T5_T6_T7_T9_mT8_P12ihipStream_tbDpT10_ENKUlT_T0_E_clISt17integral_constantIbLb1EES15_IbLb0EEEEDaS11_S12_EUlS11_E_NS1_11comp_targetILNS1_3genE0ELNS1_11target_archE4294967295ELNS1_3gpuE0ELNS1_3repE0EEENS1_30default_config_static_selectorELNS0_4arch9wavefront6targetE1EEEvT1_.num_agpr, 0
	.set _ZN7rocprim17ROCPRIM_400000_NS6detail17trampoline_kernelINS0_14default_configENS1_25partition_config_selectorILNS1_17partition_subalgoE8ElNS0_10empty_typeEbEEZZNS1_14partition_implILS5_8ELb0ES3_jPKlPS6_PKS6_NS0_5tupleIJPlS6_EEENSE_IJSB_SB_EEENS0_18inequality_wrapperIN6hipcub16HIPCUB_304000_NS8EqualityEEESF_JS6_EEE10hipError_tPvRmT3_T4_T5_T6_T7_T9_mT8_P12ihipStream_tbDpT10_ENKUlT_T0_E_clISt17integral_constantIbLb1EES15_IbLb0EEEEDaS11_S12_EUlS11_E_NS1_11comp_targetILNS1_3genE0ELNS1_11target_archE4294967295ELNS1_3gpuE0ELNS1_3repE0EEENS1_30default_config_static_selectorELNS0_4arch9wavefront6targetE1EEEvT1_.numbered_sgpr, 0
	.set _ZN7rocprim17ROCPRIM_400000_NS6detail17trampoline_kernelINS0_14default_configENS1_25partition_config_selectorILNS1_17partition_subalgoE8ElNS0_10empty_typeEbEEZZNS1_14partition_implILS5_8ELb0ES3_jPKlPS6_PKS6_NS0_5tupleIJPlS6_EEENSE_IJSB_SB_EEENS0_18inequality_wrapperIN6hipcub16HIPCUB_304000_NS8EqualityEEESF_JS6_EEE10hipError_tPvRmT3_T4_T5_T6_T7_T9_mT8_P12ihipStream_tbDpT10_ENKUlT_T0_E_clISt17integral_constantIbLb1EES15_IbLb0EEEEDaS11_S12_EUlS11_E_NS1_11comp_targetILNS1_3genE0ELNS1_11target_archE4294967295ELNS1_3gpuE0ELNS1_3repE0EEENS1_30default_config_static_selectorELNS0_4arch9wavefront6targetE1EEEvT1_.num_named_barrier, 0
	.set _ZN7rocprim17ROCPRIM_400000_NS6detail17trampoline_kernelINS0_14default_configENS1_25partition_config_selectorILNS1_17partition_subalgoE8ElNS0_10empty_typeEbEEZZNS1_14partition_implILS5_8ELb0ES3_jPKlPS6_PKS6_NS0_5tupleIJPlS6_EEENSE_IJSB_SB_EEENS0_18inequality_wrapperIN6hipcub16HIPCUB_304000_NS8EqualityEEESF_JS6_EEE10hipError_tPvRmT3_T4_T5_T6_T7_T9_mT8_P12ihipStream_tbDpT10_ENKUlT_T0_E_clISt17integral_constantIbLb1EES15_IbLb0EEEEDaS11_S12_EUlS11_E_NS1_11comp_targetILNS1_3genE0ELNS1_11target_archE4294967295ELNS1_3gpuE0ELNS1_3repE0EEENS1_30default_config_static_selectorELNS0_4arch9wavefront6targetE1EEEvT1_.private_seg_size, 0
	.set _ZN7rocprim17ROCPRIM_400000_NS6detail17trampoline_kernelINS0_14default_configENS1_25partition_config_selectorILNS1_17partition_subalgoE8ElNS0_10empty_typeEbEEZZNS1_14partition_implILS5_8ELb0ES3_jPKlPS6_PKS6_NS0_5tupleIJPlS6_EEENSE_IJSB_SB_EEENS0_18inequality_wrapperIN6hipcub16HIPCUB_304000_NS8EqualityEEESF_JS6_EEE10hipError_tPvRmT3_T4_T5_T6_T7_T9_mT8_P12ihipStream_tbDpT10_ENKUlT_T0_E_clISt17integral_constantIbLb1EES15_IbLb0EEEEDaS11_S12_EUlS11_E_NS1_11comp_targetILNS1_3genE0ELNS1_11target_archE4294967295ELNS1_3gpuE0ELNS1_3repE0EEENS1_30default_config_static_selectorELNS0_4arch9wavefront6targetE1EEEvT1_.uses_vcc, 0
	.set _ZN7rocprim17ROCPRIM_400000_NS6detail17trampoline_kernelINS0_14default_configENS1_25partition_config_selectorILNS1_17partition_subalgoE8ElNS0_10empty_typeEbEEZZNS1_14partition_implILS5_8ELb0ES3_jPKlPS6_PKS6_NS0_5tupleIJPlS6_EEENSE_IJSB_SB_EEENS0_18inequality_wrapperIN6hipcub16HIPCUB_304000_NS8EqualityEEESF_JS6_EEE10hipError_tPvRmT3_T4_T5_T6_T7_T9_mT8_P12ihipStream_tbDpT10_ENKUlT_T0_E_clISt17integral_constantIbLb1EES15_IbLb0EEEEDaS11_S12_EUlS11_E_NS1_11comp_targetILNS1_3genE0ELNS1_11target_archE4294967295ELNS1_3gpuE0ELNS1_3repE0EEENS1_30default_config_static_selectorELNS0_4arch9wavefront6targetE1EEEvT1_.uses_flat_scratch, 0
	.set _ZN7rocprim17ROCPRIM_400000_NS6detail17trampoline_kernelINS0_14default_configENS1_25partition_config_selectorILNS1_17partition_subalgoE8ElNS0_10empty_typeEbEEZZNS1_14partition_implILS5_8ELb0ES3_jPKlPS6_PKS6_NS0_5tupleIJPlS6_EEENSE_IJSB_SB_EEENS0_18inequality_wrapperIN6hipcub16HIPCUB_304000_NS8EqualityEEESF_JS6_EEE10hipError_tPvRmT3_T4_T5_T6_T7_T9_mT8_P12ihipStream_tbDpT10_ENKUlT_T0_E_clISt17integral_constantIbLb1EES15_IbLb0EEEEDaS11_S12_EUlS11_E_NS1_11comp_targetILNS1_3genE0ELNS1_11target_archE4294967295ELNS1_3gpuE0ELNS1_3repE0EEENS1_30default_config_static_selectorELNS0_4arch9wavefront6targetE1EEEvT1_.has_dyn_sized_stack, 0
	.set _ZN7rocprim17ROCPRIM_400000_NS6detail17trampoline_kernelINS0_14default_configENS1_25partition_config_selectorILNS1_17partition_subalgoE8ElNS0_10empty_typeEbEEZZNS1_14partition_implILS5_8ELb0ES3_jPKlPS6_PKS6_NS0_5tupleIJPlS6_EEENSE_IJSB_SB_EEENS0_18inequality_wrapperIN6hipcub16HIPCUB_304000_NS8EqualityEEESF_JS6_EEE10hipError_tPvRmT3_T4_T5_T6_T7_T9_mT8_P12ihipStream_tbDpT10_ENKUlT_T0_E_clISt17integral_constantIbLb1EES15_IbLb0EEEEDaS11_S12_EUlS11_E_NS1_11comp_targetILNS1_3genE0ELNS1_11target_archE4294967295ELNS1_3gpuE0ELNS1_3repE0EEENS1_30default_config_static_selectorELNS0_4arch9wavefront6targetE1EEEvT1_.has_recursion, 0
	.set _ZN7rocprim17ROCPRIM_400000_NS6detail17trampoline_kernelINS0_14default_configENS1_25partition_config_selectorILNS1_17partition_subalgoE8ElNS0_10empty_typeEbEEZZNS1_14partition_implILS5_8ELb0ES3_jPKlPS6_PKS6_NS0_5tupleIJPlS6_EEENSE_IJSB_SB_EEENS0_18inequality_wrapperIN6hipcub16HIPCUB_304000_NS8EqualityEEESF_JS6_EEE10hipError_tPvRmT3_T4_T5_T6_T7_T9_mT8_P12ihipStream_tbDpT10_ENKUlT_T0_E_clISt17integral_constantIbLb1EES15_IbLb0EEEEDaS11_S12_EUlS11_E_NS1_11comp_targetILNS1_3genE0ELNS1_11target_archE4294967295ELNS1_3gpuE0ELNS1_3repE0EEENS1_30default_config_static_selectorELNS0_4arch9wavefront6targetE1EEEvT1_.has_indirect_call, 0
	.section	.AMDGPU.csdata,"",@progbits
; Kernel info:
; codeLenInByte = 4
; TotalNumSgprs: 6
; NumVgprs: 0
; NumAgprs: 0
; TotalNumVgprs: 0
; ScratchSize: 0
; MemoryBound: 0
; FloatMode: 240
; IeeeMode: 1
; LDSByteSize: 0 bytes/workgroup (compile time only)
; SGPRBlocks: 0
; VGPRBlocks: 0
; NumSGPRsForWavesPerEU: 6
; NumVGPRsForWavesPerEU: 1
; AccumOffset: 4
; Occupancy: 8
; WaveLimiterHint : 0
; COMPUTE_PGM_RSRC2:SCRATCH_EN: 0
; COMPUTE_PGM_RSRC2:USER_SGPR: 2
; COMPUTE_PGM_RSRC2:TRAP_HANDLER: 0
; COMPUTE_PGM_RSRC2:TGID_X_EN: 1
; COMPUTE_PGM_RSRC2:TGID_Y_EN: 0
; COMPUTE_PGM_RSRC2:TGID_Z_EN: 0
; COMPUTE_PGM_RSRC2:TIDIG_COMP_CNT: 0
; COMPUTE_PGM_RSRC3_GFX90A:ACCUM_OFFSET: 0
; COMPUTE_PGM_RSRC3_GFX90A:TG_SPLIT: 0
	.section	.text._ZN7rocprim17ROCPRIM_400000_NS6detail17trampoline_kernelINS0_14default_configENS1_25partition_config_selectorILNS1_17partition_subalgoE8ElNS0_10empty_typeEbEEZZNS1_14partition_implILS5_8ELb0ES3_jPKlPS6_PKS6_NS0_5tupleIJPlS6_EEENSE_IJSB_SB_EEENS0_18inequality_wrapperIN6hipcub16HIPCUB_304000_NS8EqualityEEESF_JS6_EEE10hipError_tPvRmT3_T4_T5_T6_T7_T9_mT8_P12ihipStream_tbDpT10_ENKUlT_T0_E_clISt17integral_constantIbLb1EES15_IbLb0EEEEDaS11_S12_EUlS11_E_NS1_11comp_targetILNS1_3genE5ELNS1_11target_archE942ELNS1_3gpuE9ELNS1_3repE0EEENS1_30default_config_static_selectorELNS0_4arch9wavefront6targetE1EEEvT1_,"axG",@progbits,_ZN7rocprim17ROCPRIM_400000_NS6detail17trampoline_kernelINS0_14default_configENS1_25partition_config_selectorILNS1_17partition_subalgoE8ElNS0_10empty_typeEbEEZZNS1_14partition_implILS5_8ELb0ES3_jPKlPS6_PKS6_NS0_5tupleIJPlS6_EEENSE_IJSB_SB_EEENS0_18inequality_wrapperIN6hipcub16HIPCUB_304000_NS8EqualityEEESF_JS6_EEE10hipError_tPvRmT3_T4_T5_T6_T7_T9_mT8_P12ihipStream_tbDpT10_ENKUlT_T0_E_clISt17integral_constantIbLb1EES15_IbLb0EEEEDaS11_S12_EUlS11_E_NS1_11comp_targetILNS1_3genE5ELNS1_11target_archE942ELNS1_3gpuE9ELNS1_3repE0EEENS1_30default_config_static_selectorELNS0_4arch9wavefront6targetE1EEEvT1_,comdat
	.protected	_ZN7rocprim17ROCPRIM_400000_NS6detail17trampoline_kernelINS0_14default_configENS1_25partition_config_selectorILNS1_17partition_subalgoE8ElNS0_10empty_typeEbEEZZNS1_14partition_implILS5_8ELb0ES3_jPKlPS6_PKS6_NS0_5tupleIJPlS6_EEENSE_IJSB_SB_EEENS0_18inequality_wrapperIN6hipcub16HIPCUB_304000_NS8EqualityEEESF_JS6_EEE10hipError_tPvRmT3_T4_T5_T6_T7_T9_mT8_P12ihipStream_tbDpT10_ENKUlT_T0_E_clISt17integral_constantIbLb1EES15_IbLb0EEEEDaS11_S12_EUlS11_E_NS1_11comp_targetILNS1_3genE5ELNS1_11target_archE942ELNS1_3gpuE9ELNS1_3repE0EEENS1_30default_config_static_selectorELNS0_4arch9wavefront6targetE1EEEvT1_ ; -- Begin function _ZN7rocprim17ROCPRIM_400000_NS6detail17trampoline_kernelINS0_14default_configENS1_25partition_config_selectorILNS1_17partition_subalgoE8ElNS0_10empty_typeEbEEZZNS1_14partition_implILS5_8ELb0ES3_jPKlPS6_PKS6_NS0_5tupleIJPlS6_EEENSE_IJSB_SB_EEENS0_18inequality_wrapperIN6hipcub16HIPCUB_304000_NS8EqualityEEESF_JS6_EEE10hipError_tPvRmT3_T4_T5_T6_T7_T9_mT8_P12ihipStream_tbDpT10_ENKUlT_T0_E_clISt17integral_constantIbLb1EES15_IbLb0EEEEDaS11_S12_EUlS11_E_NS1_11comp_targetILNS1_3genE5ELNS1_11target_archE942ELNS1_3gpuE9ELNS1_3repE0EEENS1_30default_config_static_selectorELNS0_4arch9wavefront6targetE1EEEvT1_
	.globl	_ZN7rocprim17ROCPRIM_400000_NS6detail17trampoline_kernelINS0_14default_configENS1_25partition_config_selectorILNS1_17partition_subalgoE8ElNS0_10empty_typeEbEEZZNS1_14partition_implILS5_8ELb0ES3_jPKlPS6_PKS6_NS0_5tupleIJPlS6_EEENSE_IJSB_SB_EEENS0_18inequality_wrapperIN6hipcub16HIPCUB_304000_NS8EqualityEEESF_JS6_EEE10hipError_tPvRmT3_T4_T5_T6_T7_T9_mT8_P12ihipStream_tbDpT10_ENKUlT_T0_E_clISt17integral_constantIbLb1EES15_IbLb0EEEEDaS11_S12_EUlS11_E_NS1_11comp_targetILNS1_3genE5ELNS1_11target_archE942ELNS1_3gpuE9ELNS1_3repE0EEENS1_30default_config_static_selectorELNS0_4arch9wavefront6targetE1EEEvT1_
	.p2align	8
	.type	_ZN7rocprim17ROCPRIM_400000_NS6detail17trampoline_kernelINS0_14default_configENS1_25partition_config_selectorILNS1_17partition_subalgoE8ElNS0_10empty_typeEbEEZZNS1_14partition_implILS5_8ELb0ES3_jPKlPS6_PKS6_NS0_5tupleIJPlS6_EEENSE_IJSB_SB_EEENS0_18inequality_wrapperIN6hipcub16HIPCUB_304000_NS8EqualityEEESF_JS6_EEE10hipError_tPvRmT3_T4_T5_T6_T7_T9_mT8_P12ihipStream_tbDpT10_ENKUlT_T0_E_clISt17integral_constantIbLb1EES15_IbLb0EEEEDaS11_S12_EUlS11_E_NS1_11comp_targetILNS1_3genE5ELNS1_11target_archE942ELNS1_3gpuE9ELNS1_3repE0EEENS1_30default_config_static_selectorELNS0_4arch9wavefront6targetE1EEEvT1_,@function
_ZN7rocprim17ROCPRIM_400000_NS6detail17trampoline_kernelINS0_14default_configENS1_25partition_config_selectorILNS1_17partition_subalgoE8ElNS0_10empty_typeEbEEZZNS1_14partition_implILS5_8ELb0ES3_jPKlPS6_PKS6_NS0_5tupleIJPlS6_EEENSE_IJSB_SB_EEENS0_18inequality_wrapperIN6hipcub16HIPCUB_304000_NS8EqualityEEESF_JS6_EEE10hipError_tPvRmT3_T4_T5_T6_T7_T9_mT8_P12ihipStream_tbDpT10_ENKUlT_T0_E_clISt17integral_constantIbLb1EES15_IbLb0EEEEDaS11_S12_EUlS11_E_NS1_11comp_targetILNS1_3genE5ELNS1_11target_archE942ELNS1_3gpuE9ELNS1_3repE0EEENS1_30default_config_static_selectorELNS0_4arch9wavefront6targetE1EEEvT1_: ; @_ZN7rocprim17ROCPRIM_400000_NS6detail17trampoline_kernelINS0_14default_configENS1_25partition_config_selectorILNS1_17partition_subalgoE8ElNS0_10empty_typeEbEEZZNS1_14partition_implILS5_8ELb0ES3_jPKlPS6_PKS6_NS0_5tupleIJPlS6_EEENSE_IJSB_SB_EEENS0_18inequality_wrapperIN6hipcub16HIPCUB_304000_NS8EqualityEEESF_JS6_EEE10hipError_tPvRmT3_T4_T5_T6_T7_T9_mT8_P12ihipStream_tbDpT10_ENKUlT_T0_E_clISt17integral_constantIbLb1EES15_IbLb0EEEEDaS11_S12_EUlS11_E_NS1_11comp_targetILNS1_3genE5ELNS1_11target_archE942ELNS1_3gpuE9ELNS1_3repE0EEENS1_30default_config_static_selectorELNS0_4arch9wavefront6targetE1EEEvT1_
; %bb.0:
	.section	.rodata,"a",@progbits
	.p2align	6, 0x0
	.amdhsa_kernel _ZN7rocprim17ROCPRIM_400000_NS6detail17trampoline_kernelINS0_14default_configENS1_25partition_config_selectorILNS1_17partition_subalgoE8ElNS0_10empty_typeEbEEZZNS1_14partition_implILS5_8ELb0ES3_jPKlPS6_PKS6_NS0_5tupleIJPlS6_EEENSE_IJSB_SB_EEENS0_18inequality_wrapperIN6hipcub16HIPCUB_304000_NS8EqualityEEESF_JS6_EEE10hipError_tPvRmT3_T4_T5_T6_T7_T9_mT8_P12ihipStream_tbDpT10_ENKUlT_T0_E_clISt17integral_constantIbLb1EES15_IbLb0EEEEDaS11_S12_EUlS11_E_NS1_11comp_targetILNS1_3genE5ELNS1_11target_archE942ELNS1_3gpuE9ELNS1_3repE0EEENS1_30default_config_static_selectorELNS0_4arch9wavefront6targetE1EEEvT1_
		.amdhsa_group_segment_fixed_size 0
		.amdhsa_private_segment_fixed_size 0
		.amdhsa_kernarg_size 112
		.amdhsa_user_sgpr_count 2
		.amdhsa_user_sgpr_dispatch_ptr 0
		.amdhsa_user_sgpr_queue_ptr 0
		.amdhsa_user_sgpr_kernarg_segment_ptr 1
		.amdhsa_user_sgpr_dispatch_id 0
		.amdhsa_user_sgpr_kernarg_preload_length 0
		.amdhsa_user_sgpr_kernarg_preload_offset 0
		.amdhsa_user_sgpr_private_segment_size 0
		.amdhsa_uses_dynamic_stack 0
		.amdhsa_enable_private_segment 0
		.amdhsa_system_sgpr_workgroup_id_x 1
		.amdhsa_system_sgpr_workgroup_id_y 0
		.amdhsa_system_sgpr_workgroup_id_z 0
		.amdhsa_system_sgpr_workgroup_info 0
		.amdhsa_system_vgpr_workitem_id 0
		.amdhsa_next_free_vgpr 1
		.amdhsa_next_free_sgpr 0
		.amdhsa_accum_offset 4
		.amdhsa_reserve_vcc 0
		.amdhsa_float_round_mode_32 0
		.amdhsa_float_round_mode_16_64 0
		.amdhsa_float_denorm_mode_32 3
		.amdhsa_float_denorm_mode_16_64 3
		.amdhsa_dx10_clamp 1
		.amdhsa_ieee_mode 1
		.amdhsa_fp16_overflow 0
		.amdhsa_tg_split 0
		.amdhsa_exception_fp_ieee_invalid_op 0
		.amdhsa_exception_fp_denorm_src 0
		.amdhsa_exception_fp_ieee_div_zero 0
		.amdhsa_exception_fp_ieee_overflow 0
		.amdhsa_exception_fp_ieee_underflow 0
		.amdhsa_exception_fp_ieee_inexact 0
		.amdhsa_exception_int_div_zero 0
	.end_amdhsa_kernel
	.section	.text._ZN7rocprim17ROCPRIM_400000_NS6detail17trampoline_kernelINS0_14default_configENS1_25partition_config_selectorILNS1_17partition_subalgoE8ElNS0_10empty_typeEbEEZZNS1_14partition_implILS5_8ELb0ES3_jPKlPS6_PKS6_NS0_5tupleIJPlS6_EEENSE_IJSB_SB_EEENS0_18inequality_wrapperIN6hipcub16HIPCUB_304000_NS8EqualityEEESF_JS6_EEE10hipError_tPvRmT3_T4_T5_T6_T7_T9_mT8_P12ihipStream_tbDpT10_ENKUlT_T0_E_clISt17integral_constantIbLb1EES15_IbLb0EEEEDaS11_S12_EUlS11_E_NS1_11comp_targetILNS1_3genE5ELNS1_11target_archE942ELNS1_3gpuE9ELNS1_3repE0EEENS1_30default_config_static_selectorELNS0_4arch9wavefront6targetE1EEEvT1_,"axG",@progbits,_ZN7rocprim17ROCPRIM_400000_NS6detail17trampoline_kernelINS0_14default_configENS1_25partition_config_selectorILNS1_17partition_subalgoE8ElNS0_10empty_typeEbEEZZNS1_14partition_implILS5_8ELb0ES3_jPKlPS6_PKS6_NS0_5tupleIJPlS6_EEENSE_IJSB_SB_EEENS0_18inequality_wrapperIN6hipcub16HIPCUB_304000_NS8EqualityEEESF_JS6_EEE10hipError_tPvRmT3_T4_T5_T6_T7_T9_mT8_P12ihipStream_tbDpT10_ENKUlT_T0_E_clISt17integral_constantIbLb1EES15_IbLb0EEEEDaS11_S12_EUlS11_E_NS1_11comp_targetILNS1_3genE5ELNS1_11target_archE942ELNS1_3gpuE9ELNS1_3repE0EEENS1_30default_config_static_selectorELNS0_4arch9wavefront6targetE1EEEvT1_,comdat
.Lfunc_end243:
	.size	_ZN7rocprim17ROCPRIM_400000_NS6detail17trampoline_kernelINS0_14default_configENS1_25partition_config_selectorILNS1_17partition_subalgoE8ElNS0_10empty_typeEbEEZZNS1_14partition_implILS5_8ELb0ES3_jPKlPS6_PKS6_NS0_5tupleIJPlS6_EEENSE_IJSB_SB_EEENS0_18inequality_wrapperIN6hipcub16HIPCUB_304000_NS8EqualityEEESF_JS6_EEE10hipError_tPvRmT3_T4_T5_T6_T7_T9_mT8_P12ihipStream_tbDpT10_ENKUlT_T0_E_clISt17integral_constantIbLb1EES15_IbLb0EEEEDaS11_S12_EUlS11_E_NS1_11comp_targetILNS1_3genE5ELNS1_11target_archE942ELNS1_3gpuE9ELNS1_3repE0EEENS1_30default_config_static_selectorELNS0_4arch9wavefront6targetE1EEEvT1_, .Lfunc_end243-_ZN7rocprim17ROCPRIM_400000_NS6detail17trampoline_kernelINS0_14default_configENS1_25partition_config_selectorILNS1_17partition_subalgoE8ElNS0_10empty_typeEbEEZZNS1_14partition_implILS5_8ELb0ES3_jPKlPS6_PKS6_NS0_5tupleIJPlS6_EEENSE_IJSB_SB_EEENS0_18inequality_wrapperIN6hipcub16HIPCUB_304000_NS8EqualityEEESF_JS6_EEE10hipError_tPvRmT3_T4_T5_T6_T7_T9_mT8_P12ihipStream_tbDpT10_ENKUlT_T0_E_clISt17integral_constantIbLb1EES15_IbLb0EEEEDaS11_S12_EUlS11_E_NS1_11comp_targetILNS1_3genE5ELNS1_11target_archE942ELNS1_3gpuE9ELNS1_3repE0EEENS1_30default_config_static_selectorELNS0_4arch9wavefront6targetE1EEEvT1_
                                        ; -- End function
	.set _ZN7rocprim17ROCPRIM_400000_NS6detail17trampoline_kernelINS0_14default_configENS1_25partition_config_selectorILNS1_17partition_subalgoE8ElNS0_10empty_typeEbEEZZNS1_14partition_implILS5_8ELb0ES3_jPKlPS6_PKS6_NS0_5tupleIJPlS6_EEENSE_IJSB_SB_EEENS0_18inequality_wrapperIN6hipcub16HIPCUB_304000_NS8EqualityEEESF_JS6_EEE10hipError_tPvRmT3_T4_T5_T6_T7_T9_mT8_P12ihipStream_tbDpT10_ENKUlT_T0_E_clISt17integral_constantIbLb1EES15_IbLb0EEEEDaS11_S12_EUlS11_E_NS1_11comp_targetILNS1_3genE5ELNS1_11target_archE942ELNS1_3gpuE9ELNS1_3repE0EEENS1_30default_config_static_selectorELNS0_4arch9wavefront6targetE1EEEvT1_.num_vgpr, 0
	.set _ZN7rocprim17ROCPRIM_400000_NS6detail17trampoline_kernelINS0_14default_configENS1_25partition_config_selectorILNS1_17partition_subalgoE8ElNS0_10empty_typeEbEEZZNS1_14partition_implILS5_8ELb0ES3_jPKlPS6_PKS6_NS0_5tupleIJPlS6_EEENSE_IJSB_SB_EEENS0_18inequality_wrapperIN6hipcub16HIPCUB_304000_NS8EqualityEEESF_JS6_EEE10hipError_tPvRmT3_T4_T5_T6_T7_T9_mT8_P12ihipStream_tbDpT10_ENKUlT_T0_E_clISt17integral_constantIbLb1EES15_IbLb0EEEEDaS11_S12_EUlS11_E_NS1_11comp_targetILNS1_3genE5ELNS1_11target_archE942ELNS1_3gpuE9ELNS1_3repE0EEENS1_30default_config_static_selectorELNS0_4arch9wavefront6targetE1EEEvT1_.num_agpr, 0
	.set _ZN7rocprim17ROCPRIM_400000_NS6detail17trampoline_kernelINS0_14default_configENS1_25partition_config_selectorILNS1_17partition_subalgoE8ElNS0_10empty_typeEbEEZZNS1_14partition_implILS5_8ELb0ES3_jPKlPS6_PKS6_NS0_5tupleIJPlS6_EEENSE_IJSB_SB_EEENS0_18inequality_wrapperIN6hipcub16HIPCUB_304000_NS8EqualityEEESF_JS6_EEE10hipError_tPvRmT3_T4_T5_T6_T7_T9_mT8_P12ihipStream_tbDpT10_ENKUlT_T0_E_clISt17integral_constantIbLb1EES15_IbLb0EEEEDaS11_S12_EUlS11_E_NS1_11comp_targetILNS1_3genE5ELNS1_11target_archE942ELNS1_3gpuE9ELNS1_3repE0EEENS1_30default_config_static_selectorELNS0_4arch9wavefront6targetE1EEEvT1_.numbered_sgpr, 0
	.set _ZN7rocprim17ROCPRIM_400000_NS6detail17trampoline_kernelINS0_14default_configENS1_25partition_config_selectorILNS1_17partition_subalgoE8ElNS0_10empty_typeEbEEZZNS1_14partition_implILS5_8ELb0ES3_jPKlPS6_PKS6_NS0_5tupleIJPlS6_EEENSE_IJSB_SB_EEENS0_18inequality_wrapperIN6hipcub16HIPCUB_304000_NS8EqualityEEESF_JS6_EEE10hipError_tPvRmT3_T4_T5_T6_T7_T9_mT8_P12ihipStream_tbDpT10_ENKUlT_T0_E_clISt17integral_constantIbLb1EES15_IbLb0EEEEDaS11_S12_EUlS11_E_NS1_11comp_targetILNS1_3genE5ELNS1_11target_archE942ELNS1_3gpuE9ELNS1_3repE0EEENS1_30default_config_static_selectorELNS0_4arch9wavefront6targetE1EEEvT1_.num_named_barrier, 0
	.set _ZN7rocprim17ROCPRIM_400000_NS6detail17trampoline_kernelINS0_14default_configENS1_25partition_config_selectorILNS1_17partition_subalgoE8ElNS0_10empty_typeEbEEZZNS1_14partition_implILS5_8ELb0ES3_jPKlPS6_PKS6_NS0_5tupleIJPlS6_EEENSE_IJSB_SB_EEENS0_18inequality_wrapperIN6hipcub16HIPCUB_304000_NS8EqualityEEESF_JS6_EEE10hipError_tPvRmT3_T4_T5_T6_T7_T9_mT8_P12ihipStream_tbDpT10_ENKUlT_T0_E_clISt17integral_constantIbLb1EES15_IbLb0EEEEDaS11_S12_EUlS11_E_NS1_11comp_targetILNS1_3genE5ELNS1_11target_archE942ELNS1_3gpuE9ELNS1_3repE0EEENS1_30default_config_static_selectorELNS0_4arch9wavefront6targetE1EEEvT1_.private_seg_size, 0
	.set _ZN7rocprim17ROCPRIM_400000_NS6detail17trampoline_kernelINS0_14default_configENS1_25partition_config_selectorILNS1_17partition_subalgoE8ElNS0_10empty_typeEbEEZZNS1_14partition_implILS5_8ELb0ES3_jPKlPS6_PKS6_NS0_5tupleIJPlS6_EEENSE_IJSB_SB_EEENS0_18inequality_wrapperIN6hipcub16HIPCUB_304000_NS8EqualityEEESF_JS6_EEE10hipError_tPvRmT3_T4_T5_T6_T7_T9_mT8_P12ihipStream_tbDpT10_ENKUlT_T0_E_clISt17integral_constantIbLb1EES15_IbLb0EEEEDaS11_S12_EUlS11_E_NS1_11comp_targetILNS1_3genE5ELNS1_11target_archE942ELNS1_3gpuE9ELNS1_3repE0EEENS1_30default_config_static_selectorELNS0_4arch9wavefront6targetE1EEEvT1_.uses_vcc, 0
	.set _ZN7rocprim17ROCPRIM_400000_NS6detail17trampoline_kernelINS0_14default_configENS1_25partition_config_selectorILNS1_17partition_subalgoE8ElNS0_10empty_typeEbEEZZNS1_14partition_implILS5_8ELb0ES3_jPKlPS6_PKS6_NS0_5tupleIJPlS6_EEENSE_IJSB_SB_EEENS0_18inequality_wrapperIN6hipcub16HIPCUB_304000_NS8EqualityEEESF_JS6_EEE10hipError_tPvRmT3_T4_T5_T6_T7_T9_mT8_P12ihipStream_tbDpT10_ENKUlT_T0_E_clISt17integral_constantIbLb1EES15_IbLb0EEEEDaS11_S12_EUlS11_E_NS1_11comp_targetILNS1_3genE5ELNS1_11target_archE942ELNS1_3gpuE9ELNS1_3repE0EEENS1_30default_config_static_selectorELNS0_4arch9wavefront6targetE1EEEvT1_.uses_flat_scratch, 0
	.set _ZN7rocprim17ROCPRIM_400000_NS6detail17trampoline_kernelINS0_14default_configENS1_25partition_config_selectorILNS1_17partition_subalgoE8ElNS0_10empty_typeEbEEZZNS1_14partition_implILS5_8ELb0ES3_jPKlPS6_PKS6_NS0_5tupleIJPlS6_EEENSE_IJSB_SB_EEENS0_18inequality_wrapperIN6hipcub16HIPCUB_304000_NS8EqualityEEESF_JS6_EEE10hipError_tPvRmT3_T4_T5_T6_T7_T9_mT8_P12ihipStream_tbDpT10_ENKUlT_T0_E_clISt17integral_constantIbLb1EES15_IbLb0EEEEDaS11_S12_EUlS11_E_NS1_11comp_targetILNS1_3genE5ELNS1_11target_archE942ELNS1_3gpuE9ELNS1_3repE0EEENS1_30default_config_static_selectorELNS0_4arch9wavefront6targetE1EEEvT1_.has_dyn_sized_stack, 0
	.set _ZN7rocprim17ROCPRIM_400000_NS6detail17trampoline_kernelINS0_14default_configENS1_25partition_config_selectorILNS1_17partition_subalgoE8ElNS0_10empty_typeEbEEZZNS1_14partition_implILS5_8ELb0ES3_jPKlPS6_PKS6_NS0_5tupleIJPlS6_EEENSE_IJSB_SB_EEENS0_18inequality_wrapperIN6hipcub16HIPCUB_304000_NS8EqualityEEESF_JS6_EEE10hipError_tPvRmT3_T4_T5_T6_T7_T9_mT8_P12ihipStream_tbDpT10_ENKUlT_T0_E_clISt17integral_constantIbLb1EES15_IbLb0EEEEDaS11_S12_EUlS11_E_NS1_11comp_targetILNS1_3genE5ELNS1_11target_archE942ELNS1_3gpuE9ELNS1_3repE0EEENS1_30default_config_static_selectorELNS0_4arch9wavefront6targetE1EEEvT1_.has_recursion, 0
	.set _ZN7rocprim17ROCPRIM_400000_NS6detail17trampoline_kernelINS0_14default_configENS1_25partition_config_selectorILNS1_17partition_subalgoE8ElNS0_10empty_typeEbEEZZNS1_14partition_implILS5_8ELb0ES3_jPKlPS6_PKS6_NS0_5tupleIJPlS6_EEENSE_IJSB_SB_EEENS0_18inequality_wrapperIN6hipcub16HIPCUB_304000_NS8EqualityEEESF_JS6_EEE10hipError_tPvRmT3_T4_T5_T6_T7_T9_mT8_P12ihipStream_tbDpT10_ENKUlT_T0_E_clISt17integral_constantIbLb1EES15_IbLb0EEEEDaS11_S12_EUlS11_E_NS1_11comp_targetILNS1_3genE5ELNS1_11target_archE942ELNS1_3gpuE9ELNS1_3repE0EEENS1_30default_config_static_selectorELNS0_4arch9wavefront6targetE1EEEvT1_.has_indirect_call, 0
	.section	.AMDGPU.csdata,"",@progbits
; Kernel info:
; codeLenInByte = 0
; TotalNumSgprs: 6
; NumVgprs: 0
; NumAgprs: 0
; TotalNumVgprs: 0
; ScratchSize: 0
; MemoryBound: 0
; FloatMode: 240
; IeeeMode: 1
; LDSByteSize: 0 bytes/workgroup (compile time only)
; SGPRBlocks: 0
; VGPRBlocks: 0
; NumSGPRsForWavesPerEU: 6
; NumVGPRsForWavesPerEU: 1
; AccumOffset: 4
; Occupancy: 8
; WaveLimiterHint : 0
; COMPUTE_PGM_RSRC2:SCRATCH_EN: 0
; COMPUTE_PGM_RSRC2:USER_SGPR: 2
; COMPUTE_PGM_RSRC2:TRAP_HANDLER: 0
; COMPUTE_PGM_RSRC2:TGID_X_EN: 1
; COMPUTE_PGM_RSRC2:TGID_Y_EN: 0
; COMPUTE_PGM_RSRC2:TGID_Z_EN: 0
; COMPUTE_PGM_RSRC2:TIDIG_COMP_CNT: 0
; COMPUTE_PGM_RSRC3_GFX90A:ACCUM_OFFSET: 0
; COMPUTE_PGM_RSRC3_GFX90A:TG_SPLIT: 0
	.section	.text._ZN7rocprim17ROCPRIM_400000_NS6detail17trampoline_kernelINS0_14default_configENS1_25partition_config_selectorILNS1_17partition_subalgoE8ElNS0_10empty_typeEbEEZZNS1_14partition_implILS5_8ELb0ES3_jPKlPS6_PKS6_NS0_5tupleIJPlS6_EEENSE_IJSB_SB_EEENS0_18inequality_wrapperIN6hipcub16HIPCUB_304000_NS8EqualityEEESF_JS6_EEE10hipError_tPvRmT3_T4_T5_T6_T7_T9_mT8_P12ihipStream_tbDpT10_ENKUlT_T0_E_clISt17integral_constantIbLb1EES15_IbLb0EEEEDaS11_S12_EUlS11_E_NS1_11comp_targetILNS1_3genE4ELNS1_11target_archE910ELNS1_3gpuE8ELNS1_3repE0EEENS1_30default_config_static_selectorELNS0_4arch9wavefront6targetE1EEEvT1_,"axG",@progbits,_ZN7rocprim17ROCPRIM_400000_NS6detail17trampoline_kernelINS0_14default_configENS1_25partition_config_selectorILNS1_17partition_subalgoE8ElNS0_10empty_typeEbEEZZNS1_14partition_implILS5_8ELb0ES3_jPKlPS6_PKS6_NS0_5tupleIJPlS6_EEENSE_IJSB_SB_EEENS0_18inequality_wrapperIN6hipcub16HIPCUB_304000_NS8EqualityEEESF_JS6_EEE10hipError_tPvRmT3_T4_T5_T6_T7_T9_mT8_P12ihipStream_tbDpT10_ENKUlT_T0_E_clISt17integral_constantIbLb1EES15_IbLb0EEEEDaS11_S12_EUlS11_E_NS1_11comp_targetILNS1_3genE4ELNS1_11target_archE910ELNS1_3gpuE8ELNS1_3repE0EEENS1_30default_config_static_selectorELNS0_4arch9wavefront6targetE1EEEvT1_,comdat
	.protected	_ZN7rocprim17ROCPRIM_400000_NS6detail17trampoline_kernelINS0_14default_configENS1_25partition_config_selectorILNS1_17partition_subalgoE8ElNS0_10empty_typeEbEEZZNS1_14partition_implILS5_8ELb0ES3_jPKlPS6_PKS6_NS0_5tupleIJPlS6_EEENSE_IJSB_SB_EEENS0_18inequality_wrapperIN6hipcub16HIPCUB_304000_NS8EqualityEEESF_JS6_EEE10hipError_tPvRmT3_T4_T5_T6_T7_T9_mT8_P12ihipStream_tbDpT10_ENKUlT_T0_E_clISt17integral_constantIbLb1EES15_IbLb0EEEEDaS11_S12_EUlS11_E_NS1_11comp_targetILNS1_3genE4ELNS1_11target_archE910ELNS1_3gpuE8ELNS1_3repE0EEENS1_30default_config_static_selectorELNS0_4arch9wavefront6targetE1EEEvT1_ ; -- Begin function _ZN7rocprim17ROCPRIM_400000_NS6detail17trampoline_kernelINS0_14default_configENS1_25partition_config_selectorILNS1_17partition_subalgoE8ElNS0_10empty_typeEbEEZZNS1_14partition_implILS5_8ELb0ES3_jPKlPS6_PKS6_NS0_5tupleIJPlS6_EEENSE_IJSB_SB_EEENS0_18inequality_wrapperIN6hipcub16HIPCUB_304000_NS8EqualityEEESF_JS6_EEE10hipError_tPvRmT3_T4_T5_T6_T7_T9_mT8_P12ihipStream_tbDpT10_ENKUlT_T0_E_clISt17integral_constantIbLb1EES15_IbLb0EEEEDaS11_S12_EUlS11_E_NS1_11comp_targetILNS1_3genE4ELNS1_11target_archE910ELNS1_3gpuE8ELNS1_3repE0EEENS1_30default_config_static_selectorELNS0_4arch9wavefront6targetE1EEEvT1_
	.globl	_ZN7rocprim17ROCPRIM_400000_NS6detail17trampoline_kernelINS0_14default_configENS1_25partition_config_selectorILNS1_17partition_subalgoE8ElNS0_10empty_typeEbEEZZNS1_14partition_implILS5_8ELb0ES3_jPKlPS6_PKS6_NS0_5tupleIJPlS6_EEENSE_IJSB_SB_EEENS0_18inequality_wrapperIN6hipcub16HIPCUB_304000_NS8EqualityEEESF_JS6_EEE10hipError_tPvRmT3_T4_T5_T6_T7_T9_mT8_P12ihipStream_tbDpT10_ENKUlT_T0_E_clISt17integral_constantIbLb1EES15_IbLb0EEEEDaS11_S12_EUlS11_E_NS1_11comp_targetILNS1_3genE4ELNS1_11target_archE910ELNS1_3gpuE8ELNS1_3repE0EEENS1_30default_config_static_selectorELNS0_4arch9wavefront6targetE1EEEvT1_
	.p2align	8
	.type	_ZN7rocprim17ROCPRIM_400000_NS6detail17trampoline_kernelINS0_14default_configENS1_25partition_config_selectorILNS1_17partition_subalgoE8ElNS0_10empty_typeEbEEZZNS1_14partition_implILS5_8ELb0ES3_jPKlPS6_PKS6_NS0_5tupleIJPlS6_EEENSE_IJSB_SB_EEENS0_18inequality_wrapperIN6hipcub16HIPCUB_304000_NS8EqualityEEESF_JS6_EEE10hipError_tPvRmT3_T4_T5_T6_T7_T9_mT8_P12ihipStream_tbDpT10_ENKUlT_T0_E_clISt17integral_constantIbLb1EES15_IbLb0EEEEDaS11_S12_EUlS11_E_NS1_11comp_targetILNS1_3genE4ELNS1_11target_archE910ELNS1_3gpuE8ELNS1_3repE0EEENS1_30default_config_static_selectorELNS0_4arch9wavefront6targetE1EEEvT1_,@function
_ZN7rocprim17ROCPRIM_400000_NS6detail17trampoline_kernelINS0_14default_configENS1_25partition_config_selectorILNS1_17partition_subalgoE8ElNS0_10empty_typeEbEEZZNS1_14partition_implILS5_8ELb0ES3_jPKlPS6_PKS6_NS0_5tupleIJPlS6_EEENSE_IJSB_SB_EEENS0_18inequality_wrapperIN6hipcub16HIPCUB_304000_NS8EqualityEEESF_JS6_EEE10hipError_tPvRmT3_T4_T5_T6_T7_T9_mT8_P12ihipStream_tbDpT10_ENKUlT_T0_E_clISt17integral_constantIbLb1EES15_IbLb0EEEEDaS11_S12_EUlS11_E_NS1_11comp_targetILNS1_3genE4ELNS1_11target_archE910ELNS1_3gpuE8ELNS1_3repE0EEENS1_30default_config_static_selectorELNS0_4arch9wavefront6targetE1EEEvT1_: ; @_ZN7rocprim17ROCPRIM_400000_NS6detail17trampoline_kernelINS0_14default_configENS1_25partition_config_selectorILNS1_17partition_subalgoE8ElNS0_10empty_typeEbEEZZNS1_14partition_implILS5_8ELb0ES3_jPKlPS6_PKS6_NS0_5tupleIJPlS6_EEENSE_IJSB_SB_EEENS0_18inequality_wrapperIN6hipcub16HIPCUB_304000_NS8EqualityEEESF_JS6_EEE10hipError_tPvRmT3_T4_T5_T6_T7_T9_mT8_P12ihipStream_tbDpT10_ENKUlT_T0_E_clISt17integral_constantIbLb1EES15_IbLb0EEEEDaS11_S12_EUlS11_E_NS1_11comp_targetILNS1_3genE4ELNS1_11target_archE910ELNS1_3gpuE8ELNS1_3repE0EEENS1_30default_config_static_selectorELNS0_4arch9wavefront6targetE1EEEvT1_
; %bb.0:
	.section	.rodata,"a",@progbits
	.p2align	6, 0x0
	.amdhsa_kernel _ZN7rocprim17ROCPRIM_400000_NS6detail17trampoline_kernelINS0_14default_configENS1_25partition_config_selectorILNS1_17partition_subalgoE8ElNS0_10empty_typeEbEEZZNS1_14partition_implILS5_8ELb0ES3_jPKlPS6_PKS6_NS0_5tupleIJPlS6_EEENSE_IJSB_SB_EEENS0_18inequality_wrapperIN6hipcub16HIPCUB_304000_NS8EqualityEEESF_JS6_EEE10hipError_tPvRmT3_T4_T5_T6_T7_T9_mT8_P12ihipStream_tbDpT10_ENKUlT_T0_E_clISt17integral_constantIbLb1EES15_IbLb0EEEEDaS11_S12_EUlS11_E_NS1_11comp_targetILNS1_3genE4ELNS1_11target_archE910ELNS1_3gpuE8ELNS1_3repE0EEENS1_30default_config_static_selectorELNS0_4arch9wavefront6targetE1EEEvT1_
		.amdhsa_group_segment_fixed_size 0
		.amdhsa_private_segment_fixed_size 0
		.amdhsa_kernarg_size 112
		.amdhsa_user_sgpr_count 2
		.amdhsa_user_sgpr_dispatch_ptr 0
		.amdhsa_user_sgpr_queue_ptr 0
		.amdhsa_user_sgpr_kernarg_segment_ptr 1
		.amdhsa_user_sgpr_dispatch_id 0
		.amdhsa_user_sgpr_kernarg_preload_length 0
		.amdhsa_user_sgpr_kernarg_preload_offset 0
		.amdhsa_user_sgpr_private_segment_size 0
		.amdhsa_uses_dynamic_stack 0
		.amdhsa_enable_private_segment 0
		.amdhsa_system_sgpr_workgroup_id_x 1
		.amdhsa_system_sgpr_workgroup_id_y 0
		.amdhsa_system_sgpr_workgroup_id_z 0
		.amdhsa_system_sgpr_workgroup_info 0
		.amdhsa_system_vgpr_workitem_id 0
		.amdhsa_next_free_vgpr 1
		.amdhsa_next_free_sgpr 0
		.amdhsa_accum_offset 4
		.amdhsa_reserve_vcc 0
		.amdhsa_float_round_mode_32 0
		.amdhsa_float_round_mode_16_64 0
		.amdhsa_float_denorm_mode_32 3
		.amdhsa_float_denorm_mode_16_64 3
		.amdhsa_dx10_clamp 1
		.amdhsa_ieee_mode 1
		.amdhsa_fp16_overflow 0
		.amdhsa_tg_split 0
		.amdhsa_exception_fp_ieee_invalid_op 0
		.amdhsa_exception_fp_denorm_src 0
		.amdhsa_exception_fp_ieee_div_zero 0
		.amdhsa_exception_fp_ieee_overflow 0
		.amdhsa_exception_fp_ieee_underflow 0
		.amdhsa_exception_fp_ieee_inexact 0
		.amdhsa_exception_int_div_zero 0
	.end_amdhsa_kernel
	.section	.text._ZN7rocprim17ROCPRIM_400000_NS6detail17trampoline_kernelINS0_14default_configENS1_25partition_config_selectorILNS1_17partition_subalgoE8ElNS0_10empty_typeEbEEZZNS1_14partition_implILS5_8ELb0ES3_jPKlPS6_PKS6_NS0_5tupleIJPlS6_EEENSE_IJSB_SB_EEENS0_18inequality_wrapperIN6hipcub16HIPCUB_304000_NS8EqualityEEESF_JS6_EEE10hipError_tPvRmT3_T4_T5_T6_T7_T9_mT8_P12ihipStream_tbDpT10_ENKUlT_T0_E_clISt17integral_constantIbLb1EES15_IbLb0EEEEDaS11_S12_EUlS11_E_NS1_11comp_targetILNS1_3genE4ELNS1_11target_archE910ELNS1_3gpuE8ELNS1_3repE0EEENS1_30default_config_static_selectorELNS0_4arch9wavefront6targetE1EEEvT1_,"axG",@progbits,_ZN7rocprim17ROCPRIM_400000_NS6detail17trampoline_kernelINS0_14default_configENS1_25partition_config_selectorILNS1_17partition_subalgoE8ElNS0_10empty_typeEbEEZZNS1_14partition_implILS5_8ELb0ES3_jPKlPS6_PKS6_NS0_5tupleIJPlS6_EEENSE_IJSB_SB_EEENS0_18inequality_wrapperIN6hipcub16HIPCUB_304000_NS8EqualityEEESF_JS6_EEE10hipError_tPvRmT3_T4_T5_T6_T7_T9_mT8_P12ihipStream_tbDpT10_ENKUlT_T0_E_clISt17integral_constantIbLb1EES15_IbLb0EEEEDaS11_S12_EUlS11_E_NS1_11comp_targetILNS1_3genE4ELNS1_11target_archE910ELNS1_3gpuE8ELNS1_3repE0EEENS1_30default_config_static_selectorELNS0_4arch9wavefront6targetE1EEEvT1_,comdat
.Lfunc_end244:
	.size	_ZN7rocprim17ROCPRIM_400000_NS6detail17trampoline_kernelINS0_14default_configENS1_25partition_config_selectorILNS1_17partition_subalgoE8ElNS0_10empty_typeEbEEZZNS1_14partition_implILS5_8ELb0ES3_jPKlPS6_PKS6_NS0_5tupleIJPlS6_EEENSE_IJSB_SB_EEENS0_18inequality_wrapperIN6hipcub16HIPCUB_304000_NS8EqualityEEESF_JS6_EEE10hipError_tPvRmT3_T4_T5_T6_T7_T9_mT8_P12ihipStream_tbDpT10_ENKUlT_T0_E_clISt17integral_constantIbLb1EES15_IbLb0EEEEDaS11_S12_EUlS11_E_NS1_11comp_targetILNS1_3genE4ELNS1_11target_archE910ELNS1_3gpuE8ELNS1_3repE0EEENS1_30default_config_static_selectorELNS0_4arch9wavefront6targetE1EEEvT1_, .Lfunc_end244-_ZN7rocprim17ROCPRIM_400000_NS6detail17trampoline_kernelINS0_14default_configENS1_25partition_config_selectorILNS1_17partition_subalgoE8ElNS0_10empty_typeEbEEZZNS1_14partition_implILS5_8ELb0ES3_jPKlPS6_PKS6_NS0_5tupleIJPlS6_EEENSE_IJSB_SB_EEENS0_18inequality_wrapperIN6hipcub16HIPCUB_304000_NS8EqualityEEESF_JS6_EEE10hipError_tPvRmT3_T4_T5_T6_T7_T9_mT8_P12ihipStream_tbDpT10_ENKUlT_T0_E_clISt17integral_constantIbLb1EES15_IbLb0EEEEDaS11_S12_EUlS11_E_NS1_11comp_targetILNS1_3genE4ELNS1_11target_archE910ELNS1_3gpuE8ELNS1_3repE0EEENS1_30default_config_static_selectorELNS0_4arch9wavefront6targetE1EEEvT1_
                                        ; -- End function
	.set _ZN7rocprim17ROCPRIM_400000_NS6detail17trampoline_kernelINS0_14default_configENS1_25partition_config_selectorILNS1_17partition_subalgoE8ElNS0_10empty_typeEbEEZZNS1_14partition_implILS5_8ELb0ES3_jPKlPS6_PKS6_NS0_5tupleIJPlS6_EEENSE_IJSB_SB_EEENS0_18inequality_wrapperIN6hipcub16HIPCUB_304000_NS8EqualityEEESF_JS6_EEE10hipError_tPvRmT3_T4_T5_T6_T7_T9_mT8_P12ihipStream_tbDpT10_ENKUlT_T0_E_clISt17integral_constantIbLb1EES15_IbLb0EEEEDaS11_S12_EUlS11_E_NS1_11comp_targetILNS1_3genE4ELNS1_11target_archE910ELNS1_3gpuE8ELNS1_3repE0EEENS1_30default_config_static_selectorELNS0_4arch9wavefront6targetE1EEEvT1_.num_vgpr, 0
	.set _ZN7rocprim17ROCPRIM_400000_NS6detail17trampoline_kernelINS0_14default_configENS1_25partition_config_selectorILNS1_17partition_subalgoE8ElNS0_10empty_typeEbEEZZNS1_14partition_implILS5_8ELb0ES3_jPKlPS6_PKS6_NS0_5tupleIJPlS6_EEENSE_IJSB_SB_EEENS0_18inequality_wrapperIN6hipcub16HIPCUB_304000_NS8EqualityEEESF_JS6_EEE10hipError_tPvRmT3_T4_T5_T6_T7_T9_mT8_P12ihipStream_tbDpT10_ENKUlT_T0_E_clISt17integral_constantIbLb1EES15_IbLb0EEEEDaS11_S12_EUlS11_E_NS1_11comp_targetILNS1_3genE4ELNS1_11target_archE910ELNS1_3gpuE8ELNS1_3repE0EEENS1_30default_config_static_selectorELNS0_4arch9wavefront6targetE1EEEvT1_.num_agpr, 0
	.set _ZN7rocprim17ROCPRIM_400000_NS6detail17trampoline_kernelINS0_14default_configENS1_25partition_config_selectorILNS1_17partition_subalgoE8ElNS0_10empty_typeEbEEZZNS1_14partition_implILS5_8ELb0ES3_jPKlPS6_PKS6_NS0_5tupleIJPlS6_EEENSE_IJSB_SB_EEENS0_18inequality_wrapperIN6hipcub16HIPCUB_304000_NS8EqualityEEESF_JS6_EEE10hipError_tPvRmT3_T4_T5_T6_T7_T9_mT8_P12ihipStream_tbDpT10_ENKUlT_T0_E_clISt17integral_constantIbLb1EES15_IbLb0EEEEDaS11_S12_EUlS11_E_NS1_11comp_targetILNS1_3genE4ELNS1_11target_archE910ELNS1_3gpuE8ELNS1_3repE0EEENS1_30default_config_static_selectorELNS0_4arch9wavefront6targetE1EEEvT1_.numbered_sgpr, 0
	.set _ZN7rocprim17ROCPRIM_400000_NS6detail17trampoline_kernelINS0_14default_configENS1_25partition_config_selectorILNS1_17partition_subalgoE8ElNS0_10empty_typeEbEEZZNS1_14partition_implILS5_8ELb0ES3_jPKlPS6_PKS6_NS0_5tupleIJPlS6_EEENSE_IJSB_SB_EEENS0_18inequality_wrapperIN6hipcub16HIPCUB_304000_NS8EqualityEEESF_JS6_EEE10hipError_tPvRmT3_T4_T5_T6_T7_T9_mT8_P12ihipStream_tbDpT10_ENKUlT_T0_E_clISt17integral_constantIbLb1EES15_IbLb0EEEEDaS11_S12_EUlS11_E_NS1_11comp_targetILNS1_3genE4ELNS1_11target_archE910ELNS1_3gpuE8ELNS1_3repE0EEENS1_30default_config_static_selectorELNS0_4arch9wavefront6targetE1EEEvT1_.num_named_barrier, 0
	.set _ZN7rocprim17ROCPRIM_400000_NS6detail17trampoline_kernelINS0_14default_configENS1_25partition_config_selectorILNS1_17partition_subalgoE8ElNS0_10empty_typeEbEEZZNS1_14partition_implILS5_8ELb0ES3_jPKlPS6_PKS6_NS0_5tupleIJPlS6_EEENSE_IJSB_SB_EEENS0_18inequality_wrapperIN6hipcub16HIPCUB_304000_NS8EqualityEEESF_JS6_EEE10hipError_tPvRmT3_T4_T5_T6_T7_T9_mT8_P12ihipStream_tbDpT10_ENKUlT_T0_E_clISt17integral_constantIbLb1EES15_IbLb0EEEEDaS11_S12_EUlS11_E_NS1_11comp_targetILNS1_3genE4ELNS1_11target_archE910ELNS1_3gpuE8ELNS1_3repE0EEENS1_30default_config_static_selectorELNS0_4arch9wavefront6targetE1EEEvT1_.private_seg_size, 0
	.set _ZN7rocprim17ROCPRIM_400000_NS6detail17trampoline_kernelINS0_14default_configENS1_25partition_config_selectorILNS1_17partition_subalgoE8ElNS0_10empty_typeEbEEZZNS1_14partition_implILS5_8ELb0ES3_jPKlPS6_PKS6_NS0_5tupleIJPlS6_EEENSE_IJSB_SB_EEENS0_18inequality_wrapperIN6hipcub16HIPCUB_304000_NS8EqualityEEESF_JS6_EEE10hipError_tPvRmT3_T4_T5_T6_T7_T9_mT8_P12ihipStream_tbDpT10_ENKUlT_T0_E_clISt17integral_constantIbLb1EES15_IbLb0EEEEDaS11_S12_EUlS11_E_NS1_11comp_targetILNS1_3genE4ELNS1_11target_archE910ELNS1_3gpuE8ELNS1_3repE0EEENS1_30default_config_static_selectorELNS0_4arch9wavefront6targetE1EEEvT1_.uses_vcc, 0
	.set _ZN7rocprim17ROCPRIM_400000_NS6detail17trampoline_kernelINS0_14default_configENS1_25partition_config_selectorILNS1_17partition_subalgoE8ElNS0_10empty_typeEbEEZZNS1_14partition_implILS5_8ELb0ES3_jPKlPS6_PKS6_NS0_5tupleIJPlS6_EEENSE_IJSB_SB_EEENS0_18inequality_wrapperIN6hipcub16HIPCUB_304000_NS8EqualityEEESF_JS6_EEE10hipError_tPvRmT3_T4_T5_T6_T7_T9_mT8_P12ihipStream_tbDpT10_ENKUlT_T0_E_clISt17integral_constantIbLb1EES15_IbLb0EEEEDaS11_S12_EUlS11_E_NS1_11comp_targetILNS1_3genE4ELNS1_11target_archE910ELNS1_3gpuE8ELNS1_3repE0EEENS1_30default_config_static_selectorELNS0_4arch9wavefront6targetE1EEEvT1_.uses_flat_scratch, 0
	.set _ZN7rocprim17ROCPRIM_400000_NS6detail17trampoline_kernelINS0_14default_configENS1_25partition_config_selectorILNS1_17partition_subalgoE8ElNS0_10empty_typeEbEEZZNS1_14partition_implILS5_8ELb0ES3_jPKlPS6_PKS6_NS0_5tupleIJPlS6_EEENSE_IJSB_SB_EEENS0_18inequality_wrapperIN6hipcub16HIPCUB_304000_NS8EqualityEEESF_JS6_EEE10hipError_tPvRmT3_T4_T5_T6_T7_T9_mT8_P12ihipStream_tbDpT10_ENKUlT_T0_E_clISt17integral_constantIbLb1EES15_IbLb0EEEEDaS11_S12_EUlS11_E_NS1_11comp_targetILNS1_3genE4ELNS1_11target_archE910ELNS1_3gpuE8ELNS1_3repE0EEENS1_30default_config_static_selectorELNS0_4arch9wavefront6targetE1EEEvT1_.has_dyn_sized_stack, 0
	.set _ZN7rocprim17ROCPRIM_400000_NS6detail17trampoline_kernelINS0_14default_configENS1_25partition_config_selectorILNS1_17partition_subalgoE8ElNS0_10empty_typeEbEEZZNS1_14partition_implILS5_8ELb0ES3_jPKlPS6_PKS6_NS0_5tupleIJPlS6_EEENSE_IJSB_SB_EEENS0_18inequality_wrapperIN6hipcub16HIPCUB_304000_NS8EqualityEEESF_JS6_EEE10hipError_tPvRmT3_T4_T5_T6_T7_T9_mT8_P12ihipStream_tbDpT10_ENKUlT_T0_E_clISt17integral_constantIbLb1EES15_IbLb0EEEEDaS11_S12_EUlS11_E_NS1_11comp_targetILNS1_3genE4ELNS1_11target_archE910ELNS1_3gpuE8ELNS1_3repE0EEENS1_30default_config_static_selectorELNS0_4arch9wavefront6targetE1EEEvT1_.has_recursion, 0
	.set _ZN7rocprim17ROCPRIM_400000_NS6detail17trampoline_kernelINS0_14default_configENS1_25partition_config_selectorILNS1_17partition_subalgoE8ElNS0_10empty_typeEbEEZZNS1_14partition_implILS5_8ELb0ES3_jPKlPS6_PKS6_NS0_5tupleIJPlS6_EEENSE_IJSB_SB_EEENS0_18inequality_wrapperIN6hipcub16HIPCUB_304000_NS8EqualityEEESF_JS6_EEE10hipError_tPvRmT3_T4_T5_T6_T7_T9_mT8_P12ihipStream_tbDpT10_ENKUlT_T0_E_clISt17integral_constantIbLb1EES15_IbLb0EEEEDaS11_S12_EUlS11_E_NS1_11comp_targetILNS1_3genE4ELNS1_11target_archE910ELNS1_3gpuE8ELNS1_3repE0EEENS1_30default_config_static_selectorELNS0_4arch9wavefront6targetE1EEEvT1_.has_indirect_call, 0
	.section	.AMDGPU.csdata,"",@progbits
; Kernel info:
; codeLenInByte = 0
; TotalNumSgprs: 6
; NumVgprs: 0
; NumAgprs: 0
; TotalNumVgprs: 0
; ScratchSize: 0
; MemoryBound: 0
; FloatMode: 240
; IeeeMode: 1
; LDSByteSize: 0 bytes/workgroup (compile time only)
; SGPRBlocks: 0
; VGPRBlocks: 0
; NumSGPRsForWavesPerEU: 6
; NumVGPRsForWavesPerEU: 1
; AccumOffset: 4
; Occupancy: 8
; WaveLimiterHint : 0
; COMPUTE_PGM_RSRC2:SCRATCH_EN: 0
; COMPUTE_PGM_RSRC2:USER_SGPR: 2
; COMPUTE_PGM_RSRC2:TRAP_HANDLER: 0
; COMPUTE_PGM_RSRC2:TGID_X_EN: 1
; COMPUTE_PGM_RSRC2:TGID_Y_EN: 0
; COMPUTE_PGM_RSRC2:TGID_Z_EN: 0
; COMPUTE_PGM_RSRC2:TIDIG_COMP_CNT: 0
; COMPUTE_PGM_RSRC3_GFX90A:ACCUM_OFFSET: 0
; COMPUTE_PGM_RSRC3_GFX90A:TG_SPLIT: 0
	.section	.text._ZN7rocprim17ROCPRIM_400000_NS6detail17trampoline_kernelINS0_14default_configENS1_25partition_config_selectorILNS1_17partition_subalgoE8ElNS0_10empty_typeEbEEZZNS1_14partition_implILS5_8ELb0ES3_jPKlPS6_PKS6_NS0_5tupleIJPlS6_EEENSE_IJSB_SB_EEENS0_18inequality_wrapperIN6hipcub16HIPCUB_304000_NS8EqualityEEESF_JS6_EEE10hipError_tPvRmT3_T4_T5_T6_T7_T9_mT8_P12ihipStream_tbDpT10_ENKUlT_T0_E_clISt17integral_constantIbLb1EES15_IbLb0EEEEDaS11_S12_EUlS11_E_NS1_11comp_targetILNS1_3genE3ELNS1_11target_archE908ELNS1_3gpuE7ELNS1_3repE0EEENS1_30default_config_static_selectorELNS0_4arch9wavefront6targetE1EEEvT1_,"axG",@progbits,_ZN7rocprim17ROCPRIM_400000_NS6detail17trampoline_kernelINS0_14default_configENS1_25partition_config_selectorILNS1_17partition_subalgoE8ElNS0_10empty_typeEbEEZZNS1_14partition_implILS5_8ELb0ES3_jPKlPS6_PKS6_NS0_5tupleIJPlS6_EEENSE_IJSB_SB_EEENS0_18inequality_wrapperIN6hipcub16HIPCUB_304000_NS8EqualityEEESF_JS6_EEE10hipError_tPvRmT3_T4_T5_T6_T7_T9_mT8_P12ihipStream_tbDpT10_ENKUlT_T0_E_clISt17integral_constantIbLb1EES15_IbLb0EEEEDaS11_S12_EUlS11_E_NS1_11comp_targetILNS1_3genE3ELNS1_11target_archE908ELNS1_3gpuE7ELNS1_3repE0EEENS1_30default_config_static_selectorELNS0_4arch9wavefront6targetE1EEEvT1_,comdat
	.protected	_ZN7rocprim17ROCPRIM_400000_NS6detail17trampoline_kernelINS0_14default_configENS1_25partition_config_selectorILNS1_17partition_subalgoE8ElNS0_10empty_typeEbEEZZNS1_14partition_implILS5_8ELb0ES3_jPKlPS6_PKS6_NS0_5tupleIJPlS6_EEENSE_IJSB_SB_EEENS0_18inequality_wrapperIN6hipcub16HIPCUB_304000_NS8EqualityEEESF_JS6_EEE10hipError_tPvRmT3_T4_T5_T6_T7_T9_mT8_P12ihipStream_tbDpT10_ENKUlT_T0_E_clISt17integral_constantIbLb1EES15_IbLb0EEEEDaS11_S12_EUlS11_E_NS1_11comp_targetILNS1_3genE3ELNS1_11target_archE908ELNS1_3gpuE7ELNS1_3repE0EEENS1_30default_config_static_selectorELNS0_4arch9wavefront6targetE1EEEvT1_ ; -- Begin function _ZN7rocprim17ROCPRIM_400000_NS6detail17trampoline_kernelINS0_14default_configENS1_25partition_config_selectorILNS1_17partition_subalgoE8ElNS0_10empty_typeEbEEZZNS1_14partition_implILS5_8ELb0ES3_jPKlPS6_PKS6_NS0_5tupleIJPlS6_EEENSE_IJSB_SB_EEENS0_18inequality_wrapperIN6hipcub16HIPCUB_304000_NS8EqualityEEESF_JS6_EEE10hipError_tPvRmT3_T4_T5_T6_T7_T9_mT8_P12ihipStream_tbDpT10_ENKUlT_T0_E_clISt17integral_constantIbLb1EES15_IbLb0EEEEDaS11_S12_EUlS11_E_NS1_11comp_targetILNS1_3genE3ELNS1_11target_archE908ELNS1_3gpuE7ELNS1_3repE0EEENS1_30default_config_static_selectorELNS0_4arch9wavefront6targetE1EEEvT1_
	.globl	_ZN7rocprim17ROCPRIM_400000_NS6detail17trampoline_kernelINS0_14default_configENS1_25partition_config_selectorILNS1_17partition_subalgoE8ElNS0_10empty_typeEbEEZZNS1_14partition_implILS5_8ELb0ES3_jPKlPS6_PKS6_NS0_5tupleIJPlS6_EEENSE_IJSB_SB_EEENS0_18inequality_wrapperIN6hipcub16HIPCUB_304000_NS8EqualityEEESF_JS6_EEE10hipError_tPvRmT3_T4_T5_T6_T7_T9_mT8_P12ihipStream_tbDpT10_ENKUlT_T0_E_clISt17integral_constantIbLb1EES15_IbLb0EEEEDaS11_S12_EUlS11_E_NS1_11comp_targetILNS1_3genE3ELNS1_11target_archE908ELNS1_3gpuE7ELNS1_3repE0EEENS1_30default_config_static_selectorELNS0_4arch9wavefront6targetE1EEEvT1_
	.p2align	8
	.type	_ZN7rocprim17ROCPRIM_400000_NS6detail17trampoline_kernelINS0_14default_configENS1_25partition_config_selectorILNS1_17partition_subalgoE8ElNS0_10empty_typeEbEEZZNS1_14partition_implILS5_8ELb0ES3_jPKlPS6_PKS6_NS0_5tupleIJPlS6_EEENSE_IJSB_SB_EEENS0_18inequality_wrapperIN6hipcub16HIPCUB_304000_NS8EqualityEEESF_JS6_EEE10hipError_tPvRmT3_T4_T5_T6_T7_T9_mT8_P12ihipStream_tbDpT10_ENKUlT_T0_E_clISt17integral_constantIbLb1EES15_IbLb0EEEEDaS11_S12_EUlS11_E_NS1_11comp_targetILNS1_3genE3ELNS1_11target_archE908ELNS1_3gpuE7ELNS1_3repE0EEENS1_30default_config_static_selectorELNS0_4arch9wavefront6targetE1EEEvT1_,@function
_ZN7rocprim17ROCPRIM_400000_NS6detail17trampoline_kernelINS0_14default_configENS1_25partition_config_selectorILNS1_17partition_subalgoE8ElNS0_10empty_typeEbEEZZNS1_14partition_implILS5_8ELb0ES3_jPKlPS6_PKS6_NS0_5tupleIJPlS6_EEENSE_IJSB_SB_EEENS0_18inequality_wrapperIN6hipcub16HIPCUB_304000_NS8EqualityEEESF_JS6_EEE10hipError_tPvRmT3_T4_T5_T6_T7_T9_mT8_P12ihipStream_tbDpT10_ENKUlT_T0_E_clISt17integral_constantIbLb1EES15_IbLb0EEEEDaS11_S12_EUlS11_E_NS1_11comp_targetILNS1_3genE3ELNS1_11target_archE908ELNS1_3gpuE7ELNS1_3repE0EEENS1_30default_config_static_selectorELNS0_4arch9wavefront6targetE1EEEvT1_: ; @_ZN7rocprim17ROCPRIM_400000_NS6detail17trampoline_kernelINS0_14default_configENS1_25partition_config_selectorILNS1_17partition_subalgoE8ElNS0_10empty_typeEbEEZZNS1_14partition_implILS5_8ELb0ES3_jPKlPS6_PKS6_NS0_5tupleIJPlS6_EEENSE_IJSB_SB_EEENS0_18inequality_wrapperIN6hipcub16HIPCUB_304000_NS8EqualityEEESF_JS6_EEE10hipError_tPvRmT3_T4_T5_T6_T7_T9_mT8_P12ihipStream_tbDpT10_ENKUlT_T0_E_clISt17integral_constantIbLb1EES15_IbLb0EEEEDaS11_S12_EUlS11_E_NS1_11comp_targetILNS1_3genE3ELNS1_11target_archE908ELNS1_3gpuE7ELNS1_3repE0EEENS1_30default_config_static_selectorELNS0_4arch9wavefront6targetE1EEEvT1_
; %bb.0:
	.section	.rodata,"a",@progbits
	.p2align	6, 0x0
	.amdhsa_kernel _ZN7rocprim17ROCPRIM_400000_NS6detail17trampoline_kernelINS0_14default_configENS1_25partition_config_selectorILNS1_17partition_subalgoE8ElNS0_10empty_typeEbEEZZNS1_14partition_implILS5_8ELb0ES3_jPKlPS6_PKS6_NS0_5tupleIJPlS6_EEENSE_IJSB_SB_EEENS0_18inequality_wrapperIN6hipcub16HIPCUB_304000_NS8EqualityEEESF_JS6_EEE10hipError_tPvRmT3_T4_T5_T6_T7_T9_mT8_P12ihipStream_tbDpT10_ENKUlT_T0_E_clISt17integral_constantIbLb1EES15_IbLb0EEEEDaS11_S12_EUlS11_E_NS1_11comp_targetILNS1_3genE3ELNS1_11target_archE908ELNS1_3gpuE7ELNS1_3repE0EEENS1_30default_config_static_selectorELNS0_4arch9wavefront6targetE1EEEvT1_
		.amdhsa_group_segment_fixed_size 0
		.amdhsa_private_segment_fixed_size 0
		.amdhsa_kernarg_size 112
		.amdhsa_user_sgpr_count 2
		.amdhsa_user_sgpr_dispatch_ptr 0
		.amdhsa_user_sgpr_queue_ptr 0
		.amdhsa_user_sgpr_kernarg_segment_ptr 1
		.amdhsa_user_sgpr_dispatch_id 0
		.amdhsa_user_sgpr_kernarg_preload_length 0
		.amdhsa_user_sgpr_kernarg_preload_offset 0
		.amdhsa_user_sgpr_private_segment_size 0
		.amdhsa_uses_dynamic_stack 0
		.amdhsa_enable_private_segment 0
		.amdhsa_system_sgpr_workgroup_id_x 1
		.amdhsa_system_sgpr_workgroup_id_y 0
		.amdhsa_system_sgpr_workgroup_id_z 0
		.amdhsa_system_sgpr_workgroup_info 0
		.amdhsa_system_vgpr_workitem_id 0
		.amdhsa_next_free_vgpr 1
		.amdhsa_next_free_sgpr 0
		.amdhsa_accum_offset 4
		.amdhsa_reserve_vcc 0
		.amdhsa_float_round_mode_32 0
		.amdhsa_float_round_mode_16_64 0
		.amdhsa_float_denorm_mode_32 3
		.amdhsa_float_denorm_mode_16_64 3
		.amdhsa_dx10_clamp 1
		.amdhsa_ieee_mode 1
		.amdhsa_fp16_overflow 0
		.amdhsa_tg_split 0
		.amdhsa_exception_fp_ieee_invalid_op 0
		.amdhsa_exception_fp_denorm_src 0
		.amdhsa_exception_fp_ieee_div_zero 0
		.amdhsa_exception_fp_ieee_overflow 0
		.amdhsa_exception_fp_ieee_underflow 0
		.amdhsa_exception_fp_ieee_inexact 0
		.amdhsa_exception_int_div_zero 0
	.end_amdhsa_kernel
	.section	.text._ZN7rocprim17ROCPRIM_400000_NS6detail17trampoline_kernelINS0_14default_configENS1_25partition_config_selectorILNS1_17partition_subalgoE8ElNS0_10empty_typeEbEEZZNS1_14partition_implILS5_8ELb0ES3_jPKlPS6_PKS6_NS0_5tupleIJPlS6_EEENSE_IJSB_SB_EEENS0_18inequality_wrapperIN6hipcub16HIPCUB_304000_NS8EqualityEEESF_JS6_EEE10hipError_tPvRmT3_T4_T5_T6_T7_T9_mT8_P12ihipStream_tbDpT10_ENKUlT_T0_E_clISt17integral_constantIbLb1EES15_IbLb0EEEEDaS11_S12_EUlS11_E_NS1_11comp_targetILNS1_3genE3ELNS1_11target_archE908ELNS1_3gpuE7ELNS1_3repE0EEENS1_30default_config_static_selectorELNS0_4arch9wavefront6targetE1EEEvT1_,"axG",@progbits,_ZN7rocprim17ROCPRIM_400000_NS6detail17trampoline_kernelINS0_14default_configENS1_25partition_config_selectorILNS1_17partition_subalgoE8ElNS0_10empty_typeEbEEZZNS1_14partition_implILS5_8ELb0ES3_jPKlPS6_PKS6_NS0_5tupleIJPlS6_EEENSE_IJSB_SB_EEENS0_18inequality_wrapperIN6hipcub16HIPCUB_304000_NS8EqualityEEESF_JS6_EEE10hipError_tPvRmT3_T4_T5_T6_T7_T9_mT8_P12ihipStream_tbDpT10_ENKUlT_T0_E_clISt17integral_constantIbLb1EES15_IbLb0EEEEDaS11_S12_EUlS11_E_NS1_11comp_targetILNS1_3genE3ELNS1_11target_archE908ELNS1_3gpuE7ELNS1_3repE0EEENS1_30default_config_static_selectorELNS0_4arch9wavefront6targetE1EEEvT1_,comdat
.Lfunc_end245:
	.size	_ZN7rocprim17ROCPRIM_400000_NS6detail17trampoline_kernelINS0_14default_configENS1_25partition_config_selectorILNS1_17partition_subalgoE8ElNS0_10empty_typeEbEEZZNS1_14partition_implILS5_8ELb0ES3_jPKlPS6_PKS6_NS0_5tupleIJPlS6_EEENSE_IJSB_SB_EEENS0_18inequality_wrapperIN6hipcub16HIPCUB_304000_NS8EqualityEEESF_JS6_EEE10hipError_tPvRmT3_T4_T5_T6_T7_T9_mT8_P12ihipStream_tbDpT10_ENKUlT_T0_E_clISt17integral_constantIbLb1EES15_IbLb0EEEEDaS11_S12_EUlS11_E_NS1_11comp_targetILNS1_3genE3ELNS1_11target_archE908ELNS1_3gpuE7ELNS1_3repE0EEENS1_30default_config_static_selectorELNS0_4arch9wavefront6targetE1EEEvT1_, .Lfunc_end245-_ZN7rocprim17ROCPRIM_400000_NS6detail17trampoline_kernelINS0_14default_configENS1_25partition_config_selectorILNS1_17partition_subalgoE8ElNS0_10empty_typeEbEEZZNS1_14partition_implILS5_8ELb0ES3_jPKlPS6_PKS6_NS0_5tupleIJPlS6_EEENSE_IJSB_SB_EEENS0_18inequality_wrapperIN6hipcub16HIPCUB_304000_NS8EqualityEEESF_JS6_EEE10hipError_tPvRmT3_T4_T5_T6_T7_T9_mT8_P12ihipStream_tbDpT10_ENKUlT_T0_E_clISt17integral_constantIbLb1EES15_IbLb0EEEEDaS11_S12_EUlS11_E_NS1_11comp_targetILNS1_3genE3ELNS1_11target_archE908ELNS1_3gpuE7ELNS1_3repE0EEENS1_30default_config_static_selectorELNS0_4arch9wavefront6targetE1EEEvT1_
                                        ; -- End function
	.set _ZN7rocprim17ROCPRIM_400000_NS6detail17trampoline_kernelINS0_14default_configENS1_25partition_config_selectorILNS1_17partition_subalgoE8ElNS0_10empty_typeEbEEZZNS1_14partition_implILS5_8ELb0ES3_jPKlPS6_PKS6_NS0_5tupleIJPlS6_EEENSE_IJSB_SB_EEENS0_18inequality_wrapperIN6hipcub16HIPCUB_304000_NS8EqualityEEESF_JS6_EEE10hipError_tPvRmT3_T4_T5_T6_T7_T9_mT8_P12ihipStream_tbDpT10_ENKUlT_T0_E_clISt17integral_constantIbLb1EES15_IbLb0EEEEDaS11_S12_EUlS11_E_NS1_11comp_targetILNS1_3genE3ELNS1_11target_archE908ELNS1_3gpuE7ELNS1_3repE0EEENS1_30default_config_static_selectorELNS0_4arch9wavefront6targetE1EEEvT1_.num_vgpr, 0
	.set _ZN7rocprim17ROCPRIM_400000_NS6detail17trampoline_kernelINS0_14default_configENS1_25partition_config_selectorILNS1_17partition_subalgoE8ElNS0_10empty_typeEbEEZZNS1_14partition_implILS5_8ELb0ES3_jPKlPS6_PKS6_NS0_5tupleIJPlS6_EEENSE_IJSB_SB_EEENS0_18inequality_wrapperIN6hipcub16HIPCUB_304000_NS8EqualityEEESF_JS6_EEE10hipError_tPvRmT3_T4_T5_T6_T7_T9_mT8_P12ihipStream_tbDpT10_ENKUlT_T0_E_clISt17integral_constantIbLb1EES15_IbLb0EEEEDaS11_S12_EUlS11_E_NS1_11comp_targetILNS1_3genE3ELNS1_11target_archE908ELNS1_3gpuE7ELNS1_3repE0EEENS1_30default_config_static_selectorELNS0_4arch9wavefront6targetE1EEEvT1_.num_agpr, 0
	.set _ZN7rocprim17ROCPRIM_400000_NS6detail17trampoline_kernelINS0_14default_configENS1_25partition_config_selectorILNS1_17partition_subalgoE8ElNS0_10empty_typeEbEEZZNS1_14partition_implILS5_8ELb0ES3_jPKlPS6_PKS6_NS0_5tupleIJPlS6_EEENSE_IJSB_SB_EEENS0_18inequality_wrapperIN6hipcub16HIPCUB_304000_NS8EqualityEEESF_JS6_EEE10hipError_tPvRmT3_T4_T5_T6_T7_T9_mT8_P12ihipStream_tbDpT10_ENKUlT_T0_E_clISt17integral_constantIbLb1EES15_IbLb0EEEEDaS11_S12_EUlS11_E_NS1_11comp_targetILNS1_3genE3ELNS1_11target_archE908ELNS1_3gpuE7ELNS1_3repE0EEENS1_30default_config_static_selectorELNS0_4arch9wavefront6targetE1EEEvT1_.numbered_sgpr, 0
	.set _ZN7rocprim17ROCPRIM_400000_NS6detail17trampoline_kernelINS0_14default_configENS1_25partition_config_selectorILNS1_17partition_subalgoE8ElNS0_10empty_typeEbEEZZNS1_14partition_implILS5_8ELb0ES3_jPKlPS6_PKS6_NS0_5tupleIJPlS6_EEENSE_IJSB_SB_EEENS0_18inequality_wrapperIN6hipcub16HIPCUB_304000_NS8EqualityEEESF_JS6_EEE10hipError_tPvRmT3_T4_T5_T6_T7_T9_mT8_P12ihipStream_tbDpT10_ENKUlT_T0_E_clISt17integral_constantIbLb1EES15_IbLb0EEEEDaS11_S12_EUlS11_E_NS1_11comp_targetILNS1_3genE3ELNS1_11target_archE908ELNS1_3gpuE7ELNS1_3repE0EEENS1_30default_config_static_selectorELNS0_4arch9wavefront6targetE1EEEvT1_.num_named_barrier, 0
	.set _ZN7rocprim17ROCPRIM_400000_NS6detail17trampoline_kernelINS0_14default_configENS1_25partition_config_selectorILNS1_17partition_subalgoE8ElNS0_10empty_typeEbEEZZNS1_14partition_implILS5_8ELb0ES3_jPKlPS6_PKS6_NS0_5tupleIJPlS6_EEENSE_IJSB_SB_EEENS0_18inequality_wrapperIN6hipcub16HIPCUB_304000_NS8EqualityEEESF_JS6_EEE10hipError_tPvRmT3_T4_T5_T6_T7_T9_mT8_P12ihipStream_tbDpT10_ENKUlT_T0_E_clISt17integral_constantIbLb1EES15_IbLb0EEEEDaS11_S12_EUlS11_E_NS1_11comp_targetILNS1_3genE3ELNS1_11target_archE908ELNS1_3gpuE7ELNS1_3repE0EEENS1_30default_config_static_selectorELNS0_4arch9wavefront6targetE1EEEvT1_.private_seg_size, 0
	.set _ZN7rocprim17ROCPRIM_400000_NS6detail17trampoline_kernelINS0_14default_configENS1_25partition_config_selectorILNS1_17partition_subalgoE8ElNS0_10empty_typeEbEEZZNS1_14partition_implILS5_8ELb0ES3_jPKlPS6_PKS6_NS0_5tupleIJPlS6_EEENSE_IJSB_SB_EEENS0_18inequality_wrapperIN6hipcub16HIPCUB_304000_NS8EqualityEEESF_JS6_EEE10hipError_tPvRmT3_T4_T5_T6_T7_T9_mT8_P12ihipStream_tbDpT10_ENKUlT_T0_E_clISt17integral_constantIbLb1EES15_IbLb0EEEEDaS11_S12_EUlS11_E_NS1_11comp_targetILNS1_3genE3ELNS1_11target_archE908ELNS1_3gpuE7ELNS1_3repE0EEENS1_30default_config_static_selectorELNS0_4arch9wavefront6targetE1EEEvT1_.uses_vcc, 0
	.set _ZN7rocprim17ROCPRIM_400000_NS6detail17trampoline_kernelINS0_14default_configENS1_25partition_config_selectorILNS1_17partition_subalgoE8ElNS0_10empty_typeEbEEZZNS1_14partition_implILS5_8ELb0ES3_jPKlPS6_PKS6_NS0_5tupleIJPlS6_EEENSE_IJSB_SB_EEENS0_18inequality_wrapperIN6hipcub16HIPCUB_304000_NS8EqualityEEESF_JS6_EEE10hipError_tPvRmT3_T4_T5_T6_T7_T9_mT8_P12ihipStream_tbDpT10_ENKUlT_T0_E_clISt17integral_constantIbLb1EES15_IbLb0EEEEDaS11_S12_EUlS11_E_NS1_11comp_targetILNS1_3genE3ELNS1_11target_archE908ELNS1_3gpuE7ELNS1_3repE0EEENS1_30default_config_static_selectorELNS0_4arch9wavefront6targetE1EEEvT1_.uses_flat_scratch, 0
	.set _ZN7rocprim17ROCPRIM_400000_NS6detail17trampoline_kernelINS0_14default_configENS1_25partition_config_selectorILNS1_17partition_subalgoE8ElNS0_10empty_typeEbEEZZNS1_14partition_implILS5_8ELb0ES3_jPKlPS6_PKS6_NS0_5tupleIJPlS6_EEENSE_IJSB_SB_EEENS0_18inequality_wrapperIN6hipcub16HIPCUB_304000_NS8EqualityEEESF_JS6_EEE10hipError_tPvRmT3_T4_T5_T6_T7_T9_mT8_P12ihipStream_tbDpT10_ENKUlT_T0_E_clISt17integral_constantIbLb1EES15_IbLb0EEEEDaS11_S12_EUlS11_E_NS1_11comp_targetILNS1_3genE3ELNS1_11target_archE908ELNS1_3gpuE7ELNS1_3repE0EEENS1_30default_config_static_selectorELNS0_4arch9wavefront6targetE1EEEvT1_.has_dyn_sized_stack, 0
	.set _ZN7rocprim17ROCPRIM_400000_NS6detail17trampoline_kernelINS0_14default_configENS1_25partition_config_selectorILNS1_17partition_subalgoE8ElNS0_10empty_typeEbEEZZNS1_14partition_implILS5_8ELb0ES3_jPKlPS6_PKS6_NS0_5tupleIJPlS6_EEENSE_IJSB_SB_EEENS0_18inequality_wrapperIN6hipcub16HIPCUB_304000_NS8EqualityEEESF_JS6_EEE10hipError_tPvRmT3_T4_T5_T6_T7_T9_mT8_P12ihipStream_tbDpT10_ENKUlT_T0_E_clISt17integral_constantIbLb1EES15_IbLb0EEEEDaS11_S12_EUlS11_E_NS1_11comp_targetILNS1_3genE3ELNS1_11target_archE908ELNS1_3gpuE7ELNS1_3repE0EEENS1_30default_config_static_selectorELNS0_4arch9wavefront6targetE1EEEvT1_.has_recursion, 0
	.set _ZN7rocprim17ROCPRIM_400000_NS6detail17trampoline_kernelINS0_14default_configENS1_25partition_config_selectorILNS1_17partition_subalgoE8ElNS0_10empty_typeEbEEZZNS1_14partition_implILS5_8ELb0ES3_jPKlPS6_PKS6_NS0_5tupleIJPlS6_EEENSE_IJSB_SB_EEENS0_18inequality_wrapperIN6hipcub16HIPCUB_304000_NS8EqualityEEESF_JS6_EEE10hipError_tPvRmT3_T4_T5_T6_T7_T9_mT8_P12ihipStream_tbDpT10_ENKUlT_T0_E_clISt17integral_constantIbLb1EES15_IbLb0EEEEDaS11_S12_EUlS11_E_NS1_11comp_targetILNS1_3genE3ELNS1_11target_archE908ELNS1_3gpuE7ELNS1_3repE0EEENS1_30default_config_static_selectorELNS0_4arch9wavefront6targetE1EEEvT1_.has_indirect_call, 0
	.section	.AMDGPU.csdata,"",@progbits
; Kernel info:
; codeLenInByte = 0
; TotalNumSgprs: 6
; NumVgprs: 0
; NumAgprs: 0
; TotalNumVgprs: 0
; ScratchSize: 0
; MemoryBound: 0
; FloatMode: 240
; IeeeMode: 1
; LDSByteSize: 0 bytes/workgroup (compile time only)
; SGPRBlocks: 0
; VGPRBlocks: 0
; NumSGPRsForWavesPerEU: 6
; NumVGPRsForWavesPerEU: 1
; AccumOffset: 4
; Occupancy: 8
; WaveLimiterHint : 0
; COMPUTE_PGM_RSRC2:SCRATCH_EN: 0
; COMPUTE_PGM_RSRC2:USER_SGPR: 2
; COMPUTE_PGM_RSRC2:TRAP_HANDLER: 0
; COMPUTE_PGM_RSRC2:TGID_X_EN: 1
; COMPUTE_PGM_RSRC2:TGID_Y_EN: 0
; COMPUTE_PGM_RSRC2:TGID_Z_EN: 0
; COMPUTE_PGM_RSRC2:TIDIG_COMP_CNT: 0
; COMPUTE_PGM_RSRC3_GFX90A:ACCUM_OFFSET: 0
; COMPUTE_PGM_RSRC3_GFX90A:TG_SPLIT: 0
	.section	.text._ZN7rocprim17ROCPRIM_400000_NS6detail17trampoline_kernelINS0_14default_configENS1_25partition_config_selectorILNS1_17partition_subalgoE8ElNS0_10empty_typeEbEEZZNS1_14partition_implILS5_8ELb0ES3_jPKlPS6_PKS6_NS0_5tupleIJPlS6_EEENSE_IJSB_SB_EEENS0_18inequality_wrapperIN6hipcub16HIPCUB_304000_NS8EqualityEEESF_JS6_EEE10hipError_tPvRmT3_T4_T5_T6_T7_T9_mT8_P12ihipStream_tbDpT10_ENKUlT_T0_E_clISt17integral_constantIbLb1EES15_IbLb0EEEEDaS11_S12_EUlS11_E_NS1_11comp_targetILNS1_3genE2ELNS1_11target_archE906ELNS1_3gpuE6ELNS1_3repE0EEENS1_30default_config_static_selectorELNS0_4arch9wavefront6targetE1EEEvT1_,"axG",@progbits,_ZN7rocprim17ROCPRIM_400000_NS6detail17trampoline_kernelINS0_14default_configENS1_25partition_config_selectorILNS1_17partition_subalgoE8ElNS0_10empty_typeEbEEZZNS1_14partition_implILS5_8ELb0ES3_jPKlPS6_PKS6_NS0_5tupleIJPlS6_EEENSE_IJSB_SB_EEENS0_18inequality_wrapperIN6hipcub16HIPCUB_304000_NS8EqualityEEESF_JS6_EEE10hipError_tPvRmT3_T4_T5_T6_T7_T9_mT8_P12ihipStream_tbDpT10_ENKUlT_T0_E_clISt17integral_constantIbLb1EES15_IbLb0EEEEDaS11_S12_EUlS11_E_NS1_11comp_targetILNS1_3genE2ELNS1_11target_archE906ELNS1_3gpuE6ELNS1_3repE0EEENS1_30default_config_static_selectorELNS0_4arch9wavefront6targetE1EEEvT1_,comdat
	.protected	_ZN7rocprim17ROCPRIM_400000_NS6detail17trampoline_kernelINS0_14default_configENS1_25partition_config_selectorILNS1_17partition_subalgoE8ElNS0_10empty_typeEbEEZZNS1_14partition_implILS5_8ELb0ES3_jPKlPS6_PKS6_NS0_5tupleIJPlS6_EEENSE_IJSB_SB_EEENS0_18inequality_wrapperIN6hipcub16HIPCUB_304000_NS8EqualityEEESF_JS6_EEE10hipError_tPvRmT3_T4_T5_T6_T7_T9_mT8_P12ihipStream_tbDpT10_ENKUlT_T0_E_clISt17integral_constantIbLb1EES15_IbLb0EEEEDaS11_S12_EUlS11_E_NS1_11comp_targetILNS1_3genE2ELNS1_11target_archE906ELNS1_3gpuE6ELNS1_3repE0EEENS1_30default_config_static_selectorELNS0_4arch9wavefront6targetE1EEEvT1_ ; -- Begin function _ZN7rocprim17ROCPRIM_400000_NS6detail17trampoline_kernelINS0_14default_configENS1_25partition_config_selectorILNS1_17partition_subalgoE8ElNS0_10empty_typeEbEEZZNS1_14partition_implILS5_8ELb0ES3_jPKlPS6_PKS6_NS0_5tupleIJPlS6_EEENSE_IJSB_SB_EEENS0_18inequality_wrapperIN6hipcub16HIPCUB_304000_NS8EqualityEEESF_JS6_EEE10hipError_tPvRmT3_T4_T5_T6_T7_T9_mT8_P12ihipStream_tbDpT10_ENKUlT_T0_E_clISt17integral_constantIbLb1EES15_IbLb0EEEEDaS11_S12_EUlS11_E_NS1_11comp_targetILNS1_3genE2ELNS1_11target_archE906ELNS1_3gpuE6ELNS1_3repE0EEENS1_30default_config_static_selectorELNS0_4arch9wavefront6targetE1EEEvT1_
	.globl	_ZN7rocprim17ROCPRIM_400000_NS6detail17trampoline_kernelINS0_14default_configENS1_25partition_config_selectorILNS1_17partition_subalgoE8ElNS0_10empty_typeEbEEZZNS1_14partition_implILS5_8ELb0ES3_jPKlPS6_PKS6_NS0_5tupleIJPlS6_EEENSE_IJSB_SB_EEENS0_18inequality_wrapperIN6hipcub16HIPCUB_304000_NS8EqualityEEESF_JS6_EEE10hipError_tPvRmT3_T4_T5_T6_T7_T9_mT8_P12ihipStream_tbDpT10_ENKUlT_T0_E_clISt17integral_constantIbLb1EES15_IbLb0EEEEDaS11_S12_EUlS11_E_NS1_11comp_targetILNS1_3genE2ELNS1_11target_archE906ELNS1_3gpuE6ELNS1_3repE0EEENS1_30default_config_static_selectorELNS0_4arch9wavefront6targetE1EEEvT1_
	.p2align	8
	.type	_ZN7rocprim17ROCPRIM_400000_NS6detail17trampoline_kernelINS0_14default_configENS1_25partition_config_selectorILNS1_17partition_subalgoE8ElNS0_10empty_typeEbEEZZNS1_14partition_implILS5_8ELb0ES3_jPKlPS6_PKS6_NS0_5tupleIJPlS6_EEENSE_IJSB_SB_EEENS0_18inequality_wrapperIN6hipcub16HIPCUB_304000_NS8EqualityEEESF_JS6_EEE10hipError_tPvRmT3_T4_T5_T6_T7_T9_mT8_P12ihipStream_tbDpT10_ENKUlT_T0_E_clISt17integral_constantIbLb1EES15_IbLb0EEEEDaS11_S12_EUlS11_E_NS1_11comp_targetILNS1_3genE2ELNS1_11target_archE906ELNS1_3gpuE6ELNS1_3repE0EEENS1_30default_config_static_selectorELNS0_4arch9wavefront6targetE1EEEvT1_,@function
_ZN7rocprim17ROCPRIM_400000_NS6detail17trampoline_kernelINS0_14default_configENS1_25partition_config_selectorILNS1_17partition_subalgoE8ElNS0_10empty_typeEbEEZZNS1_14partition_implILS5_8ELb0ES3_jPKlPS6_PKS6_NS0_5tupleIJPlS6_EEENSE_IJSB_SB_EEENS0_18inequality_wrapperIN6hipcub16HIPCUB_304000_NS8EqualityEEESF_JS6_EEE10hipError_tPvRmT3_T4_T5_T6_T7_T9_mT8_P12ihipStream_tbDpT10_ENKUlT_T0_E_clISt17integral_constantIbLb1EES15_IbLb0EEEEDaS11_S12_EUlS11_E_NS1_11comp_targetILNS1_3genE2ELNS1_11target_archE906ELNS1_3gpuE6ELNS1_3repE0EEENS1_30default_config_static_selectorELNS0_4arch9wavefront6targetE1EEEvT1_: ; @_ZN7rocprim17ROCPRIM_400000_NS6detail17trampoline_kernelINS0_14default_configENS1_25partition_config_selectorILNS1_17partition_subalgoE8ElNS0_10empty_typeEbEEZZNS1_14partition_implILS5_8ELb0ES3_jPKlPS6_PKS6_NS0_5tupleIJPlS6_EEENSE_IJSB_SB_EEENS0_18inequality_wrapperIN6hipcub16HIPCUB_304000_NS8EqualityEEESF_JS6_EEE10hipError_tPvRmT3_T4_T5_T6_T7_T9_mT8_P12ihipStream_tbDpT10_ENKUlT_T0_E_clISt17integral_constantIbLb1EES15_IbLb0EEEEDaS11_S12_EUlS11_E_NS1_11comp_targetILNS1_3genE2ELNS1_11target_archE906ELNS1_3gpuE6ELNS1_3repE0EEENS1_30default_config_static_selectorELNS0_4arch9wavefront6targetE1EEEvT1_
; %bb.0:
	.section	.rodata,"a",@progbits
	.p2align	6, 0x0
	.amdhsa_kernel _ZN7rocprim17ROCPRIM_400000_NS6detail17trampoline_kernelINS0_14default_configENS1_25partition_config_selectorILNS1_17partition_subalgoE8ElNS0_10empty_typeEbEEZZNS1_14partition_implILS5_8ELb0ES3_jPKlPS6_PKS6_NS0_5tupleIJPlS6_EEENSE_IJSB_SB_EEENS0_18inequality_wrapperIN6hipcub16HIPCUB_304000_NS8EqualityEEESF_JS6_EEE10hipError_tPvRmT3_T4_T5_T6_T7_T9_mT8_P12ihipStream_tbDpT10_ENKUlT_T0_E_clISt17integral_constantIbLb1EES15_IbLb0EEEEDaS11_S12_EUlS11_E_NS1_11comp_targetILNS1_3genE2ELNS1_11target_archE906ELNS1_3gpuE6ELNS1_3repE0EEENS1_30default_config_static_selectorELNS0_4arch9wavefront6targetE1EEEvT1_
		.amdhsa_group_segment_fixed_size 0
		.amdhsa_private_segment_fixed_size 0
		.amdhsa_kernarg_size 112
		.amdhsa_user_sgpr_count 2
		.amdhsa_user_sgpr_dispatch_ptr 0
		.amdhsa_user_sgpr_queue_ptr 0
		.amdhsa_user_sgpr_kernarg_segment_ptr 1
		.amdhsa_user_sgpr_dispatch_id 0
		.amdhsa_user_sgpr_kernarg_preload_length 0
		.amdhsa_user_sgpr_kernarg_preload_offset 0
		.amdhsa_user_sgpr_private_segment_size 0
		.amdhsa_uses_dynamic_stack 0
		.amdhsa_enable_private_segment 0
		.amdhsa_system_sgpr_workgroup_id_x 1
		.amdhsa_system_sgpr_workgroup_id_y 0
		.amdhsa_system_sgpr_workgroup_id_z 0
		.amdhsa_system_sgpr_workgroup_info 0
		.amdhsa_system_vgpr_workitem_id 0
		.amdhsa_next_free_vgpr 1
		.amdhsa_next_free_sgpr 0
		.amdhsa_accum_offset 4
		.amdhsa_reserve_vcc 0
		.amdhsa_float_round_mode_32 0
		.amdhsa_float_round_mode_16_64 0
		.amdhsa_float_denorm_mode_32 3
		.amdhsa_float_denorm_mode_16_64 3
		.amdhsa_dx10_clamp 1
		.amdhsa_ieee_mode 1
		.amdhsa_fp16_overflow 0
		.amdhsa_tg_split 0
		.amdhsa_exception_fp_ieee_invalid_op 0
		.amdhsa_exception_fp_denorm_src 0
		.amdhsa_exception_fp_ieee_div_zero 0
		.amdhsa_exception_fp_ieee_overflow 0
		.amdhsa_exception_fp_ieee_underflow 0
		.amdhsa_exception_fp_ieee_inexact 0
		.amdhsa_exception_int_div_zero 0
	.end_amdhsa_kernel
	.section	.text._ZN7rocprim17ROCPRIM_400000_NS6detail17trampoline_kernelINS0_14default_configENS1_25partition_config_selectorILNS1_17partition_subalgoE8ElNS0_10empty_typeEbEEZZNS1_14partition_implILS5_8ELb0ES3_jPKlPS6_PKS6_NS0_5tupleIJPlS6_EEENSE_IJSB_SB_EEENS0_18inequality_wrapperIN6hipcub16HIPCUB_304000_NS8EqualityEEESF_JS6_EEE10hipError_tPvRmT3_T4_T5_T6_T7_T9_mT8_P12ihipStream_tbDpT10_ENKUlT_T0_E_clISt17integral_constantIbLb1EES15_IbLb0EEEEDaS11_S12_EUlS11_E_NS1_11comp_targetILNS1_3genE2ELNS1_11target_archE906ELNS1_3gpuE6ELNS1_3repE0EEENS1_30default_config_static_selectorELNS0_4arch9wavefront6targetE1EEEvT1_,"axG",@progbits,_ZN7rocprim17ROCPRIM_400000_NS6detail17trampoline_kernelINS0_14default_configENS1_25partition_config_selectorILNS1_17partition_subalgoE8ElNS0_10empty_typeEbEEZZNS1_14partition_implILS5_8ELb0ES3_jPKlPS6_PKS6_NS0_5tupleIJPlS6_EEENSE_IJSB_SB_EEENS0_18inequality_wrapperIN6hipcub16HIPCUB_304000_NS8EqualityEEESF_JS6_EEE10hipError_tPvRmT3_T4_T5_T6_T7_T9_mT8_P12ihipStream_tbDpT10_ENKUlT_T0_E_clISt17integral_constantIbLb1EES15_IbLb0EEEEDaS11_S12_EUlS11_E_NS1_11comp_targetILNS1_3genE2ELNS1_11target_archE906ELNS1_3gpuE6ELNS1_3repE0EEENS1_30default_config_static_selectorELNS0_4arch9wavefront6targetE1EEEvT1_,comdat
.Lfunc_end246:
	.size	_ZN7rocprim17ROCPRIM_400000_NS6detail17trampoline_kernelINS0_14default_configENS1_25partition_config_selectorILNS1_17partition_subalgoE8ElNS0_10empty_typeEbEEZZNS1_14partition_implILS5_8ELb0ES3_jPKlPS6_PKS6_NS0_5tupleIJPlS6_EEENSE_IJSB_SB_EEENS0_18inequality_wrapperIN6hipcub16HIPCUB_304000_NS8EqualityEEESF_JS6_EEE10hipError_tPvRmT3_T4_T5_T6_T7_T9_mT8_P12ihipStream_tbDpT10_ENKUlT_T0_E_clISt17integral_constantIbLb1EES15_IbLb0EEEEDaS11_S12_EUlS11_E_NS1_11comp_targetILNS1_3genE2ELNS1_11target_archE906ELNS1_3gpuE6ELNS1_3repE0EEENS1_30default_config_static_selectorELNS0_4arch9wavefront6targetE1EEEvT1_, .Lfunc_end246-_ZN7rocprim17ROCPRIM_400000_NS6detail17trampoline_kernelINS0_14default_configENS1_25partition_config_selectorILNS1_17partition_subalgoE8ElNS0_10empty_typeEbEEZZNS1_14partition_implILS5_8ELb0ES3_jPKlPS6_PKS6_NS0_5tupleIJPlS6_EEENSE_IJSB_SB_EEENS0_18inequality_wrapperIN6hipcub16HIPCUB_304000_NS8EqualityEEESF_JS6_EEE10hipError_tPvRmT3_T4_T5_T6_T7_T9_mT8_P12ihipStream_tbDpT10_ENKUlT_T0_E_clISt17integral_constantIbLb1EES15_IbLb0EEEEDaS11_S12_EUlS11_E_NS1_11comp_targetILNS1_3genE2ELNS1_11target_archE906ELNS1_3gpuE6ELNS1_3repE0EEENS1_30default_config_static_selectorELNS0_4arch9wavefront6targetE1EEEvT1_
                                        ; -- End function
	.set _ZN7rocprim17ROCPRIM_400000_NS6detail17trampoline_kernelINS0_14default_configENS1_25partition_config_selectorILNS1_17partition_subalgoE8ElNS0_10empty_typeEbEEZZNS1_14partition_implILS5_8ELb0ES3_jPKlPS6_PKS6_NS0_5tupleIJPlS6_EEENSE_IJSB_SB_EEENS0_18inequality_wrapperIN6hipcub16HIPCUB_304000_NS8EqualityEEESF_JS6_EEE10hipError_tPvRmT3_T4_T5_T6_T7_T9_mT8_P12ihipStream_tbDpT10_ENKUlT_T0_E_clISt17integral_constantIbLb1EES15_IbLb0EEEEDaS11_S12_EUlS11_E_NS1_11comp_targetILNS1_3genE2ELNS1_11target_archE906ELNS1_3gpuE6ELNS1_3repE0EEENS1_30default_config_static_selectorELNS0_4arch9wavefront6targetE1EEEvT1_.num_vgpr, 0
	.set _ZN7rocprim17ROCPRIM_400000_NS6detail17trampoline_kernelINS0_14default_configENS1_25partition_config_selectorILNS1_17partition_subalgoE8ElNS0_10empty_typeEbEEZZNS1_14partition_implILS5_8ELb0ES3_jPKlPS6_PKS6_NS0_5tupleIJPlS6_EEENSE_IJSB_SB_EEENS0_18inequality_wrapperIN6hipcub16HIPCUB_304000_NS8EqualityEEESF_JS6_EEE10hipError_tPvRmT3_T4_T5_T6_T7_T9_mT8_P12ihipStream_tbDpT10_ENKUlT_T0_E_clISt17integral_constantIbLb1EES15_IbLb0EEEEDaS11_S12_EUlS11_E_NS1_11comp_targetILNS1_3genE2ELNS1_11target_archE906ELNS1_3gpuE6ELNS1_3repE0EEENS1_30default_config_static_selectorELNS0_4arch9wavefront6targetE1EEEvT1_.num_agpr, 0
	.set _ZN7rocprim17ROCPRIM_400000_NS6detail17trampoline_kernelINS0_14default_configENS1_25partition_config_selectorILNS1_17partition_subalgoE8ElNS0_10empty_typeEbEEZZNS1_14partition_implILS5_8ELb0ES3_jPKlPS6_PKS6_NS0_5tupleIJPlS6_EEENSE_IJSB_SB_EEENS0_18inequality_wrapperIN6hipcub16HIPCUB_304000_NS8EqualityEEESF_JS6_EEE10hipError_tPvRmT3_T4_T5_T6_T7_T9_mT8_P12ihipStream_tbDpT10_ENKUlT_T0_E_clISt17integral_constantIbLb1EES15_IbLb0EEEEDaS11_S12_EUlS11_E_NS1_11comp_targetILNS1_3genE2ELNS1_11target_archE906ELNS1_3gpuE6ELNS1_3repE0EEENS1_30default_config_static_selectorELNS0_4arch9wavefront6targetE1EEEvT1_.numbered_sgpr, 0
	.set _ZN7rocprim17ROCPRIM_400000_NS6detail17trampoline_kernelINS0_14default_configENS1_25partition_config_selectorILNS1_17partition_subalgoE8ElNS0_10empty_typeEbEEZZNS1_14partition_implILS5_8ELb0ES3_jPKlPS6_PKS6_NS0_5tupleIJPlS6_EEENSE_IJSB_SB_EEENS0_18inequality_wrapperIN6hipcub16HIPCUB_304000_NS8EqualityEEESF_JS6_EEE10hipError_tPvRmT3_T4_T5_T6_T7_T9_mT8_P12ihipStream_tbDpT10_ENKUlT_T0_E_clISt17integral_constantIbLb1EES15_IbLb0EEEEDaS11_S12_EUlS11_E_NS1_11comp_targetILNS1_3genE2ELNS1_11target_archE906ELNS1_3gpuE6ELNS1_3repE0EEENS1_30default_config_static_selectorELNS0_4arch9wavefront6targetE1EEEvT1_.num_named_barrier, 0
	.set _ZN7rocprim17ROCPRIM_400000_NS6detail17trampoline_kernelINS0_14default_configENS1_25partition_config_selectorILNS1_17partition_subalgoE8ElNS0_10empty_typeEbEEZZNS1_14partition_implILS5_8ELb0ES3_jPKlPS6_PKS6_NS0_5tupleIJPlS6_EEENSE_IJSB_SB_EEENS0_18inequality_wrapperIN6hipcub16HIPCUB_304000_NS8EqualityEEESF_JS6_EEE10hipError_tPvRmT3_T4_T5_T6_T7_T9_mT8_P12ihipStream_tbDpT10_ENKUlT_T0_E_clISt17integral_constantIbLb1EES15_IbLb0EEEEDaS11_S12_EUlS11_E_NS1_11comp_targetILNS1_3genE2ELNS1_11target_archE906ELNS1_3gpuE6ELNS1_3repE0EEENS1_30default_config_static_selectorELNS0_4arch9wavefront6targetE1EEEvT1_.private_seg_size, 0
	.set _ZN7rocprim17ROCPRIM_400000_NS6detail17trampoline_kernelINS0_14default_configENS1_25partition_config_selectorILNS1_17partition_subalgoE8ElNS0_10empty_typeEbEEZZNS1_14partition_implILS5_8ELb0ES3_jPKlPS6_PKS6_NS0_5tupleIJPlS6_EEENSE_IJSB_SB_EEENS0_18inequality_wrapperIN6hipcub16HIPCUB_304000_NS8EqualityEEESF_JS6_EEE10hipError_tPvRmT3_T4_T5_T6_T7_T9_mT8_P12ihipStream_tbDpT10_ENKUlT_T0_E_clISt17integral_constantIbLb1EES15_IbLb0EEEEDaS11_S12_EUlS11_E_NS1_11comp_targetILNS1_3genE2ELNS1_11target_archE906ELNS1_3gpuE6ELNS1_3repE0EEENS1_30default_config_static_selectorELNS0_4arch9wavefront6targetE1EEEvT1_.uses_vcc, 0
	.set _ZN7rocprim17ROCPRIM_400000_NS6detail17trampoline_kernelINS0_14default_configENS1_25partition_config_selectorILNS1_17partition_subalgoE8ElNS0_10empty_typeEbEEZZNS1_14partition_implILS5_8ELb0ES3_jPKlPS6_PKS6_NS0_5tupleIJPlS6_EEENSE_IJSB_SB_EEENS0_18inequality_wrapperIN6hipcub16HIPCUB_304000_NS8EqualityEEESF_JS6_EEE10hipError_tPvRmT3_T4_T5_T6_T7_T9_mT8_P12ihipStream_tbDpT10_ENKUlT_T0_E_clISt17integral_constantIbLb1EES15_IbLb0EEEEDaS11_S12_EUlS11_E_NS1_11comp_targetILNS1_3genE2ELNS1_11target_archE906ELNS1_3gpuE6ELNS1_3repE0EEENS1_30default_config_static_selectorELNS0_4arch9wavefront6targetE1EEEvT1_.uses_flat_scratch, 0
	.set _ZN7rocprim17ROCPRIM_400000_NS6detail17trampoline_kernelINS0_14default_configENS1_25partition_config_selectorILNS1_17partition_subalgoE8ElNS0_10empty_typeEbEEZZNS1_14partition_implILS5_8ELb0ES3_jPKlPS6_PKS6_NS0_5tupleIJPlS6_EEENSE_IJSB_SB_EEENS0_18inequality_wrapperIN6hipcub16HIPCUB_304000_NS8EqualityEEESF_JS6_EEE10hipError_tPvRmT3_T4_T5_T6_T7_T9_mT8_P12ihipStream_tbDpT10_ENKUlT_T0_E_clISt17integral_constantIbLb1EES15_IbLb0EEEEDaS11_S12_EUlS11_E_NS1_11comp_targetILNS1_3genE2ELNS1_11target_archE906ELNS1_3gpuE6ELNS1_3repE0EEENS1_30default_config_static_selectorELNS0_4arch9wavefront6targetE1EEEvT1_.has_dyn_sized_stack, 0
	.set _ZN7rocprim17ROCPRIM_400000_NS6detail17trampoline_kernelINS0_14default_configENS1_25partition_config_selectorILNS1_17partition_subalgoE8ElNS0_10empty_typeEbEEZZNS1_14partition_implILS5_8ELb0ES3_jPKlPS6_PKS6_NS0_5tupleIJPlS6_EEENSE_IJSB_SB_EEENS0_18inequality_wrapperIN6hipcub16HIPCUB_304000_NS8EqualityEEESF_JS6_EEE10hipError_tPvRmT3_T4_T5_T6_T7_T9_mT8_P12ihipStream_tbDpT10_ENKUlT_T0_E_clISt17integral_constantIbLb1EES15_IbLb0EEEEDaS11_S12_EUlS11_E_NS1_11comp_targetILNS1_3genE2ELNS1_11target_archE906ELNS1_3gpuE6ELNS1_3repE0EEENS1_30default_config_static_selectorELNS0_4arch9wavefront6targetE1EEEvT1_.has_recursion, 0
	.set _ZN7rocprim17ROCPRIM_400000_NS6detail17trampoline_kernelINS0_14default_configENS1_25partition_config_selectorILNS1_17partition_subalgoE8ElNS0_10empty_typeEbEEZZNS1_14partition_implILS5_8ELb0ES3_jPKlPS6_PKS6_NS0_5tupleIJPlS6_EEENSE_IJSB_SB_EEENS0_18inequality_wrapperIN6hipcub16HIPCUB_304000_NS8EqualityEEESF_JS6_EEE10hipError_tPvRmT3_T4_T5_T6_T7_T9_mT8_P12ihipStream_tbDpT10_ENKUlT_T0_E_clISt17integral_constantIbLb1EES15_IbLb0EEEEDaS11_S12_EUlS11_E_NS1_11comp_targetILNS1_3genE2ELNS1_11target_archE906ELNS1_3gpuE6ELNS1_3repE0EEENS1_30default_config_static_selectorELNS0_4arch9wavefront6targetE1EEEvT1_.has_indirect_call, 0
	.section	.AMDGPU.csdata,"",@progbits
; Kernel info:
; codeLenInByte = 0
; TotalNumSgprs: 6
; NumVgprs: 0
; NumAgprs: 0
; TotalNumVgprs: 0
; ScratchSize: 0
; MemoryBound: 0
; FloatMode: 240
; IeeeMode: 1
; LDSByteSize: 0 bytes/workgroup (compile time only)
; SGPRBlocks: 0
; VGPRBlocks: 0
; NumSGPRsForWavesPerEU: 6
; NumVGPRsForWavesPerEU: 1
; AccumOffset: 4
; Occupancy: 8
; WaveLimiterHint : 0
; COMPUTE_PGM_RSRC2:SCRATCH_EN: 0
; COMPUTE_PGM_RSRC2:USER_SGPR: 2
; COMPUTE_PGM_RSRC2:TRAP_HANDLER: 0
; COMPUTE_PGM_RSRC2:TGID_X_EN: 1
; COMPUTE_PGM_RSRC2:TGID_Y_EN: 0
; COMPUTE_PGM_RSRC2:TGID_Z_EN: 0
; COMPUTE_PGM_RSRC2:TIDIG_COMP_CNT: 0
; COMPUTE_PGM_RSRC3_GFX90A:ACCUM_OFFSET: 0
; COMPUTE_PGM_RSRC3_GFX90A:TG_SPLIT: 0
	.section	.text._ZN7rocprim17ROCPRIM_400000_NS6detail17trampoline_kernelINS0_14default_configENS1_25partition_config_selectorILNS1_17partition_subalgoE8ElNS0_10empty_typeEbEEZZNS1_14partition_implILS5_8ELb0ES3_jPKlPS6_PKS6_NS0_5tupleIJPlS6_EEENSE_IJSB_SB_EEENS0_18inequality_wrapperIN6hipcub16HIPCUB_304000_NS8EqualityEEESF_JS6_EEE10hipError_tPvRmT3_T4_T5_T6_T7_T9_mT8_P12ihipStream_tbDpT10_ENKUlT_T0_E_clISt17integral_constantIbLb1EES15_IbLb0EEEEDaS11_S12_EUlS11_E_NS1_11comp_targetILNS1_3genE10ELNS1_11target_archE1200ELNS1_3gpuE4ELNS1_3repE0EEENS1_30default_config_static_selectorELNS0_4arch9wavefront6targetE1EEEvT1_,"axG",@progbits,_ZN7rocprim17ROCPRIM_400000_NS6detail17trampoline_kernelINS0_14default_configENS1_25partition_config_selectorILNS1_17partition_subalgoE8ElNS0_10empty_typeEbEEZZNS1_14partition_implILS5_8ELb0ES3_jPKlPS6_PKS6_NS0_5tupleIJPlS6_EEENSE_IJSB_SB_EEENS0_18inequality_wrapperIN6hipcub16HIPCUB_304000_NS8EqualityEEESF_JS6_EEE10hipError_tPvRmT3_T4_T5_T6_T7_T9_mT8_P12ihipStream_tbDpT10_ENKUlT_T0_E_clISt17integral_constantIbLb1EES15_IbLb0EEEEDaS11_S12_EUlS11_E_NS1_11comp_targetILNS1_3genE10ELNS1_11target_archE1200ELNS1_3gpuE4ELNS1_3repE0EEENS1_30default_config_static_selectorELNS0_4arch9wavefront6targetE1EEEvT1_,comdat
	.protected	_ZN7rocprim17ROCPRIM_400000_NS6detail17trampoline_kernelINS0_14default_configENS1_25partition_config_selectorILNS1_17partition_subalgoE8ElNS0_10empty_typeEbEEZZNS1_14partition_implILS5_8ELb0ES3_jPKlPS6_PKS6_NS0_5tupleIJPlS6_EEENSE_IJSB_SB_EEENS0_18inequality_wrapperIN6hipcub16HIPCUB_304000_NS8EqualityEEESF_JS6_EEE10hipError_tPvRmT3_T4_T5_T6_T7_T9_mT8_P12ihipStream_tbDpT10_ENKUlT_T0_E_clISt17integral_constantIbLb1EES15_IbLb0EEEEDaS11_S12_EUlS11_E_NS1_11comp_targetILNS1_3genE10ELNS1_11target_archE1200ELNS1_3gpuE4ELNS1_3repE0EEENS1_30default_config_static_selectorELNS0_4arch9wavefront6targetE1EEEvT1_ ; -- Begin function _ZN7rocprim17ROCPRIM_400000_NS6detail17trampoline_kernelINS0_14default_configENS1_25partition_config_selectorILNS1_17partition_subalgoE8ElNS0_10empty_typeEbEEZZNS1_14partition_implILS5_8ELb0ES3_jPKlPS6_PKS6_NS0_5tupleIJPlS6_EEENSE_IJSB_SB_EEENS0_18inequality_wrapperIN6hipcub16HIPCUB_304000_NS8EqualityEEESF_JS6_EEE10hipError_tPvRmT3_T4_T5_T6_T7_T9_mT8_P12ihipStream_tbDpT10_ENKUlT_T0_E_clISt17integral_constantIbLb1EES15_IbLb0EEEEDaS11_S12_EUlS11_E_NS1_11comp_targetILNS1_3genE10ELNS1_11target_archE1200ELNS1_3gpuE4ELNS1_3repE0EEENS1_30default_config_static_selectorELNS0_4arch9wavefront6targetE1EEEvT1_
	.globl	_ZN7rocprim17ROCPRIM_400000_NS6detail17trampoline_kernelINS0_14default_configENS1_25partition_config_selectorILNS1_17partition_subalgoE8ElNS0_10empty_typeEbEEZZNS1_14partition_implILS5_8ELb0ES3_jPKlPS6_PKS6_NS0_5tupleIJPlS6_EEENSE_IJSB_SB_EEENS0_18inequality_wrapperIN6hipcub16HIPCUB_304000_NS8EqualityEEESF_JS6_EEE10hipError_tPvRmT3_T4_T5_T6_T7_T9_mT8_P12ihipStream_tbDpT10_ENKUlT_T0_E_clISt17integral_constantIbLb1EES15_IbLb0EEEEDaS11_S12_EUlS11_E_NS1_11comp_targetILNS1_3genE10ELNS1_11target_archE1200ELNS1_3gpuE4ELNS1_3repE0EEENS1_30default_config_static_selectorELNS0_4arch9wavefront6targetE1EEEvT1_
	.p2align	8
	.type	_ZN7rocprim17ROCPRIM_400000_NS6detail17trampoline_kernelINS0_14default_configENS1_25partition_config_selectorILNS1_17partition_subalgoE8ElNS0_10empty_typeEbEEZZNS1_14partition_implILS5_8ELb0ES3_jPKlPS6_PKS6_NS0_5tupleIJPlS6_EEENSE_IJSB_SB_EEENS0_18inequality_wrapperIN6hipcub16HIPCUB_304000_NS8EqualityEEESF_JS6_EEE10hipError_tPvRmT3_T4_T5_T6_T7_T9_mT8_P12ihipStream_tbDpT10_ENKUlT_T0_E_clISt17integral_constantIbLb1EES15_IbLb0EEEEDaS11_S12_EUlS11_E_NS1_11comp_targetILNS1_3genE10ELNS1_11target_archE1200ELNS1_3gpuE4ELNS1_3repE0EEENS1_30default_config_static_selectorELNS0_4arch9wavefront6targetE1EEEvT1_,@function
_ZN7rocprim17ROCPRIM_400000_NS6detail17trampoline_kernelINS0_14default_configENS1_25partition_config_selectorILNS1_17partition_subalgoE8ElNS0_10empty_typeEbEEZZNS1_14partition_implILS5_8ELb0ES3_jPKlPS6_PKS6_NS0_5tupleIJPlS6_EEENSE_IJSB_SB_EEENS0_18inequality_wrapperIN6hipcub16HIPCUB_304000_NS8EqualityEEESF_JS6_EEE10hipError_tPvRmT3_T4_T5_T6_T7_T9_mT8_P12ihipStream_tbDpT10_ENKUlT_T0_E_clISt17integral_constantIbLb1EES15_IbLb0EEEEDaS11_S12_EUlS11_E_NS1_11comp_targetILNS1_3genE10ELNS1_11target_archE1200ELNS1_3gpuE4ELNS1_3repE0EEENS1_30default_config_static_selectorELNS0_4arch9wavefront6targetE1EEEvT1_: ; @_ZN7rocprim17ROCPRIM_400000_NS6detail17trampoline_kernelINS0_14default_configENS1_25partition_config_selectorILNS1_17partition_subalgoE8ElNS0_10empty_typeEbEEZZNS1_14partition_implILS5_8ELb0ES3_jPKlPS6_PKS6_NS0_5tupleIJPlS6_EEENSE_IJSB_SB_EEENS0_18inequality_wrapperIN6hipcub16HIPCUB_304000_NS8EqualityEEESF_JS6_EEE10hipError_tPvRmT3_T4_T5_T6_T7_T9_mT8_P12ihipStream_tbDpT10_ENKUlT_T0_E_clISt17integral_constantIbLb1EES15_IbLb0EEEEDaS11_S12_EUlS11_E_NS1_11comp_targetILNS1_3genE10ELNS1_11target_archE1200ELNS1_3gpuE4ELNS1_3repE0EEENS1_30default_config_static_selectorELNS0_4arch9wavefront6targetE1EEEvT1_
; %bb.0:
	.section	.rodata,"a",@progbits
	.p2align	6, 0x0
	.amdhsa_kernel _ZN7rocprim17ROCPRIM_400000_NS6detail17trampoline_kernelINS0_14default_configENS1_25partition_config_selectorILNS1_17partition_subalgoE8ElNS0_10empty_typeEbEEZZNS1_14partition_implILS5_8ELb0ES3_jPKlPS6_PKS6_NS0_5tupleIJPlS6_EEENSE_IJSB_SB_EEENS0_18inequality_wrapperIN6hipcub16HIPCUB_304000_NS8EqualityEEESF_JS6_EEE10hipError_tPvRmT3_T4_T5_T6_T7_T9_mT8_P12ihipStream_tbDpT10_ENKUlT_T0_E_clISt17integral_constantIbLb1EES15_IbLb0EEEEDaS11_S12_EUlS11_E_NS1_11comp_targetILNS1_3genE10ELNS1_11target_archE1200ELNS1_3gpuE4ELNS1_3repE0EEENS1_30default_config_static_selectorELNS0_4arch9wavefront6targetE1EEEvT1_
		.amdhsa_group_segment_fixed_size 0
		.amdhsa_private_segment_fixed_size 0
		.amdhsa_kernarg_size 112
		.amdhsa_user_sgpr_count 2
		.amdhsa_user_sgpr_dispatch_ptr 0
		.amdhsa_user_sgpr_queue_ptr 0
		.amdhsa_user_sgpr_kernarg_segment_ptr 1
		.amdhsa_user_sgpr_dispatch_id 0
		.amdhsa_user_sgpr_kernarg_preload_length 0
		.amdhsa_user_sgpr_kernarg_preload_offset 0
		.amdhsa_user_sgpr_private_segment_size 0
		.amdhsa_uses_dynamic_stack 0
		.amdhsa_enable_private_segment 0
		.amdhsa_system_sgpr_workgroup_id_x 1
		.amdhsa_system_sgpr_workgroup_id_y 0
		.amdhsa_system_sgpr_workgroup_id_z 0
		.amdhsa_system_sgpr_workgroup_info 0
		.amdhsa_system_vgpr_workitem_id 0
		.amdhsa_next_free_vgpr 1
		.amdhsa_next_free_sgpr 0
		.amdhsa_accum_offset 4
		.amdhsa_reserve_vcc 0
		.amdhsa_float_round_mode_32 0
		.amdhsa_float_round_mode_16_64 0
		.amdhsa_float_denorm_mode_32 3
		.amdhsa_float_denorm_mode_16_64 3
		.amdhsa_dx10_clamp 1
		.amdhsa_ieee_mode 1
		.amdhsa_fp16_overflow 0
		.amdhsa_tg_split 0
		.amdhsa_exception_fp_ieee_invalid_op 0
		.amdhsa_exception_fp_denorm_src 0
		.amdhsa_exception_fp_ieee_div_zero 0
		.amdhsa_exception_fp_ieee_overflow 0
		.amdhsa_exception_fp_ieee_underflow 0
		.amdhsa_exception_fp_ieee_inexact 0
		.amdhsa_exception_int_div_zero 0
	.end_amdhsa_kernel
	.section	.text._ZN7rocprim17ROCPRIM_400000_NS6detail17trampoline_kernelINS0_14default_configENS1_25partition_config_selectorILNS1_17partition_subalgoE8ElNS0_10empty_typeEbEEZZNS1_14partition_implILS5_8ELb0ES3_jPKlPS6_PKS6_NS0_5tupleIJPlS6_EEENSE_IJSB_SB_EEENS0_18inequality_wrapperIN6hipcub16HIPCUB_304000_NS8EqualityEEESF_JS6_EEE10hipError_tPvRmT3_T4_T5_T6_T7_T9_mT8_P12ihipStream_tbDpT10_ENKUlT_T0_E_clISt17integral_constantIbLb1EES15_IbLb0EEEEDaS11_S12_EUlS11_E_NS1_11comp_targetILNS1_3genE10ELNS1_11target_archE1200ELNS1_3gpuE4ELNS1_3repE0EEENS1_30default_config_static_selectorELNS0_4arch9wavefront6targetE1EEEvT1_,"axG",@progbits,_ZN7rocprim17ROCPRIM_400000_NS6detail17trampoline_kernelINS0_14default_configENS1_25partition_config_selectorILNS1_17partition_subalgoE8ElNS0_10empty_typeEbEEZZNS1_14partition_implILS5_8ELb0ES3_jPKlPS6_PKS6_NS0_5tupleIJPlS6_EEENSE_IJSB_SB_EEENS0_18inequality_wrapperIN6hipcub16HIPCUB_304000_NS8EqualityEEESF_JS6_EEE10hipError_tPvRmT3_T4_T5_T6_T7_T9_mT8_P12ihipStream_tbDpT10_ENKUlT_T0_E_clISt17integral_constantIbLb1EES15_IbLb0EEEEDaS11_S12_EUlS11_E_NS1_11comp_targetILNS1_3genE10ELNS1_11target_archE1200ELNS1_3gpuE4ELNS1_3repE0EEENS1_30default_config_static_selectorELNS0_4arch9wavefront6targetE1EEEvT1_,comdat
.Lfunc_end247:
	.size	_ZN7rocprim17ROCPRIM_400000_NS6detail17trampoline_kernelINS0_14default_configENS1_25partition_config_selectorILNS1_17partition_subalgoE8ElNS0_10empty_typeEbEEZZNS1_14partition_implILS5_8ELb0ES3_jPKlPS6_PKS6_NS0_5tupleIJPlS6_EEENSE_IJSB_SB_EEENS0_18inequality_wrapperIN6hipcub16HIPCUB_304000_NS8EqualityEEESF_JS6_EEE10hipError_tPvRmT3_T4_T5_T6_T7_T9_mT8_P12ihipStream_tbDpT10_ENKUlT_T0_E_clISt17integral_constantIbLb1EES15_IbLb0EEEEDaS11_S12_EUlS11_E_NS1_11comp_targetILNS1_3genE10ELNS1_11target_archE1200ELNS1_3gpuE4ELNS1_3repE0EEENS1_30default_config_static_selectorELNS0_4arch9wavefront6targetE1EEEvT1_, .Lfunc_end247-_ZN7rocprim17ROCPRIM_400000_NS6detail17trampoline_kernelINS0_14default_configENS1_25partition_config_selectorILNS1_17partition_subalgoE8ElNS0_10empty_typeEbEEZZNS1_14partition_implILS5_8ELb0ES3_jPKlPS6_PKS6_NS0_5tupleIJPlS6_EEENSE_IJSB_SB_EEENS0_18inequality_wrapperIN6hipcub16HIPCUB_304000_NS8EqualityEEESF_JS6_EEE10hipError_tPvRmT3_T4_T5_T6_T7_T9_mT8_P12ihipStream_tbDpT10_ENKUlT_T0_E_clISt17integral_constantIbLb1EES15_IbLb0EEEEDaS11_S12_EUlS11_E_NS1_11comp_targetILNS1_3genE10ELNS1_11target_archE1200ELNS1_3gpuE4ELNS1_3repE0EEENS1_30default_config_static_selectorELNS0_4arch9wavefront6targetE1EEEvT1_
                                        ; -- End function
	.set _ZN7rocprim17ROCPRIM_400000_NS6detail17trampoline_kernelINS0_14default_configENS1_25partition_config_selectorILNS1_17partition_subalgoE8ElNS0_10empty_typeEbEEZZNS1_14partition_implILS5_8ELb0ES3_jPKlPS6_PKS6_NS0_5tupleIJPlS6_EEENSE_IJSB_SB_EEENS0_18inequality_wrapperIN6hipcub16HIPCUB_304000_NS8EqualityEEESF_JS6_EEE10hipError_tPvRmT3_T4_T5_T6_T7_T9_mT8_P12ihipStream_tbDpT10_ENKUlT_T0_E_clISt17integral_constantIbLb1EES15_IbLb0EEEEDaS11_S12_EUlS11_E_NS1_11comp_targetILNS1_3genE10ELNS1_11target_archE1200ELNS1_3gpuE4ELNS1_3repE0EEENS1_30default_config_static_selectorELNS0_4arch9wavefront6targetE1EEEvT1_.num_vgpr, 0
	.set _ZN7rocprim17ROCPRIM_400000_NS6detail17trampoline_kernelINS0_14default_configENS1_25partition_config_selectorILNS1_17partition_subalgoE8ElNS0_10empty_typeEbEEZZNS1_14partition_implILS5_8ELb0ES3_jPKlPS6_PKS6_NS0_5tupleIJPlS6_EEENSE_IJSB_SB_EEENS0_18inequality_wrapperIN6hipcub16HIPCUB_304000_NS8EqualityEEESF_JS6_EEE10hipError_tPvRmT3_T4_T5_T6_T7_T9_mT8_P12ihipStream_tbDpT10_ENKUlT_T0_E_clISt17integral_constantIbLb1EES15_IbLb0EEEEDaS11_S12_EUlS11_E_NS1_11comp_targetILNS1_3genE10ELNS1_11target_archE1200ELNS1_3gpuE4ELNS1_3repE0EEENS1_30default_config_static_selectorELNS0_4arch9wavefront6targetE1EEEvT1_.num_agpr, 0
	.set _ZN7rocprim17ROCPRIM_400000_NS6detail17trampoline_kernelINS0_14default_configENS1_25partition_config_selectorILNS1_17partition_subalgoE8ElNS0_10empty_typeEbEEZZNS1_14partition_implILS5_8ELb0ES3_jPKlPS6_PKS6_NS0_5tupleIJPlS6_EEENSE_IJSB_SB_EEENS0_18inequality_wrapperIN6hipcub16HIPCUB_304000_NS8EqualityEEESF_JS6_EEE10hipError_tPvRmT3_T4_T5_T6_T7_T9_mT8_P12ihipStream_tbDpT10_ENKUlT_T0_E_clISt17integral_constantIbLb1EES15_IbLb0EEEEDaS11_S12_EUlS11_E_NS1_11comp_targetILNS1_3genE10ELNS1_11target_archE1200ELNS1_3gpuE4ELNS1_3repE0EEENS1_30default_config_static_selectorELNS0_4arch9wavefront6targetE1EEEvT1_.numbered_sgpr, 0
	.set _ZN7rocprim17ROCPRIM_400000_NS6detail17trampoline_kernelINS0_14default_configENS1_25partition_config_selectorILNS1_17partition_subalgoE8ElNS0_10empty_typeEbEEZZNS1_14partition_implILS5_8ELb0ES3_jPKlPS6_PKS6_NS0_5tupleIJPlS6_EEENSE_IJSB_SB_EEENS0_18inequality_wrapperIN6hipcub16HIPCUB_304000_NS8EqualityEEESF_JS6_EEE10hipError_tPvRmT3_T4_T5_T6_T7_T9_mT8_P12ihipStream_tbDpT10_ENKUlT_T0_E_clISt17integral_constantIbLb1EES15_IbLb0EEEEDaS11_S12_EUlS11_E_NS1_11comp_targetILNS1_3genE10ELNS1_11target_archE1200ELNS1_3gpuE4ELNS1_3repE0EEENS1_30default_config_static_selectorELNS0_4arch9wavefront6targetE1EEEvT1_.num_named_barrier, 0
	.set _ZN7rocprim17ROCPRIM_400000_NS6detail17trampoline_kernelINS0_14default_configENS1_25partition_config_selectorILNS1_17partition_subalgoE8ElNS0_10empty_typeEbEEZZNS1_14partition_implILS5_8ELb0ES3_jPKlPS6_PKS6_NS0_5tupleIJPlS6_EEENSE_IJSB_SB_EEENS0_18inequality_wrapperIN6hipcub16HIPCUB_304000_NS8EqualityEEESF_JS6_EEE10hipError_tPvRmT3_T4_T5_T6_T7_T9_mT8_P12ihipStream_tbDpT10_ENKUlT_T0_E_clISt17integral_constantIbLb1EES15_IbLb0EEEEDaS11_S12_EUlS11_E_NS1_11comp_targetILNS1_3genE10ELNS1_11target_archE1200ELNS1_3gpuE4ELNS1_3repE0EEENS1_30default_config_static_selectorELNS0_4arch9wavefront6targetE1EEEvT1_.private_seg_size, 0
	.set _ZN7rocprim17ROCPRIM_400000_NS6detail17trampoline_kernelINS0_14default_configENS1_25partition_config_selectorILNS1_17partition_subalgoE8ElNS0_10empty_typeEbEEZZNS1_14partition_implILS5_8ELb0ES3_jPKlPS6_PKS6_NS0_5tupleIJPlS6_EEENSE_IJSB_SB_EEENS0_18inequality_wrapperIN6hipcub16HIPCUB_304000_NS8EqualityEEESF_JS6_EEE10hipError_tPvRmT3_T4_T5_T6_T7_T9_mT8_P12ihipStream_tbDpT10_ENKUlT_T0_E_clISt17integral_constantIbLb1EES15_IbLb0EEEEDaS11_S12_EUlS11_E_NS1_11comp_targetILNS1_3genE10ELNS1_11target_archE1200ELNS1_3gpuE4ELNS1_3repE0EEENS1_30default_config_static_selectorELNS0_4arch9wavefront6targetE1EEEvT1_.uses_vcc, 0
	.set _ZN7rocprim17ROCPRIM_400000_NS6detail17trampoline_kernelINS0_14default_configENS1_25partition_config_selectorILNS1_17partition_subalgoE8ElNS0_10empty_typeEbEEZZNS1_14partition_implILS5_8ELb0ES3_jPKlPS6_PKS6_NS0_5tupleIJPlS6_EEENSE_IJSB_SB_EEENS0_18inequality_wrapperIN6hipcub16HIPCUB_304000_NS8EqualityEEESF_JS6_EEE10hipError_tPvRmT3_T4_T5_T6_T7_T9_mT8_P12ihipStream_tbDpT10_ENKUlT_T0_E_clISt17integral_constantIbLb1EES15_IbLb0EEEEDaS11_S12_EUlS11_E_NS1_11comp_targetILNS1_3genE10ELNS1_11target_archE1200ELNS1_3gpuE4ELNS1_3repE0EEENS1_30default_config_static_selectorELNS0_4arch9wavefront6targetE1EEEvT1_.uses_flat_scratch, 0
	.set _ZN7rocprim17ROCPRIM_400000_NS6detail17trampoline_kernelINS0_14default_configENS1_25partition_config_selectorILNS1_17partition_subalgoE8ElNS0_10empty_typeEbEEZZNS1_14partition_implILS5_8ELb0ES3_jPKlPS6_PKS6_NS0_5tupleIJPlS6_EEENSE_IJSB_SB_EEENS0_18inequality_wrapperIN6hipcub16HIPCUB_304000_NS8EqualityEEESF_JS6_EEE10hipError_tPvRmT3_T4_T5_T6_T7_T9_mT8_P12ihipStream_tbDpT10_ENKUlT_T0_E_clISt17integral_constantIbLb1EES15_IbLb0EEEEDaS11_S12_EUlS11_E_NS1_11comp_targetILNS1_3genE10ELNS1_11target_archE1200ELNS1_3gpuE4ELNS1_3repE0EEENS1_30default_config_static_selectorELNS0_4arch9wavefront6targetE1EEEvT1_.has_dyn_sized_stack, 0
	.set _ZN7rocprim17ROCPRIM_400000_NS6detail17trampoline_kernelINS0_14default_configENS1_25partition_config_selectorILNS1_17partition_subalgoE8ElNS0_10empty_typeEbEEZZNS1_14partition_implILS5_8ELb0ES3_jPKlPS6_PKS6_NS0_5tupleIJPlS6_EEENSE_IJSB_SB_EEENS0_18inequality_wrapperIN6hipcub16HIPCUB_304000_NS8EqualityEEESF_JS6_EEE10hipError_tPvRmT3_T4_T5_T6_T7_T9_mT8_P12ihipStream_tbDpT10_ENKUlT_T0_E_clISt17integral_constantIbLb1EES15_IbLb0EEEEDaS11_S12_EUlS11_E_NS1_11comp_targetILNS1_3genE10ELNS1_11target_archE1200ELNS1_3gpuE4ELNS1_3repE0EEENS1_30default_config_static_selectorELNS0_4arch9wavefront6targetE1EEEvT1_.has_recursion, 0
	.set _ZN7rocprim17ROCPRIM_400000_NS6detail17trampoline_kernelINS0_14default_configENS1_25partition_config_selectorILNS1_17partition_subalgoE8ElNS0_10empty_typeEbEEZZNS1_14partition_implILS5_8ELb0ES3_jPKlPS6_PKS6_NS0_5tupleIJPlS6_EEENSE_IJSB_SB_EEENS0_18inequality_wrapperIN6hipcub16HIPCUB_304000_NS8EqualityEEESF_JS6_EEE10hipError_tPvRmT3_T4_T5_T6_T7_T9_mT8_P12ihipStream_tbDpT10_ENKUlT_T0_E_clISt17integral_constantIbLb1EES15_IbLb0EEEEDaS11_S12_EUlS11_E_NS1_11comp_targetILNS1_3genE10ELNS1_11target_archE1200ELNS1_3gpuE4ELNS1_3repE0EEENS1_30default_config_static_selectorELNS0_4arch9wavefront6targetE1EEEvT1_.has_indirect_call, 0
	.section	.AMDGPU.csdata,"",@progbits
; Kernel info:
; codeLenInByte = 0
; TotalNumSgprs: 6
; NumVgprs: 0
; NumAgprs: 0
; TotalNumVgprs: 0
; ScratchSize: 0
; MemoryBound: 0
; FloatMode: 240
; IeeeMode: 1
; LDSByteSize: 0 bytes/workgroup (compile time only)
; SGPRBlocks: 0
; VGPRBlocks: 0
; NumSGPRsForWavesPerEU: 6
; NumVGPRsForWavesPerEU: 1
; AccumOffset: 4
; Occupancy: 8
; WaveLimiterHint : 0
; COMPUTE_PGM_RSRC2:SCRATCH_EN: 0
; COMPUTE_PGM_RSRC2:USER_SGPR: 2
; COMPUTE_PGM_RSRC2:TRAP_HANDLER: 0
; COMPUTE_PGM_RSRC2:TGID_X_EN: 1
; COMPUTE_PGM_RSRC2:TGID_Y_EN: 0
; COMPUTE_PGM_RSRC2:TGID_Z_EN: 0
; COMPUTE_PGM_RSRC2:TIDIG_COMP_CNT: 0
; COMPUTE_PGM_RSRC3_GFX90A:ACCUM_OFFSET: 0
; COMPUTE_PGM_RSRC3_GFX90A:TG_SPLIT: 0
	.section	.text._ZN7rocprim17ROCPRIM_400000_NS6detail17trampoline_kernelINS0_14default_configENS1_25partition_config_selectorILNS1_17partition_subalgoE8ElNS0_10empty_typeEbEEZZNS1_14partition_implILS5_8ELb0ES3_jPKlPS6_PKS6_NS0_5tupleIJPlS6_EEENSE_IJSB_SB_EEENS0_18inequality_wrapperIN6hipcub16HIPCUB_304000_NS8EqualityEEESF_JS6_EEE10hipError_tPvRmT3_T4_T5_T6_T7_T9_mT8_P12ihipStream_tbDpT10_ENKUlT_T0_E_clISt17integral_constantIbLb1EES15_IbLb0EEEEDaS11_S12_EUlS11_E_NS1_11comp_targetILNS1_3genE9ELNS1_11target_archE1100ELNS1_3gpuE3ELNS1_3repE0EEENS1_30default_config_static_selectorELNS0_4arch9wavefront6targetE1EEEvT1_,"axG",@progbits,_ZN7rocprim17ROCPRIM_400000_NS6detail17trampoline_kernelINS0_14default_configENS1_25partition_config_selectorILNS1_17partition_subalgoE8ElNS0_10empty_typeEbEEZZNS1_14partition_implILS5_8ELb0ES3_jPKlPS6_PKS6_NS0_5tupleIJPlS6_EEENSE_IJSB_SB_EEENS0_18inequality_wrapperIN6hipcub16HIPCUB_304000_NS8EqualityEEESF_JS6_EEE10hipError_tPvRmT3_T4_T5_T6_T7_T9_mT8_P12ihipStream_tbDpT10_ENKUlT_T0_E_clISt17integral_constantIbLb1EES15_IbLb0EEEEDaS11_S12_EUlS11_E_NS1_11comp_targetILNS1_3genE9ELNS1_11target_archE1100ELNS1_3gpuE3ELNS1_3repE0EEENS1_30default_config_static_selectorELNS0_4arch9wavefront6targetE1EEEvT1_,comdat
	.protected	_ZN7rocprim17ROCPRIM_400000_NS6detail17trampoline_kernelINS0_14default_configENS1_25partition_config_selectorILNS1_17partition_subalgoE8ElNS0_10empty_typeEbEEZZNS1_14partition_implILS5_8ELb0ES3_jPKlPS6_PKS6_NS0_5tupleIJPlS6_EEENSE_IJSB_SB_EEENS0_18inequality_wrapperIN6hipcub16HIPCUB_304000_NS8EqualityEEESF_JS6_EEE10hipError_tPvRmT3_T4_T5_T6_T7_T9_mT8_P12ihipStream_tbDpT10_ENKUlT_T0_E_clISt17integral_constantIbLb1EES15_IbLb0EEEEDaS11_S12_EUlS11_E_NS1_11comp_targetILNS1_3genE9ELNS1_11target_archE1100ELNS1_3gpuE3ELNS1_3repE0EEENS1_30default_config_static_selectorELNS0_4arch9wavefront6targetE1EEEvT1_ ; -- Begin function _ZN7rocprim17ROCPRIM_400000_NS6detail17trampoline_kernelINS0_14default_configENS1_25partition_config_selectorILNS1_17partition_subalgoE8ElNS0_10empty_typeEbEEZZNS1_14partition_implILS5_8ELb0ES3_jPKlPS6_PKS6_NS0_5tupleIJPlS6_EEENSE_IJSB_SB_EEENS0_18inequality_wrapperIN6hipcub16HIPCUB_304000_NS8EqualityEEESF_JS6_EEE10hipError_tPvRmT3_T4_T5_T6_T7_T9_mT8_P12ihipStream_tbDpT10_ENKUlT_T0_E_clISt17integral_constantIbLb1EES15_IbLb0EEEEDaS11_S12_EUlS11_E_NS1_11comp_targetILNS1_3genE9ELNS1_11target_archE1100ELNS1_3gpuE3ELNS1_3repE0EEENS1_30default_config_static_selectorELNS0_4arch9wavefront6targetE1EEEvT1_
	.globl	_ZN7rocprim17ROCPRIM_400000_NS6detail17trampoline_kernelINS0_14default_configENS1_25partition_config_selectorILNS1_17partition_subalgoE8ElNS0_10empty_typeEbEEZZNS1_14partition_implILS5_8ELb0ES3_jPKlPS6_PKS6_NS0_5tupleIJPlS6_EEENSE_IJSB_SB_EEENS0_18inequality_wrapperIN6hipcub16HIPCUB_304000_NS8EqualityEEESF_JS6_EEE10hipError_tPvRmT3_T4_T5_T6_T7_T9_mT8_P12ihipStream_tbDpT10_ENKUlT_T0_E_clISt17integral_constantIbLb1EES15_IbLb0EEEEDaS11_S12_EUlS11_E_NS1_11comp_targetILNS1_3genE9ELNS1_11target_archE1100ELNS1_3gpuE3ELNS1_3repE0EEENS1_30default_config_static_selectorELNS0_4arch9wavefront6targetE1EEEvT1_
	.p2align	8
	.type	_ZN7rocprim17ROCPRIM_400000_NS6detail17trampoline_kernelINS0_14default_configENS1_25partition_config_selectorILNS1_17partition_subalgoE8ElNS0_10empty_typeEbEEZZNS1_14partition_implILS5_8ELb0ES3_jPKlPS6_PKS6_NS0_5tupleIJPlS6_EEENSE_IJSB_SB_EEENS0_18inequality_wrapperIN6hipcub16HIPCUB_304000_NS8EqualityEEESF_JS6_EEE10hipError_tPvRmT3_T4_T5_T6_T7_T9_mT8_P12ihipStream_tbDpT10_ENKUlT_T0_E_clISt17integral_constantIbLb1EES15_IbLb0EEEEDaS11_S12_EUlS11_E_NS1_11comp_targetILNS1_3genE9ELNS1_11target_archE1100ELNS1_3gpuE3ELNS1_3repE0EEENS1_30default_config_static_selectorELNS0_4arch9wavefront6targetE1EEEvT1_,@function
_ZN7rocprim17ROCPRIM_400000_NS6detail17trampoline_kernelINS0_14default_configENS1_25partition_config_selectorILNS1_17partition_subalgoE8ElNS0_10empty_typeEbEEZZNS1_14partition_implILS5_8ELb0ES3_jPKlPS6_PKS6_NS0_5tupleIJPlS6_EEENSE_IJSB_SB_EEENS0_18inequality_wrapperIN6hipcub16HIPCUB_304000_NS8EqualityEEESF_JS6_EEE10hipError_tPvRmT3_T4_T5_T6_T7_T9_mT8_P12ihipStream_tbDpT10_ENKUlT_T0_E_clISt17integral_constantIbLb1EES15_IbLb0EEEEDaS11_S12_EUlS11_E_NS1_11comp_targetILNS1_3genE9ELNS1_11target_archE1100ELNS1_3gpuE3ELNS1_3repE0EEENS1_30default_config_static_selectorELNS0_4arch9wavefront6targetE1EEEvT1_: ; @_ZN7rocprim17ROCPRIM_400000_NS6detail17trampoline_kernelINS0_14default_configENS1_25partition_config_selectorILNS1_17partition_subalgoE8ElNS0_10empty_typeEbEEZZNS1_14partition_implILS5_8ELb0ES3_jPKlPS6_PKS6_NS0_5tupleIJPlS6_EEENSE_IJSB_SB_EEENS0_18inequality_wrapperIN6hipcub16HIPCUB_304000_NS8EqualityEEESF_JS6_EEE10hipError_tPvRmT3_T4_T5_T6_T7_T9_mT8_P12ihipStream_tbDpT10_ENKUlT_T0_E_clISt17integral_constantIbLb1EES15_IbLb0EEEEDaS11_S12_EUlS11_E_NS1_11comp_targetILNS1_3genE9ELNS1_11target_archE1100ELNS1_3gpuE3ELNS1_3repE0EEENS1_30default_config_static_selectorELNS0_4arch9wavefront6targetE1EEEvT1_
; %bb.0:
	.section	.rodata,"a",@progbits
	.p2align	6, 0x0
	.amdhsa_kernel _ZN7rocprim17ROCPRIM_400000_NS6detail17trampoline_kernelINS0_14default_configENS1_25partition_config_selectorILNS1_17partition_subalgoE8ElNS0_10empty_typeEbEEZZNS1_14partition_implILS5_8ELb0ES3_jPKlPS6_PKS6_NS0_5tupleIJPlS6_EEENSE_IJSB_SB_EEENS0_18inequality_wrapperIN6hipcub16HIPCUB_304000_NS8EqualityEEESF_JS6_EEE10hipError_tPvRmT3_T4_T5_T6_T7_T9_mT8_P12ihipStream_tbDpT10_ENKUlT_T0_E_clISt17integral_constantIbLb1EES15_IbLb0EEEEDaS11_S12_EUlS11_E_NS1_11comp_targetILNS1_3genE9ELNS1_11target_archE1100ELNS1_3gpuE3ELNS1_3repE0EEENS1_30default_config_static_selectorELNS0_4arch9wavefront6targetE1EEEvT1_
		.amdhsa_group_segment_fixed_size 0
		.amdhsa_private_segment_fixed_size 0
		.amdhsa_kernarg_size 112
		.amdhsa_user_sgpr_count 2
		.amdhsa_user_sgpr_dispatch_ptr 0
		.amdhsa_user_sgpr_queue_ptr 0
		.amdhsa_user_sgpr_kernarg_segment_ptr 1
		.amdhsa_user_sgpr_dispatch_id 0
		.amdhsa_user_sgpr_kernarg_preload_length 0
		.amdhsa_user_sgpr_kernarg_preload_offset 0
		.amdhsa_user_sgpr_private_segment_size 0
		.amdhsa_uses_dynamic_stack 0
		.amdhsa_enable_private_segment 0
		.amdhsa_system_sgpr_workgroup_id_x 1
		.amdhsa_system_sgpr_workgroup_id_y 0
		.amdhsa_system_sgpr_workgroup_id_z 0
		.amdhsa_system_sgpr_workgroup_info 0
		.amdhsa_system_vgpr_workitem_id 0
		.amdhsa_next_free_vgpr 1
		.amdhsa_next_free_sgpr 0
		.amdhsa_accum_offset 4
		.amdhsa_reserve_vcc 0
		.amdhsa_float_round_mode_32 0
		.amdhsa_float_round_mode_16_64 0
		.amdhsa_float_denorm_mode_32 3
		.amdhsa_float_denorm_mode_16_64 3
		.amdhsa_dx10_clamp 1
		.amdhsa_ieee_mode 1
		.amdhsa_fp16_overflow 0
		.amdhsa_tg_split 0
		.amdhsa_exception_fp_ieee_invalid_op 0
		.amdhsa_exception_fp_denorm_src 0
		.amdhsa_exception_fp_ieee_div_zero 0
		.amdhsa_exception_fp_ieee_overflow 0
		.amdhsa_exception_fp_ieee_underflow 0
		.amdhsa_exception_fp_ieee_inexact 0
		.amdhsa_exception_int_div_zero 0
	.end_amdhsa_kernel
	.section	.text._ZN7rocprim17ROCPRIM_400000_NS6detail17trampoline_kernelINS0_14default_configENS1_25partition_config_selectorILNS1_17partition_subalgoE8ElNS0_10empty_typeEbEEZZNS1_14partition_implILS5_8ELb0ES3_jPKlPS6_PKS6_NS0_5tupleIJPlS6_EEENSE_IJSB_SB_EEENS0_18inequality_wrapperIN6hipcub16HIPCUB_304000_NS8EqualityEEESF_JS6_EEE10hipError_tPvRmT3_T4_T5_T6_T7_T9_mT8_P12ihipStream_tbDpT10_ENKUlT_T0_E_clISt17integral_constantIbLb1EES15_IbLb0EEEEDaS11_S12_EUlS11_E_NS1_11comp_targetILNS1_3genE9ELNS1_11target_archE1100ELNS1_3gpuE3ELNS1_3repE0EEENS1_30default_config_static_selectorELNS0_4arch9wavefront6targetE1EEEvT1_,"axG",@progbits,_ZN7rocprim17ROCPRIM_400000_NS6detail17trampoline_kernelINS0_14default_configENS1_25partition_config_selectorILNS1_17partition_subalgoE8ElNS0_10empty_typeEbEEZZNS1_14partition_implILS5_8ELb0ES3_jPKlPS6_PKS6_NS0_5tupleIJPlS6_EEENSE_IJSB_SB_EEENS0_18inequality_wrapperIN6hipcub16HIPCUB_304000_NS8EqualityEEESF_JS6_EEE10hipError_tPvRmT3_T4_T5_T6_T7_T9_mT8_P12ihipStream_tbDpT10_ENKUlT_T0_E_clISt17integral_constantIbLb1EES15_IbLb0EEEEDaS11_S12_EUlS11_E_NS1_11comp_targetILNS1_3genE9ELNS1_11target_archE1100ELNS1_3gpuE3ELNS1_3repE0EEENS1_30default_config_static_selectorELNS0_4arch9wavefront6targetE1EEEvT1_,comdat
.Lfunc_end248:
	.size	_ZN7rocprim17ROCPRIM_400000_NS6detail17trampoline_kernelINS0_14default_configENS1_25partition_config_selectorILNS1_17partition_subalgoE8ElNS0_10empty_typeEbEEZZNS1_14partition_implILS5_8ELb0ES3_jPKlPS6_PKS6_NS0_5tupleIJPlS6_EEENSE_IJSB_SB_EEENS0_18inequality_wrapperIN6hipcub16HIPCUB_304000_NS8EqualityEEESF_JS6_EEE10hipError_tPvRmT3_T4_T5_T6_T7_T9_mT8_P12ihipStream_tbDpT10_ENKUlT_T0_E_clISt17integral_constantIbLb1EES15_IbLb0EEEEDaS11_S12_EUlS11_E_NS1_11comp_targetILNS1_3genE9ELNS1_11target_archE1100ELNS1_3gpuE3ELNS1_3repE0EEENS1_30default_config_static_selectorELNS0_4arch9wavefront6targetE1EEEvT1_, .Lfunc_end248-_ZN7rocprim17ROCPRIM_400000_NS6detail17trampoline_kernelINS0_14default_configENS1_25partition_config_selectorILNS1_17partition_subalgoE8ElNS0_10empty_typeEbEEZZNS1_14partition_implILS5_8ELb0ES3_jPKlPS6_PKS6_NS0_5tupleIJPlS6_EEENSE_IJSB_SB_EEENS0_18inequality_wrapperIN6hipcub16HIPCUB_304000_NS8EqualityEEESF_JS6_EEE10hipError_tPvRmT3_T4_T5_T6_T7_T9_mT8_P12ihipStream_tbDpT10_ENKUlT_T0_E_clISt17integral_constantIbLb1EES15_IbLb0EEEEDaS11_S12_EUlS11_E_NS1_11comp_targetILNS1_3genE9ELNS1_11target_archE1100ELNS1_3gpuE3ELNS1_3repE0EEENS1_30default_config_static_selectorELNS0_4arch9wavefront6targetE1EEEvT1_
                                        ; -- End function
	.set _ZN7rocprim17ROCPRIM_400000_NS6detail17trampoline_kernelINS0_14default_configENS1_25partition_config_selectorILNS1_17partition_subalgoE8ElNS0_10empty_typeEbEEZZNS1_14partition_implILS5_8ELb0ES3_jPKlPS6_PKS6_NS0_5tupleIJPlS6_EEENSE_IJSB_SB_EEENS0_18inequality_wrapperIN6hipcub16HIPCUB_304000_NS8EqualityEEESF_JS6_EEE10hipError_tPvRmT3_T4_T5_T6_T7_T9_mT8_P12ihipStream_tbDpT10_ENKUlT_T0_E_clISt17integral_constantIbLb1EES15_IbLb0EEEEDaS11_S12_EUlS11_E_NS1_11comp_targetILNS1_3genE9ELNS1_11target_archE1100ELNS1_3gpuE3ELNS1_3repE0EEENS1_30default_config_static_selectorELNS0_4arch9wavefront6targetE1EEEvT1_.num_vgpr, 0
	.set _ZN7rocprim17ROCPRIM_400000_NS6detail17trampoline_kernelINS0_14default_configENS1_25partition_config_selectorILNS1_17partition_subalgoE8ElNS0_10empty_typeEbEEZZNS1_14partition_implILS5_8ELb0ES3_jPKlPS6_PKS6_NS0_5tupleIJPlS6_EEENSE_IJSB_SB_EEENS0_18inequality_wrapperIN6hipcub16HIPCUB_304000_NS8EqualityEEESF_JS6_EEE10hipError_tPvRmT3_T4_T5_T6_T7_T9_mT8_P12ihipStream_tbDpT10_ENKUlT_T0_E_clISt17integral_constantIbLb1EES15_IbLb0EEEEDaS11_S12_EUlS11_E_NS1_11comp_targetILNS1_3genE9ELNS1_11target_archE1100ELNS1_3gpuE3ELNS1_3repE0EEENS1_30default_config_static_selectorELNS0_4arch9wavefront6targetE1EEEvT1_.num_agpr, 0
	.set _ZN7rocprim17ROCPRIM_400000_NS6detail17trampoline_kernelINS0_14default_configENS1_25partition_config_selectorILNS1_17partition_subalgoE8ElNS0_10empty_typeEbEEZZNS1_14partition_implILS5_8ELb0ES3_jPKlPS6_PKS6_NS0_5tupleIJPlS6_EEENSE_IJSB_SB_EEENS0_18inequality_wrapperIN6hipcub16HIPCUB_304000_NS8EqualityEEESF_JS6_EEE10hipError_tPvRmT3_T4_T5_T6_T7_T9_mT8_P12ihipStream_tbDpT10_ENKUlT_T0_E_clISt17integral_constantIbLb1EES15_IbLb0EEEEDaS11_S12_EUlS11_E_NS1_11comp_targetILNS1_3genE9ELNS1_11target_archE1100ELNS1_3gpuE3ELNS1_3repE0EEENS1_30default_config_static_selectorELNS0_4arch9wavefront6targetE1EEEvT1_.numbered_sgpr, 0
	.set _ZN7rocprim17ROCPRIM_400000_NS6detail17trampoline_kernelINS0_14default_configENS1_25partition_config_selectorILNS1_17partition_subalgoE8ElNS0_10empty_typeEbEEZZNS1_14partition_implILS5_8ELb0ES3_jPKlPS6_PKS6_NS0_5tupleIJPlS6_EEENSE_IJSB_SB_EEENS0_18inequality_wrapperIN6hipcub16HIPCUB_304000_NS8EqualityEEESF_JS6_EEE10hipError_tPvRmT3_T4_T5_T6_T7_T9_mT8_P12ihipStream_tbDpT10_ENKUlT_T0_E_clISt17integral_constantIbLb1EES15_IbLb0EEEEDaS11_S12_EUlS11_E_NS1_11comp_targetILNS1_3genE9ELNS1_11target_archE1100ELNS1_3gpuE3ELNS1_3repE0EEENS1_30default_config_static_selectorELNS0_4arch9wavefront6targetE1EEEvT1_.num_named_barrier, 0
	.set _ZN7rocprim17ROCPRIM_400000_NS6detail17trampoline_kernelINS0_14default_configENS1_25partition_config_selectorILNS1_17partition_subalgoE8ElNS0_10empty_typeEbEEZZNS1_14partition_implILS5_8ELb0ES3_jPKlPS6_PKS6_NS0_5tupleIJPlS6_EEENSE_IJSB_SB_EEENS0_18inequality_wrapperIN6hipcub16HIPCUB_304000_NS8EqualityEEESF_JS6_EEE10hipError_tPvRmT3_T4_T5_T6_T7_T9_mT8_P12ihipStream_tbDpT10_ENKUlT_T0_E_clISt17integral_constantIbLb1EES15_IbLb0EEEEDaS11_S12_EUlS11_E_NS1_11comp_targetILNS1_3genE9ELNS1_11target_archE1100ELNS1_3gpuE3ELNS1_3repE0EEENS1_30default_config_static_selectorELNS0_4arch9wavefront6targetE1EEEvT1_.private_seg_size, 0
	.set _ZN7rocprim17ROCPRIM_400000_NS6detail17trampoline_kernelINS0_14default_configENS1_25partition_config_selectorILNS1_17partition_subalgoE8ElNS0_10empty_typeEbEEZZNS1_14partition_implILS5_8ELb0ES3_jPKlPS6_PKS6_NS0_5tupleIJPlS6_EEENSE_IJSB_SB_EEENS0_18inequality_wrapperIN6hipcub16HIPCUB_304000_NS8EqualityEEESF_JS6_EEE10hipError_tPvRmT3_T4_T5_T6_T7_T9_mT8_P12ihipStream_tbDpT10_ENKUlT_T0_E_clISt17integral_constantIbLb1EES15_IbLb0EEEEDaS11_S12_EUlS11_E_NS1_11comp_targetILNS1_3genE9ELNS1_11target_archE1100ELNS1_3gpuE3ELNS1_3repE0EEENS1_30default_config_static_selectorELNS0_4arch9wavefront6targetE1EEEvT1_.uses_vcc, 0
	.set _ZN7rocprim17ROCPRIM_400000_NS6detail17trampoline_kernelINS0_14default_configENS1_25partition_config_selectorILNS1_17partition_subalgoE8ElNS0_10empty_typeEbEEZZNS1_14partition_implILS5_8ELb0ES3_jPKlPS6_PKS6_NS0_5tupleIJPlS6_EEENSE_IJSB_SB_EEENS0_18inequality_wrapperIN6hipcub16HIPCUB_304000_NS8EqualityEEESF_JS6_EEE10hipError_tPvRmT3_T4_T5_T6_T7_T9_mT8_P12ihipStream_tbDpT10_ENKUlT_T0_E_clISt17integral_constantIbLb1EES15_IbLb0EEEEDaS11_S12_EUlS11_E_NS1_11comp_targetILNS1_3genE9ELNS1_11target_archE1100ELNS1_3gpuE3ELNS1_3repE0EEENS1_30default_config_static_selectorELNS0_4arch9wavefront6targetE1EEEvT1_.uses_flat_scratch, 0
	.set _ZN7rocprim17ROCPRIM_400000_NS6detail17trampoline_kernelINS0_14default_configENS1_25partition_config_selectorILNS1_17partition_subalgoE8ElNS0_10empty_typeEbEEZZNS1_14partition_implILS5_8ELb0ES3_jPKlPS6_PKS6_NS0_5tupleIJPlS6_EEENSE_IJSB_SB_EEENS0_18inequality_wrapperIN6hipcub16HIPCUB_304000_NS8EqualityEEESF_JS6_EEE10hipError_tPvRmT3_T4_T5_T6_T7_T9_mT8_P12ihipStream_tbDpT10_ENKUlT_T0_E_clISt17integral_constantIbLb1EES15_IbLb0EEEEDaS11_S12_EUlS11_E_NS1_11comp_targetILNS1_3genE9ELNS1_11target_archE1100ELNS1_3gpuE3ELNS1_3repE0EEENS1_30default_config_static_selectorELNS0_4arch9wavefront6targetE1EEEvT1_.has_dyn_sized_stack, 0
	.set _ZN7rocprim17ROCPRIM_400000_NS6detail17trampoline_kernelINS0_14default_configENS1_25partition_config_selectorILNS1_17partition_subalgoE8ElNS0_10empty_typeEbEEZZNS1_14partition_implILS5_8ELb0ES3_jPKlPS6_PKS6_NS0_5tupleIJPlS6_EEENSE_IJSB_SB_EEENS0_18inequality_wrapperIN6hipcub16HIPCUB_304000_NS8EqualityEEESF_JS6_EEE10hipError_tPvRmT3_T4_T5_T6_T7_T9_mT8_P12ihipStream_tbDpT10_ENKUlT_T0_E_clISt17integral_constantIbLb1EES15_IbLb0EEEEDaS11_S12_EUlS11_E_NS1_11comp_targetILNS1_3genE9ELNS1_11target_archE1100ELNS1_3gpuE3ELNS1_3repE0EEENS1_30default_config_static_selectorELNS0_4arch9wavefront6targetE1EEEvT1_.has_recursion, 0
	.set _ZN7rocprim17ROCPRIM_400000_NS6detail17trampoline_kernelINS0_14default_configENS1_25partition_config_selectorILNS1_17partition_subalgoE8ElNS0_10empty_typeEbEEZZNS1_14partition_implILS5_8ELb0ES3_jPKlPS6_PKS6_NS0_5tupleIJPlS6_EEENSE_IJSB_SB_EEENS0_18inequality_wrapperIN6hipcub16HIPCUB_304000_NS8EqualityEEESF_JS6_EEE10hipError_tPvRmT3_T4_T5_T6_T7_T9_mT8_P12ihipStream_tbDpT10_ENKUlT_T0_E_clISt17integral_constantIbLb1EES15_IbLb0EEEEDaS11_S12_EUlS11_E_NS1_11comp_targetILNS1_3genE9ELNS1_11target_archE1100ELNS1_3gpuE3ELNS1_3repE0EEENS1_30default_config_static_selectorELNS0_4arch9wavefront6targetE1EEEvT1_.has_indirect_call, 0
	.section	.AMDGPU.csdata,"",@progbits
; Kernel info:
; codeLenInByte = 0
; TotalNumSgprs: 6
; NumVgprs: 0
; NumAgprs: 0
; TotalNumVgprs: 0
; ScratchSize: 0
; MemoryBound: 0
; FloatMode: 240
; IeeeMode: 1
; LDSByteSize: 0 bytes/workgroup (compile time only)
; SGPRBlocks: 0
; VGPRBlocks: 0
; NumSGPRsForWavesPerEU: 6
; NumVGPRsForWavesPerEU: 1
; AccumOffset: 4
; Occupancy: 8
; WaveLimiterHint : 0
; COMPUTE_PGM_RSRC2:SCRATCH_EN: 0
; COMPUTE_PGM_RSRC2:USER_SGPR: 2
; COMPUTE_PGM_RSRC2:TRAP_HANDLER: 0
; COMPUTE_PGM_RSRC2:TGID_X_EN: 1
; COMPUTE_PGM_RSRC2:TGID_Y_EN: 0
; COMPUTE_PGM_RSRC2:TGID_Z_EN: 0
; COMPUTE_PGM_RSRC2:TIDIG_COMP_CNT: 0
; COMPUTE_PGM_RSRC3_GFX90A:ACCUM_OFFSET: 0
; COMPUTE_PGM_RSRC3_GFX90A:TG_SPLIT: 0
	.section	.text._ZN7rocprim17ROCPRIM_400000_NS6detail17trampoline_kernelINS0_14default_configENS1_25partition_config_selectorILNS1_17partition_subalgoE8ElNS0_10empty_typeEbEEZZNS1_14partition_implILS5_8ELb0ES3_jPKlPS6_PKS6_NS0_5tupleIJPlS6_EEENSE_IJSB_SB_EEENS0_18inequality_wrapperIN6hipcub16HIPCUB_304000_NS8EqualityEEESF_JS6_EEE10hipError_tPvRmT3_T4_T5_T6_T7_T9_mT8_P12ihipStream_tbDpT10_ENKUlT_T0_E_clISt17integral_constantIbLb1EES15_IbLb0EEEEDaS11_S12_EUlS11_E_NS1_11comp_targetILNS1_3genE8ELNS1_11target_archE1030ELNS1_3gpuE2ELNS1_3repE0EEENS1_30default_config_static_selectorELNS0_4arch9wavefront6targetE1EEEvT1_,"axG",@progbits,_ZN7rocprim17ROCPRIM_400000_NS6detail17trampoline_kernelINS0_14default_configENS1_25partition_config_selectorILNS1_17partition_subalgoE8ElNS0_10empty_typeEbEEZZNS1_14partition_implILS5_8ELb0ES3_jPKlPS6_PKS6_NS0_5tupleIJPlS6_EEENSE_IJSB_SB_EEENS0_18inequality_wrapperIN6hipcub16HIPCUB_304000_NS8EqualityEEESF_JS6_EEE10hipError_tPvRmT3_T4_T5_T6_T7_T9_mT8_P12ihipStream_tbDpT10_ENKUlT_T0_E_clISt17integral_constantIbLb1EES15_IbLb0EEEEDaS11_S12_EUlS11_E_NS1_11comp_targetILNS1_3genE8ELNS1_11target_archE1030ELNS1_3gpuE2ELNS1_3repE0EEENS1_30default_config_static_selectorELNS0_4arch9wavefront6targetE1EEEvT1_,comdat
	.protected	_ZN7rocprim17ROCPRIM_400000_NS6detail17trampoline_kernelINS0_14default_configENS1_25partition_config_selectorILNS1_17partition_subalgoE8ElNS0_10empty_typeEbEEZZNS1_14partition_implILS5_8ELb0ES3_jPKlPS6_PKS6_NS0_5tupleIJPlS6_EEENSE_IJSB_SB_EEENS0_18inequality_wrapperIN6hipcub16HIPCUB_304000_NS8EqualityEEESF_JS6_EEE10hipError_tPvRmT3_T4_T5_T6_T7_T9_mT8_P12ihipStream_tbDpT10_ENKUlT_T0_E_clISt17integral_constantIbLb1EES15_IbLb0EEEEDaS11_S12_EUlS11_E_NS1_11comp_targetILNS1_3genE8ELNS1_11target_archE1030ELNS1_3gpuE2ELNS1_3repE0EEENS1_30default_config_static_selectorELNS0_4arch9wavefront6targetE1EEEvT1_ ; -- Begin function _ZN7rocprim17ROCPRIM_400000_NS6detail17trampoline_kernelINS0_14default_configENS1_25partition_config_selectorILNS1_17partition_subalgoE8ElNS0_10empty_typeEbEEZZNS1_14partition_implILS5_8ELb0ES3_jPKlPS6_PKS6_NS0_5tupleIJPlS6_EEENSE_IJSB_SB_EEENS0_18inequality_wrapperIN6hipcub16HIPCUB_304000_NS8EqualityEEESF_JS6_EEE10hipError_tPvRmT3_T4_T5_T6_T7_T9_mT8_P12ihipStream_tbDpT10_ENKUlT_T0_E_clISt17integral_constantIbLb1EES15_IbLb0EEEEDaS11_S12_EUlS11_E_NS1_11comp_targetILNS1_3genE8ELNS1_11target_archE1030ELNS1_3gpuE2ELNS1_3repE0EEENS1_30default_config_static_selectorELNS0_4arch9wavefront6targetE1EEEvT1_
	.globl	_ZN7rocprim17ROCPRIM_400000_NS6detail17trampoline_kernelINS0_14default_configENS1_25partition_config_selectorILNS1_17partition_subalgoE8ElNS0_10empty_typeEbEEZZNS1_14partition_implILS5_8ELb0ES3_jPKlPS6_PKS6_NS0_5tupleIJPlS6_EEENSE_IJSB_SB_EEENS0_18inequality_wrapperIN6hipcub16HIPCUB_304000_NS8EqualityEEESF_JS6_EEE10hipError_tPvRmT3_T4_T5_T6_T7_T9_mT8_P12ihipStream_tbDpT10_ENKUlT_T0_E_clISt17integral_constantIbLb1EES15_IbLb0EEEEDaS11_S12_EUlS11_E_NS1_11comp_targetILNS1_3genE8ELNS1_11target_archE1030ELNS1_3gpuE2ELNS1_3repE0EEENS1_30default_config_static_selectorELNS0_4arch9wavefront6targetE1EEEvT1_
	.p2align	8
	.type	_ZN7rocprim17ROCPRIM_400000_NS6detail17trampoline_kernelINS0_14default_configENS1_25partition_config_selectorILNS1_17partition_subalgoE8ElNS0_10empty_typeEbEEZZNS1_14partition_implILS5_8ELb0ES3_jPKlPS6_PKS6_NS0_5tupleIJPlS6_EEENSE_IJSB_SB_EEENS0_18inequality_wrapperIN6hipcub16HIPCUB_304000_NS8EqualityEEESF_JS6_EEE10hipError_tPvRmT3_T4_T5_T6_T7_T9_mT8_P12ihipStream_tbDpT10_ENKUlT_T0_E_clISt17integral_constantIbLb1EES15_IbLb0EEEEDaS11_S12_EUlS11_E_NS1_11comp_targetILNS1_3genE8ELNS1_11target_archE1030ELNS1_3gpuE2ELNS1_3repE0EEENS1_30default_config_static_selectorELNS0_4arch9wavefront6targetE1EEEvT1_,@function
_ZN7rocprim17ROCPRIM_400000_NS6detail17trampoline_kernelINS0_14default_configENS1_25partition_config_selectorILNS1_17partition_subalgoE8ElNS0_10empty_typeEbEEZZNS1_14partition_implILS5_8ELb0ES3_jPKlPS6_PKS6_NS0_5tupleIJPlS6_EEENSE_IJSB_SB_EEENS0_18inequality_wrapperIN6hipcub16HIPCUB_304000_NS8EqualityEEESF_JS6_EEE10hipError_tPvRmT3_T4_T5_T6_T7_T9_mT8_P12ihipStream_tbDpT10_ENKUlT_T0_E_clISt17integral_constantIbLb1EES15_IbLb0EEEEDaS11_S12_EUlS11_E_NS1_11comp_targetILNS1_3genE8ELNS1_11target_archE1030ELNS1_3gpuE2ELNS1_3repE0EEENS1_30default_config_static_selectorELNS0_4arch9wavefront6targetE1EEEvT1_: ; @_ZN7rocprim17ROCPRIM_400000_NS6detail17trampoline_kernelINS0_14default_configENS1_25partition_config_selectorILNS1_17partition_subalgoE8ElNS0_10empty_typeEbEEZZNS1_14partition_implILS5_8ELb0ES3_jPKlPS6_PKS6_NS0_5tupleIJPlS6_EEENSE_IJSB_SB_EEENS0_18inequality_wrapperIN6hipcub16HIPCUB_304000_NS8EqualityEEESF_JS6_EEE10hipError_tPvRmT3_T4_T5_T6_T7_T9_mT8_P12ihipStream_tbDpT10_ENKUlT_T0_E_clISt17integral_constantIbLb1EES15_IbLb0EEEEDaS11_S12_EUlS11_E_NS1_11comp_targetILNS1_3genE8ELNS1_11target_archE1030ELNS1_3gpuE2ELNS1_3repE0EEENS1_30default_config_static_selectorELNS0_4arch9wavefront6targetE1EEEvT1_
; %bb.0:
	.section	.rodata,"a",@progbits
	.p2align	6, 0x0
	.amdhsa_kernel _ZN7rocprim17ROCPRIM_400000_NS6detail17trampoline_kernelINS0_14default_configENS1_25partition_config_selectorILNS1_17partition_subalgoE8ElNS0_10empty_typeEbEEZZNS1_14partition_implILS5_8ELb0ES3_jPKlPS6_PKS6_NS0_5tupleIJPlS6_EEENSE_IJSB_SB_EEENS0_18inequality_wrapperIN6hipcub16HIPCUB_304000_NS8EqualityEEESF_JS6_EEE10hipError_tPvRmT3_T4_T5_T6_T7_T9_mT8_P12ihipStream_tbDpT10_ENKUlT_T0_E_clISt17integral_constantIbLb1EES15_IbLb0EEEEDaS11_S12_EUlS11_E_NS1_11comp_targetILNS1_3genE8ELNS1_11target_archE1030ELNS1_3gpuE2ELNS1_3repE0EEENS1_30default_config_static_selectorELNS0_4arch9wavefront6targetE1EEEvT1_
		.amdhsa_group_segment_fixed_size 0
		.amdhsa_private_segment_fixed_size 0
		.amdhsa_kernarg_size 112
		.amdhsa_user_sgpr_count 2
		.amdhsa_user_sgpr_dispatch_ptr 0
		.amdhsa_user_sgpr_queue_ptr 0
		.amdhsa_user_sgpr_kernarg_segment_ptr 1
		.amdhsa_user_sgpr_dispatch_id 0
		.amdhsa_user_sgpr_kernarg_preload_length 0
		.amdhsa_user_sgpr_kernarg_preload_offset 0
		.amdhsa_user_sgpr_private_segment_size 0
		.amdhsa_uses_dynamic_stack 0
		.amdhsa_enable_private_segment 0
		.amdhsa_system_sgpr_workgroup_id_x 1
		.amdhsa_system_sgpr_workgroup_id_y 0
		.amdhsa_system_sgpr_workgroup_id_z 0
		.amdhsa_system_sgpr_workgroup_info 0
		.amdhsa_system_vgpr_workitem_id 0
		.amdhsa_next_free_vgpr 1
		.amdhsa_next_free_sgpr 0
		.amdhsa_accum_offset 4
		.amdhsa_reserve_vcc 0
		.amdhsa_float_round_mode_32 0
		.amdhsa_float_round_mode_16_64 0
		.amdhsa_float_denorm_mode_32 3
		.amdhsa_float_denorm_mode_16_64 3
		.amdhsa_dx10_clamp 1
		.amdhsa_ieee_mode 1
		.amdhsa_fp16_overflow 0
		.amdhsa_tg_split 0
		.amdhsa_exception_fp_ieee_invalid_op 0
		.amdhsa_exception_fp_denorm_src 0
		.amdhsa_exception_fp_ieee_div_zero 0
		.amdhsa_exception_fp_ieee_overflow 0
		.amdhsa_exception_fp_ieee_underflow 0
		.amdhsa_exception_fp_ieee_inexact 0
		.amdhsa_exception_int_div_zero 0
	.end_amdhsa_kernel
	.section	.text._ZN7rocprim17ROCPRIM_400000_NS6detail17trampoline_kernelINS0_14default_configENS1_25partition_config_selectorILNS1_17partition_subalgoE8ElNS0_10empty_typeEbEEZZNS1_14partition_implILS5_8ELb0ES3_jPKlPS6_PKS6_NS0_5tupleIJPlS6_EEENSE_IJSB_SB_EEENS0_18inequality_wrapperIN6hipcub16HIPCUB_304000_NS8EqualityEEESF_JS6_EEE10hipError_tPvRmT3_T4_T5_T6_T7_T9_mT8_P12ihipStream_tbDpT10_ENKUlT_T0_E_clISt17integral_constantIbLb1EES15_IbLb0EEEEDaS11_S12_EUlS11_E_NS1_11comp_targetILNS1_3genE8ELNS1_11target_archE1030ELNS1_3gpuE2ELNS1_3repE0EEENS1_30default_config_static_selectorELNS0_4arch9wavefront6targetE1EEEvT1_,"axG",@progbits,_ZN7rocprim17ROCPRIM_400000_NS6detail17trampoline_kernelINS0_14default_configENS1_25partition_config_selectorILNS1_17partition_subalgoE8ElNS0_10empty_typeEbEEZZNS1_14partition_implILS5_8ELb0ES3_jPKlPS6_PKS6_NS0_5tupleIJPlS6_EEENSE_IJSB_SB_EEENS0_18inequality_wrapperIN6hipcub16HIPCUB_304000_NS8EqualityEEESF_JS6_EEE10hipError_tPvRmT3_T4_T5_T6_T7_T9_mT8_P12ihipStream_tbDpT10_ENKUlT_T0_E_clISt17integral_constantIbLb1EES15_IbLb0EEEEDaS11_S12_EUlS11_E_NS1_11comp_targetILNS1_3genE8ELNS1_11target_archE1030ELNS1_3gpuE2ELNS1_3repE0EEENS1_30default_config_static_selectorELNS0_4arch9wavefront6targetE1EEEvT1_,comdat
.Lfunc_end249:
	.size	_ZN7rocprim17ROCPRIM_400000_NS6detail17trampoline_kernelINS0_14default_configENS1_25partition_config_selectorILNS1_17partition_subalgoE8ElNS0_10empty_typeEbEEZZNS1_14partition_implILS5_8ELb0ES3_jPKlPS6_PKS6_NS0_5tupleIJPlS6_EEENSE_IJSB_SB_EEENS0_18inequality_wrapperIN6hipcub16HIPCUB_304000_NS8EqualityEEESF_JS6_EEE10hipError_tPvRmT3_T4_T5_T6_T7_T9_mT8_P12ihipStream_tbDpT10_ENKUlT_T0_E_clISt17integral_constantIbLb1EES15_IbLb0EEEEDaS11_S12_EUlS11_E_NS1_11comp_targetILNS1_3genE8ELNS1_11target_archE1030ELNS1_3gpuE2ELNS1_3repE0EEENS1_30default_config_static_selectorELNS0_4arch9wavefront6targetE1EEEvT1_, .Lfunc_end249-_ZN7rocprim17ROCPRIM_400000_NS6detail17trampoline_kernelINS0_14default_configENS1_25partition_config_selectorILNS1_17partition_subalgoE8ElNS0_10empty_typeEbEEZZNS1_14partition_implILS5_8ELb0ES3_jPKlPS6_PKS6_NS0_5tupleIJPlS6_EEENSE_IJSB_SB_EEENS0_18inequality_wrapperIN6hipcub16HIPCUB_304000_NS8EqualityEEESF_JS6_EEE10hipError_tPvRmT3_T4_T5_T6_T7_T9_mT8_P12ihipStream_tbDpT10_ENKUlT_T0_E_clISt17integral_constantIbLb1EES15_IbLb0EEEEDaS11_S12_EUlS11_E_NS1_11comp_targetILNS1_3genE8ELNS1_11target_archE1030ELNS1_3gpuE2ELNS1_3repE0EEENS1_30default_config_static_selectorELNS0_4arch9wavefront6targetE1EEEvT1_
                                        ; -- End function
	.set _ZN7rocprim17ROCPRIM_400000_NS6detail17trampoline_kernelINS0_14default_configENS1_25partition_config_selectorILNS1_17partition_subalgoE8ElNS0_10empty_typeEbEEZZNS1_14partition_implILS5_8ELb0ES3_jPKlPS6_PKS6_NS0_5tupleIJPlS6_EEENSE_IJSB_SB_EEENS0_18inequality_wrapperIN6hipcub16HIPCUB_304000_NS8EqualityEEESF_JS6_EEE10hipError_tPvRmT3_T4_T5_T6_T7_T9_mT8_P12ihipStream_tbDpT10_ENKUlT_T0_E_clISt17integral_constantIbLb1EES15_IbLb0EEEEDaS11_S12_EUlS11_E_NS1_11comp_targetILNS1_3genE8ELNS1_11target_archE1030ELNS1_3gpuE2ELNS1_3repE0EEENS1_30default_config_static_selectorELNS0_4arch9wavefront6targetE1EEEvT1_.num_vgpr, 0
	.set _ZN7rocprim17ROCPRIM_400000_NS6detail17trampoline_kernelINS0_14default_configENS1_25partition_config_selectorILNS1_17partition_subalgoE8ElNS0_10empty_typeEbEEZZNS1_14partition_implILS5_8ELb0ES3_jPKlPS6_PKS6_NS0_5tupleIJPlS6_EEENSE_IJSB_SB_EEENS0_18inequality_wrapperIN6hipcub16HIPCUB_304000_NS8EqualityEEESF_JS6_EEE10hipError_tPvRmT3_T4_T5_T6_T7_T9_mT8_P12ihipStream_tbDpT10_ENKUlT_T0_E_clISt17integral_constantIbLb1EES15_IbLb0EEEEDaS11_S12_EUlS11_E_NS1_11comp_targetILNS1_3genE8ELNS1_11target_archE1030ELNS1_3gpuE2ELNS1_3repE0EEENS1_30default_config_static_selectorELNS0_4arch9wavefront6targetE1EEEvT1_.num_agpr, 0
	.set _ZN7rocprim17ROCPRIM_400000_NS6detail17trampoline_kernelINS0_14default_configENS1_25partition_config_selectorILNS1_17partition_subalgoE8ElNS0_10empty_typeEbEEZZNS1_14partition_implILS5_8ELb0ES3_jPKlPS6_PKS6_NS0_5tupleIJPlS6_EEENSE_IJSB_SB_EEENS0_18inequality_wrapperIN6hipcub16HIPCUB_304000_NS8EqualityEEESF_JS6_EEE10hipError_tPvRmT3_T4_T5_T6_T7_T9_mT8_P12ihipStream_tbDpT10_ENKUlT_T0_E_clISt17integral_constantIbLb1EES15_IbLb0EEEEDaS11_S12_EUlS11_E_NS1_11comp_targetILNS1_3genE8ELNS1_11target_archE1030ELNS1_3gpuE2ELNS1_3repE0EEENS1_30default_config_static_selectorELNS0_4arch9wavefront6targetE1EEEvT1_.numbered_sgpr, 0
	.set _ZN7rocprim17ROCPRIM_400000_NS6detail17trampoline_kernelINS0_14default_configENS1_25partition_config_selectorILNS1_17partition_subalgoE8ElNS0_10empty_typeEbEEZZNS1_14partition_implILS5_8ELb0ES3_jPKlPS6_PKS6_NS0_5tupleIJPlS6_EEENSE_IJSB_SB_EEENS0_18inequality_wrapperIN6hipcub16HIPCUB_304000_NS8EqualityEEESF_JS6_EEE10hipError_tPvRmT3_T4_T5_T6_T7_T9_mT8_P12ihipStream_tbDpT10_ENKUlT_T0_E_clISt17integral_constantIbLb1EES15_IbLb0EEEEDaS11_S12_EUlS11_E_NS1_11comp_targetILNS1_3genE8ELNS1_11target_archE1030ELNS1_3gpuE2ELNS1_3repE0EEENS1_30default_config_static_selectorELNS0_4arch9wavefront6targetE1EEEvT1_.num_named_barrier, 0
	.set _ZN7rocprim17ROCPRIM_400000_NS6detail17trampoline_kernelINS0_14default_configENS1_25partition_config_selectorILNS1_17partition_subalgoE8ElNS0_10empty_typeEbEEZZNS1_14partition_implILS5_8ELb0ES3_jPKlPS6_PKS6_NS0_5tupleIJPlS6_EEENSE_IJSB_SB_EEENS0_18inequality_wrapperIN6hipcub16HIPCUB_304000_NS8EqualityEEESF_JS6_EEE10hipError_tPvRmT3_T4_T5_T6_T7_T9_mT8_P12ihipStream_tbDpT10_ENKUlT_T0_E_clISt17integral_constantIbLb1EES15_IbLb0EEEEDaS11_S12_EUlS11_E_NS1_11comp_targetILNS1_3genE8ELNS1_11target_archE1030ELNS1_3gpuE2ELNS1_3repE0EEENS1_30default_config_static_selectorELNS0_4arch9wavefront6targetE1EEEvT1_.private_seg_size, 0
	.set _ZN7rocprim17ROCPRIM_400000_NS6detail17trampoline_kernelINS0_14default_configENS1_25partition_config_selectorILNS1_17partition_subalgoE8ElNS0_10empty_typeEbEEZZNS1_14partition_implILS5_8ELb0ES3_jPKlPS6_PKS6_NS0_5tupleIJPlS6_EEENSE_IJSB_SB_EEENS0_18inequality_wrapperIN6hipcub16HIPCUB_304000_NS8EqualityEEESF_JS6_EEE10hipError_tPvRmT3_T4_T5_T6_T7_T9_mT8_P12ihipStream_tbDpT10_ENKUlT_T0_E_clISt17integral_constantIbLb1EES15_IbLb0EEEEDaS11_S12_EUlS11_E_NS1_11comp_targetILNS1_3genE8ELNS1_11target_archE1030ELNS1_3gpuE2ELNS1_3repE0EEENS1_30default_config_static_selectorELNS0_4arch9wavefront6targetE1EEEvT1_.uses_vcc, 0
	.set _ZN7rocprim17ROCPRIM_400000_NS6detail17trampoline_kernelINS0_14default_configENS1_25partition_config_selectorILNS1_17partition_subalgoE8ElNS0_10empty_typeEbEEZZNS1_14partition_implILS5_8ELb0ES3_jPKlPS6_PKS6_NS0_5tupleIJPlS6_EEENSE_IJSB_SB_EEENS0_18inequality_wrapperIN6hipcub16HIPCUB_304000_NS8EqualityEEESF_JS6_EEE10hipError_tPvRmT3_T4_T5_T6_T7_T9_mT8_P12ihipStream_tbDpT10_ENKUlT_T0_E_clISt17integral_constantIbLb1EES15_IbLb0EEEEDaS11_S12_EUlS11_E_NS1_11comp_targetILNS1_3genE8ELNS1_11target_archE1030ELNS1_3gpuE2ELNS1_3repE0EEENS1_30default_config_static_selectorELNS0_4arch9wavefront6targetE1EEEvT1_.uses_flat_scratch, 0
	.set _ZN7rocprim17ROCPRIM_400000_NS6detail17trampoline_kernelINS0_14default_configENS1_25partition_config_selectorILNS1_17partition_subalgoE8ElNS0_10empty_typeEbEEZZNS1_14partition_implILS5_8ELb0ES3_jPKlPS6_PKS6_NS0_5tupleIJPlS6_EEENSE_IJSB_SB_EEENS0_18inequality_wrapperIN6hipcub16HIPCUB_304000_NS8EqualityEEESF_JS6_EEE10hipError_tPvRmT3_T4_T5_T6_T7_T9_mT8_P12ihipStream_tbDpT10_ENKUlT_T0_E_clISt17integral_constantIbLb1EES15_IbLb0EEEEDaS11_S12_EUlS11_E_NS1_11comp_targetILNS1_3genE8ELNS1_11target_archE1030ELNS1_3gpuE2ELNS1_3repE0EEENS1_30default_config_static_selectorELNS0_4arch9wavefront6targetE1EEEvT1_.has_dyn_sized_stack, 0
	.set _ZN7rocprim17ROCPRIM_400000_NS6detail17trampoline_kernelINS0_14default_configENS1_25partition_config_selectorILNS1_17partition_subalgoE8ElNS0_10empty_typeEbEEZZNS1_14partition_implILS5_8ELb0ES3_jPKlPS6_PKS6_NS0_5tupleIJPlS6_EEENSE_IJSB_SB_EEENS0_18inequality_wrapperIN6hipcub16HIPCUB_304000_NS8EqualityEEESF_JS6_EEE10hipError_tPvRmT3_T4_T5_T6_T7_T9_mT8_P12ihipStream_tbDpT10_ENKUlT_T0_E_clISt17integral_constantIbLb1EES15_IbLb0EEEEDaS11_S12_EUlS11_E_NS1_11comp_targetILNS1_3genE8ELNS1_11target_archE1030ELNS1_3gpuE2ELNS1_3repE0EEENS1_30default_config_static_selectorELNS0_4arch9wavefront6targetE1EEEvT1_.has_recursion, 0
	.set _ZN7rocprim17ROCPRIM_400000_NS6detail17trampoline_kernelINS0_14default_configENS1_25partition_config_selectorILNS1_17partition_subalgoE8ElNS0_10empty_typeEbEEZZNS1_14partition_implILS5_8ELb0ES3_jPKlPS6_PKS6_NS0_5tupleIJPlS6_EEENSE_IJSB_SB_EEENS0_18inequality_wrapperIN6hipcub16HIPCUB_304000_NS8EqualityEEESF_JS6_EEE10hipError_tPvRmT3_T4_T5_T6_T7_T9_mT8_P12ihipStream_tbDpT10_ENKUlT_T0_E_clISt17integral_constantIbLb1EES15_IbLb0EEEEDaS11_S12_EUlS11_E_NS1_11comp_targetILNS1_3genE8ELNS1_11target_archE1030ELNS1_3gpuE2ELNS1_3repE0EEENS1_30default_config_static_selectorELNS0_4arch9wavefront6targetE1EEEvT1_.has_indirect_call, 0
	.section	.AMDGPU.csdata,"",@progbits
; Kernel info:
; codeLenInByte = 0
; TotalNumSgprs: 6
; NumVgprs: 0
; NumAgprs: 0
; TotalNumVgprs: 0
; ScratchSize: 0
; MemoryBound: 0
; FloatMode: 240
; IeeeMode: 1
; LDSByteSize: 0 bytes/workgroup (compile time only)
; SGPRBlocks: 0
; VGPRBlocks: 0
; NumSGPRsForWavesPerEU: 6
; NumVGPRsForWavesPerEU: 1
; AccumOffset: 4
; Occupancy: 8
; WaveLimiterHint : 0
; COMPUTE_PGM_RSRC2:SCRATCH_EN: 0
; COMPUTE_PGM_RSRC2:USER_SGPR: 2
; COMPUTE_PGM_RSRC2:TRAP_HANDLER: 0
; COMPUTE_PGM_RSRC2:TGID_X_EN: 1
; COMPUTE_PGM_RSRC2:TGID_Y_EN: 0
; COMPUTE_PGM_RSRC2:TGID_Z_EN: 0
; COMPUTE_PGM_RSRC2:TIDIG_COMP_CNT: 0
; COMPUTE_PGM_RSRC3_GFX90A:ACCUM_OFFSET: 0
; COMPUTE_PGM_RSRC3_GFX90A:TG_SPLIT: 0
	.section	.text._ZN7rocprim17ROCPRIM_400000_NS6detail17trampoline_kernelINS0_14default_configENS1_25partition_config_selectorILNS1_17partition_subalgoE8ElNS0_10empty_typeEbEEZZNS1_14partition_implILS5_8ELb0ES3_jPKlPS6_PKS6_NS0_5tupleIJPlS6_EEENSE_IJSB_SB_EEENS0_18inequality_wrapperIN6hipcub16HIPCUB_304000_NS8EqualityEEESF_JS6_EEE10hipError_tPvRmT3_T4_T5_T6_T7_T9_mT8_P12ihipStream_tbDpT10_ENKUlT_T0_E_clISt17integral_constantIbLb0EES15_IbLb1EEEEDaS11_S12_EUlS11_E_NS1_11comp_targetILNS1_3genE0ELNS1_11target_archE4294967295ELNS1_3gpuE0ELNS1_3repE0EEENS1_30default_config_static_selectorELNS0_4arch9wavefront6targetE1EEEvT1_,"axG",@progbits,_ZN7rocprim17ROCPRIM_400000_NS6detail17trampoline_kernelINS0_14default_configENS1_25partition_config_selectorILNS1_17partition_subalgoE8ElNS0_10empty_typeEbEEZZNS1_14partition_implILS5_8ELb0ES3_jPKlPS6_PKS6_NS0_5tupleIJPlS6_EEENSE_IJSB_SB_EEENS0_18inequality_wrapperIN6hipcub16HIPCUB_304000_NS8EqualityEEESF_JS6_EEE10hipError_tPvRmT3_T4_T5_T6_T7_T9_mT8_P12ihipStream_tbDpT10_ENKUlT_T0_E_clISt17integral_constantIbLb0EES15_IbLb1EEEEDaS11_S12_EUlS11_E_NS1_11comp_targetILNS1_3genE0ELNS1_11target_archE4294967295ELNS1_3gpuE0ELNS1_3repE0EEENS1_30default_config_static_selectorELNS0_4arch9wavefront6targetE1EEEvT1_,comdat
	.protected	_ZN7rocprim17ROCPRIM_400000_NS6detail17trampoline_kernelINS0_14default_configENS1_25partition_config_selectorILNS1_17partition_subalgoE8ElNS0_10empty_typeEbEEZZNS1_14partition_implILS5_8ELb0ES3_jPKlPS6_PKS6_NS0_5tupleIJPlS6_EEENSE_IJSB_SB_EEENS0_18inequality_wrapperIN6hipcub16HIPCUB_304000_NS8EqualityEEESF_JS6_EEE10hipError_tPvRmT3_T4_T5_T6_T7_T9_mT8_P12ihipStream_tbDpT10_ENKUlT_T0_E_clISt17integral_constantIbLb0EES15_IbLb1EEEEDaS11_S12_EUlS11_E_NS1_11comp_targetILNS1_3genE0ELNS1_11target_archE4294967295ELNS1_3gpuE0ELNS1_3repE0EEENS1_30default_config_static_selectorELNS0_4arch9wavefront6targetE1EEEvT1_ ; -- Begin function _ZN7rocprim17ROCPRIM_400000_NS6detail17trampoline_kernelINS0_14default_configENS1_25partition_config_selectorILNS1_17partition_subalgoE8ElNS0_10empty_typeEbEEZZNS1_14partition_implILS5_8ELb0ES3_jPKlPS6_PKS6_NS0_5tupleIJPlS6_EEENSE_IJSB_SB_EEENS0_18inequality_wrapperIN6hipcub16HIPCUB_304000_NS8EqualityEEESF_JS6_EEE10hipError_tPvRmT3_T4_T5_T6_T7_T9_mT8_P12ihipStream_tbDpT10_ENKUlT_T0_E_clISt17integral_constantIbLb0EES15_IbLb1EEEEDaS11_S12_EUlS11_E_NS1_11comp_targetILNS1_3genE0ELNS1_11target_archE4294967295ELNS1_3gpuE0ELNS1_3repE0EEENS1_30default_config_static_selectorELNS0_4arch9wavefront6targetE1EEEvT1_
	.globl	_ZN7rocprim17ROCPRIM_400000_NS6detail17trampoline_kernelINS0_14default_configENS1_25partition_config_selectorILNS1_17partition_subalgoE8ElNS0_10empty_typeEbEEZZNS1_14partition_implILS5_8ELb0ES3_jPKlPS6_PKS6_NS0_5tupleIJPlS6_EEENSE_IJSB_SB_EEENS0_18inequality_wrapperIN6hipcub16HIPCUB_304000_NS8EqualityEEESF_JS6_EEE10hipError_tPvRmT3_T4_T5_T6_T7_T9_mT8_P12ihipStream_tbDpT10_ENKUlT_T0_E_clISt17integral_constantIbLb0EES15_IbLb1EEEEDaS11_S12_EUlS11_E_NS1_11comp_targetILNS1_3genE0ELNS1_11target_archE4294967295ELNS1_3gpuE0ELNS1_3repE0EEENS1_30default_config_static_selectorELNS0_4arch9wavefront6targetE1EEEvT1_
	.p2align	8
	.type	_ZN7rocprim17ROCPRIM_400000_NS6detail17trampoline_kernelINS0_14default_configENS1_25partition_config_selectorILNS1_17partition_subalgoE8ElNS0_10empty_typeEbEEZZNS1_14partition_implILS5_8ELb0ES3_jPKlPS6_PKS6_NS0_5tupleIJPlS6_EEENSE_IJSB_SB_EEENS0_18inequality_wrapperIN6hipcub16HIPCUB_304000_NS8EqualityEEESF_JS6_EEE10hipError_tPvRmT3_T4_T5_T6_T7_T9_mT8_P12ihipStream_tbDpT10_ENKUlT_T0_E_clISt17integral_constantIbLb0EES15_IbLb1EEEEDaS11_S12_EUlS11_E_NS1_11comp_targetILNS1_3genE0ELNS1_11target_archE4294967295ELNS1_3gpuE0ELNS1_3repE0EEENS1_30default_config_static_selectorELNS0_4arch9wavefront6targetE1EEEvT1_,@function
_ZN7rocprim17ROCPRIM_400000_NS6detail17trampoline_kernelINS0_14default_configENS1_25partition_config_selectorILNS1_17partition_subalgoE8ElNS0_10empty_typeEbEEZZNS1_14partition_implILS5_8ELb0ES3_jPKlPS6_PKS6_NS0_5tupleIJPlS6_EEENSE_IJSB_SB_EEENS0_18inequality_wrapperIN6hipcub16HIPCUB_304000_NS8EqualityEEESF_JS6_EEE10hipError_tPvRmT3_T4_T5_T6_T7_T9_mT8_P12ihipStream_tbDpT10_ENKUlT_T0_E_clISt17integral_constantIbLb0EES15_IbLb1EEEEDaS11_S12_EUlS11_E_NS1_11comp_targetILNS1_3genE0ELNS1_11target_archE4294967295ELNS1_3gpuE0ELNS1_3repE0EEENS1_30default_config_static_selectorELNS0_4arch9wavefront6targetE1EEEvT1_: ; @_ZN7rocprim17ROCPRIM_400000_NS6detail17trampoline_kernelINS0_14default_configENS1_25partition_config_selectorILNS1_17partition_subalgoE8ElNS0_10empty_typeEbEEZZNS1_14partition_implILS5_8ELb0ES3_jPKlPS6_PKS6_NS0_5tupleIJPlS6_EEENSE_IJSB_SB_EEENS0_18inequality_wrapperIN6hipcub16HIPCUB_304000_NS8EqualityEEESF_JS6_EEE10hipError_tPvRmT3_T4_T5_T6_T7_T9_mT8_P12ihipStream_tbDpT10_ENKUlT_T0_E_clISt17integral_constantIbLb0EES15_IbLb1EEEEDaS11_S12_EUlS11_E_NS1_11comp_targetILNS1_3genE0ELNS1_11target_archE4294967295ELNS1_3gpuE0ELNS1_3repE0EEENS1_30default_config_static_selectorELNS0_4arch9wavefront6targetE1EEEvT1_
; %bb.0:
	s_load_dwordx2 s[24:25], s[0:1], 0x28
	s_load_dwordx4 s[20:23], s[0:1], 0x40
	s_load_dwordx2 s[8:9], s[0:1], 0x50
	s_load_dwordx2 s[30:31], s[0:1], 0x60
	v_cmp_ne_u32_e64 s[2:3], 0, v0
	v_cmp_eq_u32_e64 s[18:19], 0, v0
	s_and_saveexec_b64 s[4:5], s[18:19]
	s_cbranch_execz .LBB250_4
; %bb.1:
	s_mov_b64 s[10:11], exec
	v_mbcnt_lo_u32_b32 v1, s10, 0
	v_mbcnt_hi_u32_b32 v1, s11, v1
	v_cmp_eq_u32_e32 vcc, 0, v1
                                        ; implicit-def: $vgpr2
	s_and_saveexec_b64 s[6:7], vcc
	s_cbranch_execz .LBB250_3
; %bb.2:
	s_load_dwordx2 s[12:13], s[0:1], 0x70
	s_bcnt1_i32_b64 s10, s[10:11]
	v_mov_b32_e32 v2, 0
	v_mov_b32_e32 v3, s10
	s_waitcnt lgkmcnt(0)
	global_atomic_add v2, v2, v3, s[12:13] sc0
.LBB250_3:
	s_or_b64 exec, exec, s[6:7]
	s_waitcnt vmcnt(0)
	v_readfirstlane_b32 s6, v2
	v_mov_b32_e32 v2, 0
	s_nop 0
	v_add_u32_e32 v1, s6, v1
	ds_write_b32 v2, v1
.LBB250_4:
	s_or_b64 exec, exec, s[4:5]
	v_mov_b32_e32 v3, 0
	s_load_dwordx4 s[4:7], s[0:1], 0x8
	s_load_dword s10, s[0:1], 0x68
	s_waitcnt lgkmcnt(0)
	s_barrier
	ds_read_b32 v1, v3
	s_waitcnt lgkmcnt(0)
	s_barrier
	global_load_dwordx2 v[4:5], v3, s[22:23]
	s_lshl_b64 s[12:13], s[6:7], 3
	s_mul_i32 s11, s10, 0xe00
	s_add_u32 s4, s4, s12
	s_addc_u32 s5, s5, s13
	s_add_i32 s12, s10, -1
	s_add_i32 s10, s11, s6
	s_sub_i32 s38, s8, s10
	s_add_u32 s10, s6, s11
	s_addc_u32 s11, s7, 0
	v_readfirstlane_b32 s33, v1
	v_mov_b64_e32 v[6:7], s[10:11]
	s_cmp_eq_u32 s33, s12
	s_movk_i32 s14, 0xe00
	v_cmp_le_u64_e32 vcc, s[8:9], v[6:7]
	s_cselect_b64 s[26:27], -1, 0
	v_mul_lo_u32 v2, v1, s14
	s_and_b64 s[16:17], vcc, s[26:27]
	v_lshlrev_b64 v[6:7], 3, v[2:3]
	s_xor_b64 s[28:29], s[16:17], -1
	s_mov_b64 s[0:1], -1
	v_lshlrev_b32_e32 v22, 3, v0
	v_lshl_add_u64 v[24:25], s[4:5], 0, v[6:7]
	s_and_b64 vcc, exec, s[28:29]
	s_waitcnt vmcnt(0)
	v_readfirstlane_b32 s22, v4
	v_readfirstlane_b32 s23, v5
	s_cbranch_vccz .LBB250_6
; %bb.5:
	v_lshlrev_b32_e32 v2, 3, v0
	v_lshl_add_u64 v[4:5], v[24:25], 0, v[2:3]
	v_add_co_u32_e32 v8, vcc, 0x1000, v4
	v_readfirstlane_b32 s0, v24
	s_nop 0
	v_addc_co_u32_e32 v9, vcc, 0, v5, vcc
	v_add_co_u32_e32 v10, vcc, 0x2000, v4
	v_readfirstlane_b32 s1, v25
	s_nop 0
	v_addc_co_u32_e32 v11, vcc, 0, v5, vcc
	v_add_co_u32_e32 v12, vcc, 0x3000, v4
	s_nop 1
	v_addc_co_u32_e32 v13, vcc, 0, v5, vcc
	v_add_co_u32_e32 v14, vcc, 0x4000, v4
	global_load_dwordx2 v[6:7], v2, s[0:1]
	s_nop 0
	v_addc_co_u32_e32 v15, vcc, 0, v5, vcc
	global_load_dwordx2 v[16:17], v[8:9], off
	global_load_dwordx2 v[18:19], v[10:11], off
	;; [unrolled: 1-line block ×4, first 2 shown]
	v_add_co_u32_e32 v8, vcc, 0x5000, v4
	s_mov_b64 s[0:1], 0
	s_nop 0
	v_addc_co_u32_e32 v9, vcc, 0, v5, vcc
	v_add_co_u32_e32 v4, vcc, 0x6000, v4
	s_nop 1
	v_addc_co_u32_e32 v5, vcc, 0, v5, vcc
	global_load_dwordx2 v[10:11], v[8:9], off
	global_load_dwordx2 v[12:13], v[4:5], off
	s_waitcnt vmcnt(5)
	ds_write2st64_b64 v2, v[6:7], v[16:17] offset1:8
	s_waitcnt vmcnt(3)
	ds_write2st64_b64 v2, v[18:19], v[20:21] offset0:16 offset1:24
	s_waitcnt vmcnt(1)
	ds_write2st64_b64 v2, v[26:27], v[10:11] offset0:32 offset1:40
	s_waitcnt vmcnt(0)
	ds_write_b64 v2, v[12:13] offset:24576
	s_waitcnt lgkmcnt(0)
	s_barrier
.LBB250_6:
	s_andn2_b64 vcc, exec, s[0:1]
	s_addk_i32 s38, 0xe00
	s_cbranch_vccnz .LBB250_22
; %bb.7:
	v_mov_b32_e32 v2, 0
	v_cmp_gt_u32_e32 vcc, s38, v0
	v_mov_b32_e32 v3, v2
	v_mov_b32_e32 v4, v2
	;; [unrolled: 1-line block ×13, first 2 shown]
	s_and_saveexec_b64 s[0:1], vcc
	s_cbranch_execz .LBB250_9
; %bb.8:
	v_lshlrev_b32_e32 v1, 3, v0
	v_readfirstlane_b32 s4, v24
	v_readfirstlane_b32 s5, v25
	v_mov_b32_e32 v6, v2
	v_mov_b32_e32 v7, v2
	;; [unrolled: 1-line block ×5, first 2 shown]
	global_load_dwordx2 v[4:5], v1, s[4:5]
	v_mov_b32_e32 v11, v2
	v_mov_b32_e32 v12, v2
	;; [unrolled: 1-line block ×7, first 2 shown]
	s_waitcnt vmcnt(0)
	v_mov_b64_e32 v[2:3], v[4:5]
	v_mov_b64_e32 v[4:5], v[6:7]
	v_mov_b64_e32 v[6:7], v[8:9]
	v_mov_b64_e32 v[8:9], v[10:11]
	v_mov_b64_e32 v[10:11], v[12:13]
	v_mov_b64_e32 v[12:13], v[14:15]
	v_mov_b64_e32 v[14:15], v[16:17]
	v_mov_b64_e32 v[16:17], v[18:19]
.LBB250_9:
	s_or_b64 exec, exec, s[0:1]
	v_or_b32_e32 v1, 0x200, v0
	v_cmp_gt_u32_e32 vcc, s38, v1
	s_and_saveexec_b64 s[0:1], vcc
	s_cbranch_execz .LBB250_11
; %bb.10:
	v_lshlrev_b32_e32 v1, 3, v1
	v_readfirstlane_b32 s4, v24
	v_readfirstlane_b32 s5, v25
	s_nop 4
	global_load_dwordx2 v[4:5], v1, s[4:5]
.LBB250_11:
	s_or_b64 exec, exec, s[0:1]
	v_or_b32_e32 v1, 0x400, v0
	v_cmp_gt_u32_e32 vcc, s38, v1
	s_and_saveexec_b64 s[0:1], vcc
	s_cbranch_execz .LBB250_13
; %bb.12:
	v_lshlrev_b32_e32 v1, 3, v1
	v_readfirstlane_b32 s4, v24
	v_readfirstlane_b32 s5, v25
	s_nop 4
	global_load_dwordx2 v[6:7], v1, s[4:5]
.LBB250_13:
	;; [unrolled: 12-line block ×6, first 2 shown]
	s_or_b64 exec, exec, s[0:1]
	v_lshlrev_b32_e32 v1, 3, v0
	s_waitcnt vmcnt(0)
	ds_write2st64_b64 v1, v[2:3], v[4:5] offset1:8
	ds_write2st64_b64 v1, v[6:7], v[8:9] offset0:16 offset1:24
	ds_write2st64_b64 v1, v[10:11], v[12:13] offset0:32 offset1:40
	ds_write_b64 v1, v[14:15] offset:24576
	s_waitcnt lgkmcnt(0)
	s_barrier
.LBB250_22:
	v_mul_u32_u24_e32 v28, 7, v0
	v_lshlrev_b32_e32 v33, 3, v28
	ds_read2_b64 v[10:13], v33 offset0:2 offset1:3
	ds_read2_b64 v[6:9], v33 offset0:3 offset1:4
	ds_read2_b64 v[14:17], v33 offset1:1
	ds_read2_b64 v[18:21], v33 offset0:1 offset1:2
	ds_read2_b64 v[2:5], v33 offset0:5 offset1:6
	s_cmp_lg_u32 s33, 0
	s_cselect_b64 s[34:35], -1, 0
	s_cmp_lg_u64 s[6:7], 0
	s_cselect_b64 s[0:1], -1, 0
	s_or_b64 s[0:1], s[0:1], s[34:35]
	s_mov_b64 s[36:37], 0
	s_and_b64 vcc, exec, s[0:1]
	s_waitcnt lgkmcnt(0)
	s_barrier
	s_cbranch_vccz .LBB250_27
; %bb.23:
	global_load_dwordx2 v[24:25], v[24:25], off offset:-8
	v_lshlrev_b32_e32 v30, 3, v0
	s_and_b64 vcc, exec, s[28:29]
	ds_write_b64 v30, v[4:5]
	s_cbranch_vccz .LBB250_29
; %bb.24:
	s_waitcnt vmcnt(0)
	v_mov_b64_e32 v[26:27], v[24:25]
	s_waitcnt lgkmcnt(0)
	s_barrier
	s_and_saveexec_b64 s[0:1], s[2:3]
; %bb.25:
	v_add_u32_e32 v1, -8, v30
	ds_read_b64 v[26:27], v1
; %bb.26:
	s_or_b64 exec, exec, s[0:1]
	v_cmp_ne_u64_e32 vcc, v[2:3], v[4:5]
	s_waitcnt lgkmcnt(0)
	v_cmp_ne_u64_e64 s[0:1], v[26:27], v[14:15]
	v_cndmask_b32_e64 v1, 0, 1, vcc
	v_cmp_ne_u64_e32 vcc, v[8:9], v[2:3]
	s_nop 1
	v_cndmask_b32_e64 v23, 0, 1, vcc
	v_cmp_ne_u64_e32 vcc, v[12:13], v[8:9]
	s_nop 1
	;; [unrolled: 3-line block ×3, first 2 shown]
	v_cndmask_b32_e64 v31, 0, 1, vcc
	v_cmp_ne_u64_e32 vcc, v[16:17], v[10:11]
	v_lshlrev_b16_e32 v26, 8, v31
	s_nop 0
	v_cndmask_b32_e64 v32, 0, 1, vcc
	v_cmp_ne_u64_e32 vcc, v[14:15], v[16:17]
	v_or_b32_sdwa v26, v32, v26 dst_sel:WORD_1 dst_unused:UNUSED_PAD src0_sel:DWORD src1_sel:DWORD
	s_nop 0
	v_cndmask_b32_e64 v34, 0, 1, vcc
	v_lshlrev_b16_e32 v27, 8, v34
	v_or_b32_e32 v27, v27, v26
	s_branch .LBB250_33
.LBB250_27:
                                        ; implicit-def: $sgpr0_sgpr1
                                        ; implicit-def: $vgpr1
                                        ; implicit-def: $vgpr23
                                        ; implicit-def: $vgpr29
                                        ; implicit-def: $vgpr27
	s_branch .LBB250_34
.LBB250_28:
                                        ; implicit-def: $vgpr24
                                        ; implicit-def: $vgpr41
                                        ; implicit-def: $vgpr40
                                        ; implicit-def: $vgpr26
	s_branch .LBB250_42
.LBB250_29:
                                        ; implicit-def: $sgpr0_sgpr1
                                        ; implicit-def: $vgpr1
                                        ; implicit-def: $vgpr23
                                        ; implicit-def: $vgpr29
                                        ; implicit-def: $vgpr27
	s_cbranch_execz .LBB250_33
; %bb.30:
	s_waitcnt lgkmcnt(0)
	s_barrier
	s_and_saveexec_b64 s[0:1], s[2:3]
	s_cbranch_execz .LBB250_32
; %bb.31:
	v_add_u32_e32 v1, -8, v30
	s_waitcnt vmcnt(0)
	ds_read_b64 v[24:25], v1
.LBB250_32:
	s_or_b64 exec, exec, s[0:1]
	v_add_u32_e32 v1, 6, v28
	v_cmp_gt_u32_e32 vcc, s38, v1
	v_cmp_ne_u64_e64 s[0:1], v[2:3], v[4:5]
	s_and_b64 s[0:1], vcc, s[0:1]
	v_add_u32_e32 v23, 5, v28
	v_cndmask_b32_e64 v1, 0, 1, s[0:1]
	v_cmp_gt_u32_e32 vcc, s38, v23
	v_cmp_ne_u64_e64 s[0:1], v[8:9], v[2:3]
	s_and_b64 s[0:1], vcc, s[0:1]
	v_add_u32_e32 v26, 4, v28
	v_cndmask_b32_e64 v23, 0, 1, s[0:1]
	;; [unrolled: 5-line block ×5, first 2 shown]
	v_cmp_gt_u32_e32 vcc, s38, v30
	v_cmp_ne_u64_e64 s[0:1], v[14:15], v[16:17]
	s_and_b64 s[0:1], vcc, s[0:1]
	v_cmp_gt_u32_e32 vcc, s38, v28
	v_cndmask_b32_e64 v30, 0, 1, s[0:1]
	s_waitcnt vmcnt(0) lgkmcnt(0)
	v_cmp_ne_u64_e64 s[0:1], v[24:25], v[14:15]
	v_lshlrev_b16_e32 v24, 8, v26
	v_or_b32_sdwa v24, v27, v24 dst_sel:WORD_1 dst_unused:UNUSED_PAD src0_sel:DWORD src1_sel:DWORD
	v_lshlrev_b16_e32 v25, 8, v30
	s_and_b64 s[0:1], vcc, s[0:1]
	v_or_b32_e32 v27, v25, v24
.LBB250_33:
	s_mov_b64 s[36:37], -1
	s_cbranch_execnz .LBB250_28
.LBB250_34:
	s_movk_i32 s0, 0xffd0
	v_mad_i32_i24 v30, v0, s0, v33
	s_and_b64 vcc, exec, s[28:29]
	v_cmp_ne_u64_e64 s[0:1], v[2:3], v[4:5]
	ds_write_b64 v30, v[4:5]
	s_cbranch_vccz .LBB250_38
; %bb.35:
	v_cmp_ne_u64_e32 vcc, v[8:9], v[2:3]
	v_cndmask_b32_e64 v1, 0, 1, s[0:1]
	s_waitcnt vmcnt(0)
	v_mov_b32_e32 v24, 1
	v_cndmask_b32_e64 v23, 0, 1, vcc
	v_cmp_ne_u64_e32 vcc, v[12:13], v[8:9]
	s_waitcnt lgkmcnt(0)
	s_barrier
	v_cndmask_b32_e64 v25, 0, 1, vcc
	v_cmp_ne_u64_e32 vcc, v[14:15], v[16:17]
                                        ; implicit-def: $sgpr0_sgpr1
                                        ; implicit-def: $vgpr27
	s_nop 1
	v_cndmask_b32_e64 v41, 0, 1, vcc
	v_cmp_ne_u64_e32 vcc, v[16:17], v[10:11]
	s_nop 1
	v_cndmask_b32_e64 v40, 0, 1, vcc
	v_cmp_ne_u64_e32 vcc, v[10:11], v[12:13]
	s_nop 1
	v_cndmask_b32_e64 v26, 0, 1, vcc
	s_and_saveexec_b64 s[4:5], s[2:3]
	s_xor_b64 s[4:5], exec, s[4:5]
	s_cbranch_execz .LBB250_37
; %bb.36:
	v_add_u32_e32 v29, -8, v30
	ds_read_b64 v[34:35], v29
	v_lshlrev_b16_e32 v27, 8, v26
	v_lshlrev_b16_e32 v29, 8, v41
	v_or_b32_sdwa v27, v40, v27 dst_sel:WORD_1 dst_unused:UNUSED_PAD src0_sel:DWORD src1_sel:DWORD
	v_or_b32_e32 v29, 1, v29
	v_or_b32_sdwa v27, v29, v27 dst_sel:DWORD dst_unused:UNUSED_PAD src0_sel:WORD_0 src1_sel:DWORD
	s_mov_b32 s6, 0x3020104
	s_waitcnt lgkmcnt(0)
	v_cmp_ne_u64_e64 s[0:1], v[34:35], v[14:15]
	v_perm_b32 v27, v27, v27, s6
	s_or_b64 s[36:37], s[36:37], exec
.LBB250_37:
	s_or_b64 exec, exec, s[4:5]
	v_mov_b32_e32 v29, v25
	s_branch .LBB250_42
.LBB250_38:
                                        ; implicit-def: $sgpr0_sgpr1
                                        ; implicit-def: $vgpr1
                                        ; implicit-def: $vgpr23
                                        ; implicit-def: $vgpr29
                                        ; implicit-def: $vgpr27
                                        ; implicit-def: $vgpr24
                                        ; implicit-def: $vgpr41
                                        ; implicit-def: $vgpr40
                                        ; implicit-def: $vgpr26
	s_cbranch_execz .LBB250_42
; %bb.39:
	v_add_u32_e32 v1, 6, v28
	v_cmp_gt_u32_e32 vcc, s38, v1
	v_cmp_ne_u64_e64 s[0:1], v[2:3], v[4:5]
	s_and_b64 s[0:1], vcc, s[0:1]
	v_add_u32_e32 v23, 5, v28
	v_cndmask_b32_e64 v1, 0, 1, s[0:1]
	v_cmp_gt_u32_e32 vcc, s38, v23
	v_cmp_ne_u64_e64 s[0:1], v[8:9], v[2:3]
	s_and_b64 s[0:1], vcc, s[0:1]
	v_add_u32_e32 v26, 1, v28
	v_cndmask_b32_e64 v23, 0, 1, s[0:1]
	s_waitcnt vmcnt(0)
	v_add_u32_e32 v25, 4, v28
	v_cmp_ne_u64_e64 s[0:1], v[14:15], v[18:19]
	v_cmp_gt_u32_e64 s[10:11], s38, v26
	v_add_u32_e32 v24, 3, v28
	v_cmp_ne_u64_e64 s[4:5], v[12:13], v[8:9]
	v_cmp_gt_u32_e64 s[12:13], s38, v25
	s_and_b64 s[0:1], s[10:11], s[0:1]
	v_add_u32_e32 v27, 2, v28
	v_cmp_ne_u64_e64 s[6:7], v[10:11], v[6:7]
	v_cmp_gt_u32_e64 s[14:15], s38, v24
	v_cndmask_b32_e64 v7, 0, 1, s[0:1]
	s_and_b64 s[0:1], s[12:13], s[4:5]
	v_cmp_ne_u64_e32 vcc, v[16:17], v[20:21]
	v_cmp_gt_u32_e64 s[8:9], s38, v27
	v_cndmask_b32_e64 v21, 0, 1, s[0:1]
	s_and_b64 s[0:1], s[14:15], s[6:7]
	s_and_b64 s[8:9], s[8:9], vcc
	v_lshlrev_b16_e32 v18, 8, v21
	v_cndmask_b32_e64 v25, 0, 1, s[0:1]
	v_cndmask_b32_e64 v20, 0, 1, s[8:9]
	v_or_b32_e32 v26, v25, v18
	v_lshlrev_b16_e32 v6, 8, v20
	v_lshlrev_b32_e32 v18, 16, v26
	v_or_b32_e32 v19, v6, v18
	v_mov_b32_e32 v24, 1
	s_waitcnt lgkmcnt(0)
	s_barrier
                                        ; implicit-def: $sgpr0_sgpr1
                                        ; implicit-def: $vgpr29
                                        ; implicit-def: $vgpr27
	s_and_saveexec_b64 s[4:5], s[2:3]
	s_cbranch_execz .LBB250_41
; %bb.40:
	v_lshlrev_b16_e32 v29, 8, v23
	v_or_b32_e32 v21, v21, v29
	v_lshlrev_b16_e32 v25, 8, v25
	v_and_b32_e32 v21, 0xffff, v21
	v_mov_b32_e32 v31, 8
	v_lshl_or_b32 v29, v1, 16, v21
	v_lshrrev_b32_sdwa v21, v31, v25 dst_sel:BYTE_1 dst_unused:UNUSED_PAD src0_sel:DWORD src1_sel:DWORD
	v_lshlrev_b16_e32 v27, 8, v7
	v_or_b32_sdwa v25, v20, v21 dst_sel:WORD_1 dst_unused:UNUSED_PAD src0_sel:DWORD src1_sel:DWORD
	v_add_u32_e32 v20, -8, v30
	ds_read_b64 v[20:21], v20
	v_lshrrev_b32_sdwa v27, v31, v27 dst_sel:BYTE_1 dst_unused:UNUSED_PAD src0_sel:DWORD src1_sel:DWORD
	v_cmp_gt_u32_e32 vcc, s38, v28
	v_or_b32_e32 v27, 1, v27
	v_or_b32_sdwa v25, v27, v25 dst_sel:DWORD dst_unused:UNUSED_PAD src0_sel:WORD_0 src1_sel:DWORD
	s_waitcnt lgkmcnt(0)
	v_cmp_ne_u64_e64 s[0:1], v[20:21], v[14:15]
	s_mov_b32 s2, 0x3020104
	s_and_b64 s[0:1], vcc, s[0:1]
	v_perm_b32 v27, v25, v25, s2
	s_or_b64 s[36:37], s[36:37], exec
.LBB250_41:
	s_or_b64 exec, exec, s[4:5]
	v_or_b32_e32 v41, v7, v6
	v_lshrrev_b32_e32 v25, 24, v18
	v_lshrrev_b32_e32 v40, 8, v19
.LBB250_42:
	s_and_saveexec_b64 s[2:3], s[36:37]
	s_cbranch_execz .LBB250_44
; %bb.43:
	v_lshrrev_b32_e32 v26, 24, v27
	v_lshrrev_b32_e32 v40, 16, v27
	;; [unrolled: 1-line block ×3, first 2 shown]
	s_waitcnt vmcnt(0)
	v_cndmask_b32_e64 v24, 0, 1, s[0:1]
	v_mov_b32_e32 v25, v29
.LBB250_44:
	s_or_b64 exec, exec, s[2:3]
	s_andn2_b64 vcc, exec, s[16:17]
	s_cbranch_vccnz .LBB250_48
; %bb.45:
	s_mov_b32 s0, 0xc0c0004
	v_perm_b32 v7, v40, v26, s0
	s_waitcnt vmcnt(0)
	v_perm_b32 v6, v24, v41, s0
	v_lshlrev_b32_e32 v7, 16, v7
	v_or_b32_e32 v6, v6, v7
	v_cmp_gt_u32_e32 vcc, s38, v28
	v_add_u32_e32 v20, 1, v28
	v_perm_b32 v18, v25, v23, s0
	v_cndmask_b32_e32 v7, v7, v6, vcc
	v_and_b32_e32 v7, 0xffff00ff, v7
	v_cmp_gt_u32_e32 vcc, s38, v20
	v_add_u32_e32 v20, 2, v28
	s_mov_b32 s0, 0x40c0100
	v_cndmask_b32_e32 v7, v7, v6, vcc
	v_lshrrev_b32_e32 v21, 24, v7
	v_and_b32_e32 v1, 0xff, v1
	v_perm_b32 v7, v21, v7, s0
	v_cmp_gt_u32_e32 vcc, s38, v20
	v_lshlrev_b32_e32 v1, 16, v1
	v_add_u32_e32 v20, 3, v28
	v_cndmask_b32_e32 v7, v7, v6, vcc
	s_mov_b32 s0, 0xffff00
	v_or_b32_e32 v19, v18, v1
	v_and_b32_e32 v7, 0xffffff, v7
	v_cmp_gt_u32_e32 vcc, s38, v20
	v_bitop3_b32 v1, v18, s0, v1 bitop3:0xc8
	v_add_u32_e32 v18, 4, v28
	v_cndmask_b32_e32 v7, v7, v6, vcc
	v_cmp_gt_u32_e32 vcc, s38, v18
	v_add_u32_e32 v18, 5, v28
	v_cmp_gt_u32_e64 s[0:1], s38, v18
	v_cndmask_b32_e32 v1, v1, v19, vcc
	v_and_b32_e32 v1, 0xffff00ff, v1
	s_or_b64 vcc, s[0:1], vcc
	v_cndmask_b32_e64 v25, v1, v19, s[0:1]
	v_cndmask_b32_e32 v24, v7, v6, vcc
	v_add_u32_e32 v6, 6, v28
	v_lshrrev_b32_e32 v40, 16, v24
	v_lshrrev_b32_e32 v41, 8, v24
	v_lshrrev_b64 v[26:27], 24, v[24:25]
	v_lshrrev_b32_e32 v1, 16, v25
	v_lshrrev_b32_e32 v23, 8, v25
	v_cmp_le_u32_e32 vcc, s38, v6
	s_and_saveexec_b64 s[0:1], vcc
; %bb.46:
	v_mov_b32_e32 v1, 0
; %bb.47:
	s_or_b64 exec, exec, s[0:1]
.LBB250_48:
	s_waitcnt vmcnt(0)
	v_and_b32_e32 v27, 0xff, v24
	v_and_b32_e32 v35, 0xff, v41
	v_and_b32_e32 v37, 0xff, v40
	v_and_b32_e32 v39, 0xff, v26
	v_and_b32_e32 v42, 0xff, v25
	v_add3_u32 v7, v35, v27, v37
	v_and_b32_e32 v43, 0xff, v23
	v_and_b32_e32 v6, 0xff, v1
	v_add3_u32 v7, v7, v39, v42
	v_add3_u32 v46, v7, v43, v6
	v_mbcnt_lo_u32_b32 v6, -1, 0
	v_mbcnt_hi_u32_b32 v44, -1, v6
	v_and_b32_e32 v6, 15, v44
	v_cmp_eq_u32_e64 s[14:15], 0, v6
	v_cmp_lt_u32_e64 s[12:13], 1, v6
	v_cmp_lt_u32_e64 s[10:11], 3, v6
	;; [unrolled: 1-line block ×3, first 2 shown]
	v_and_b32_e32 v6, 16, v44
	v_cmp_eq_u32_e64 s[6:7], 0, v6
	v_or_b32_e32 v6, 63, v0
	v_cmp_lt_u32_e64 s[2:3], 31, v44
	v_lshrrev_b32_e32 v45, 6, v0
	v_cmp_eq_u32_e64 s[4:5], v0, v6
	s_and_b64 vcc, exec, s[34:35]
	s_waitcnt lgkmcnt(0)
	s_barrier
	s_cbranch_vccz .LBB250_70
; %bb.49:
	v_mov_b32_dpp v6, v46 row_shr:1 row_mask:0xf bank_mask:0xf
	v_cndmask_b32_e64 v6, v6, 0, s[14:15]
	v_add_u32_e32 v6, v6, v46
	s_nop 1
	v_mov_b32_dpp v7, v6 row_shr:2 row_mask:0xf bank_mask:0xf
	v_cndmask_b32_e64 v7, 0, v7, s[12:13]
	v_add_u32_e32 v6, v6, v7
	s_nop 1
	v_mov_b32_dpp v7, v6 row_shr:4 row_mask:0xf bank_mask:0xf
	v_cndmask_b32_e64 v7, 0, v7, s[10:11]
	v_add_u32_e32 v6, v6, v7
	s_nop 1
	v_mov_b32_dpp v7, v6 row_shr:8 row_mask:0xf bank_mask:0xf
	v_cndmask_b32_e64 v7, 0, v7, s[8:9]
	v_add_u32_e32 v6, v6, v7
	s_nop 1
	v_mov_b32_dpp v7, v6 row_bcast:15 row_mask:0xf bank_mask:0xf
	v_cndmask_b32_e64 v7, v7, 0, s[6:7]
	v_add_u32_e32 v6, v6, v7
	s_nop 1
	v_mov_b32_dpp v7, v6 row_bcast:31 row_mask:0xf bank_mask:0xf
	v_cndmask_b32_e64 v7, 0, v7, s[2:3]
	v_add_u32_e32 v6, v6, v7
	s_and_saveexec_b64 s[0:1], s[4:5]
; %bb.50:
	v_lshlrev_b32_e32 v7, 2, v45
	ds_write_b32 v7, v6
; %bb.51:
	s_or_b64 exec, exec, s[0:1]
	v_cmp_gt_u32_e32 vcc, 8, v0
	s_waitcnt lgkmcnt(0)
	s_barrier
	s_and_saveexec_b64 s[0:1], vcc
	s_cbranch_execz .LBB250_53
; %bb.52:
	v_lshlrev_b32_e32 v7, 2, v0
	ds_read_b32 v18, v7
	v_and_b32_e32 v19, 7, v44
	v_cmp_ne_u32_e32 vcc, 0, v19
	s_waitcnt lgkmcnt(0)
	v_mov_b32_dpp v20, v18 row_shr:1 row_mask:0xf bank_mask:0xf
	v_cndmask_b32_e32 v20, 0, v20, vcc
	v_add_u32_e32 v18, v20, v18
	v_cmp_lt_u32_e32 vcc, 1, v19
	s_nop 0
	v_mov_b32_dpp v20, v18 row_shr:2 row_mask:0xf bank_mask:0xf
	v_cndmask_b32_e32 v20, 0, v20, vcc
	v_add_u32_e32 v18, v18, v20
	v_cmp_lt_u32_e32 vcc, 3, v19
	s_nop 0
	v_mov_b32_dpp v20, v18 row_shr:4 row_mask:0xf bank_mask:0xf
	v_cndmask_b32_e32 v19, 0, v20, vcc
	v_add_u32_e32 v18, v18, v19
	ds_write_b32 v7, v18
.LBB250_53:
	s_or_b64 exec, exec, s[0:1]
	v_cmp_gt_u32_e32 vcc, 64, v0
	v_cmp_lt_u32_e64 s[0:1], 63, v0
	s_waitcnt lgkmcnt(0)
	s_barrier
                                        ; implicit-def: $vgpr32
	s_and_saveexec_b64 s[16:17], s[0:1]
	s_cbranch_execz .LBB250_55
; %bb.54:
	v_lshl_add_u32 v7, v45, 2, -4
	ds_read_b32 v32, v7
	s_waitcnt lgkmcnt(0)
	v_add_u32_e32 v6, v32, v6
.LBB250_55:
	s_or_b64 exec, exec, s[16:17]
	v_subrev_co_u32_e64 v7, s[16:17], 1, v44
	v_and_b32_e32 v18, 64, v44
	v_cmp_lt_i32_e64 s[0:1], v7, v18
	s_nop 1
	v_cndmask_b32_e64 v7, v7, v44, s[0:1]
	v_lshlrev_b32_e32 v7, 2, v7
	ds_bpermute_b32 v34, v7, v6
	s_and_saveexec_b64 s[0:1], vcc
	s_cbranch_execz .LBB250_75
; %bb.56:
	v_mov_b32_e32 v29, 0
	ds_read_b32 v6, v29 offset:28
	s_and_saveexec_b64 s[34:35], s[16:17]
	s_cbranch_execz .LBB250_58
; %bb.57:
	s_add_i32 s36, s33, 64
	s_mov_b32 s37, 0
	s_lshl_b64 s[36:37], s[36:37], 3
	s_add_u32 s36, s30, s36
	v_mov_b32_e32 v7, 1
	s_addc_u32 s37, s31, s37
	s_waitcnt lgkmcnt(0)
	global_store_dwordx2 v29, v[6:7], s[36:37] sc1
.LBB250_58:
	s_or_b64 exec, exec, s[34:35]
	v_xad_u32 v18, v44, -1, s33
	v_add_u32_e32 v28, 64, v18
	v_lshl_add_u64 v[30:31], v[28:29], 3, s[30:31]
	global_load_dwordx2 v[20:21], v[30:31], off sc1
	s_waitcnt vmcnt(0)
	v_cmp_eq_u16_sdwa s[36:37], v21, v29 src0_sel:BYTE_0 src1_sel:DWORD
	s_and_saveexec_b64 s[34:35], s[36:37]
	s_cbranch_execz .LBB250_62
; %bb.59:
	s_mov_b64 s[36:37], 0
	v_mov_b32_e32 v7, 0
.LBB250_60:                             ; =>This Inner Loop Header: Depth=1
	global_load_dwordx2 v[20:21], v[30:31], off sc1
	s_waitcnt vmcnt(0)
	v_cmp_ne_u16_sdwa s[38:39], v21, v7 src0_sel:BYTE_0 src1_sel:DWORD
	s_or_b64 s[36:37], s[38:39], s[36:37]
	s_andn2_b64 exec, exec, s[36:37]
	s_cbranch_execnz .LBB250_60
; %bb.61:
	s_or_b64 exec, exec, s[36:37]
.LBB250_62:
	s_or_b64 exec, exec, s[34:35]
	v_and_b32_e32 v38, 63, v44
	v_mov_b32_e32 v36, 2
	v_cmp_ne_u32_e32 vcc, 63, v38
	v_cmp_eq_u16_sdwa s[34:35], v21, v36 src0_sel:BYTE_0 src1_sel:DWORD
	v_lshlrev_b64 v[28:29], v44, -1
	v_addc_co_u32_e32 v30, vcc, 0, v44, vcc
	v_and_b32_e32 v7, s35, v29
	v_lshlrev_b32_e32 v47, 2, v30
	v_or_b32_e32 v7, 0x80000000, v7
	ds_bpermute_b32 v30, v47, v20
	v_and_b32_e32 v19, s34, v28
	v_ffbl_b32_e32 v7, v7
	v_add_u32_e32 v7, 32, v7
	v_ffbl_b32_e32 v19, v19
	v_min_u32_e32 v7, v19, v7
	v_cmp_lt_u32_e32 vcc, v38, v7
	v_add_u32_e32 v49, 2, v38
	v_add_u32_e32 v51, 4, v38
	s_waitcnt lgkmcnt(0)
	v_cndmask_b32_e32 v19, 0, v30, vcc
	v_cmp_gt_u32_e32 vcc, 62, v38
	v_add_u32_e32 v19, v19, v20
	v_add_u32_e32 v53, 8, v38
	v_cndmask_b32_e64 v20, 0, 2, vcc
	v_add_lshl_u32 v48, v20, v44, 2
	ds_bpermute_b32 v20, v48, v19
	v_cmp_le_u32_e32 vcc, v49, v7
	v_add_u32_e32 v55, 16, v38
	v_add_u32_e32 v57, 32, v38
	s_waitcnt lgkmcnt(0)
	v_cndmask_b32_e32 v20, 0, v20, vcc
	v_cmp_gt_u32_e32 vcc, 60, v38
	v_add_u32_e32 v19, v19, v20
	s_nop 0
	v_cndmask_b32_e64 v20, 0, 4, vcc
	v_add_lshl_u32 v50, v20, v44, 2
	ds_bpermute_b32 v20, v50, v19
	v_cmp_le_u32_e32 vcc, v51, v7
	s_waitcnt lgkmcnt(0)
	s_nop 0
	v_cndmask_b32_e32 v20, 0, v20, vcc
	v_cmp_gt_u32_e32 vcc, 56, v38
	v_add_u32_e32 v19, v19, v20
	s_nop 0
	v_cndmask_b32_e64 v20, 0, 8, vcc
	v_add_lshl_u32 v52, v20, v44, 2
	ds_bpermute_b32 v20, v52, v19
	v_cmp_le_u32_e32 vcc, v53, v7
	s_waitcnt lgkmcnt(0)
	s_nop 0
	;; [unrolled: 10-line block ×3, first 2 shown]
	v_cndmask_b32_e32 v20, 0, v20, vcc
	v_add_u32_e32 v19, v19, v20
	v_mov_b32_e32 v20, 0x80
	v_lshl_or_b32 v56, v44, 2, v20
	ds_bpermute_b32 v20, v56, v19
	v_cmp_le_u32_e32 vcc, v57, v7
	s_waitcnt lgkmcnt(0)
	s_nop 0
	v_cndmask_b32_e32 v7, 0, v20, vcc
	v_add_u32_e32 v20, v19, v7
	v_mov_b32_e32 v19, 0
	s_branch .LBB250_65
.LBB250_63:                             ;   in Loop: Header=BB250_65 Depth=1
	s_or_b64 exec, exec, s[34:35]
	v_cmp_eq_u16_sdwa s[34:35], v21, v36 src0_sel:BYTE_0 src1_sel:DWORD
	ds_bpermute_b32 v58, v47, v20
	v_subrev_u32_e32 v18, 64, v18
	v_and_b32_e32 v30, s35, v29
	v_or_b32_e32 v30, 0x80000000, v30
	v_and_b32_e32 v31, s34, v28
	v_ffbl_b32_e32 v30, v30
	v_add_u32_e32 v30, 32, v30
	v_ffbl_b32_e32 v31, v31
	v_min_u32_e32 v30, v31, v30
	v_cmp_lt_u32_e32 vcc, v38, v30
	s_mov_b64 s[34:35], 0
	s_waitcnt lgkmcnt(0)
	v_cndmask_b32_e32 v31, 0, v58, vcc
	v_add_u32_e32 v20, v31, v20
	ds_bpermute_b32 v31, v48, v20
	v_cmp_le_u32_e32 vcc, v49, v30
	s_waitcnt lgkmcnt(0)
	s_nop 0
	v_cndmask_b32_e32 v31, 0, v31, vcc
	v_add_u32_e32 v20, v20, v31
	ds_bpermute_b32 v31, v50, v20
	v_cmp_le_u32_e32 vcc, v51, v30
	s_waitcnt lgkmcnt(0)
	s_nop 0
	;; [unrolled: 6-line block ×5, first 2 shown]
	v_cndmask_b32_e32 v30, 0, v31, vcc
	v_add3_u32 v20, v30, v7, v20
.LBB250_64:                             ;   in Loop: Header=BB250_65 Depth=1
	s_and_b64 vcc, exec, s[34:35]
	s_cbranch_vccnz .LBB250_71
.LBB250_65:                             ; =>This Loop Header: Depth=1
                                        ;     Child Loop BB250_68 Depth 2
	v_cmp_ne_u16_sdwa s[34:35], v21, v36 src0_sel:BYTE_0 src1_sel:DWORD
	v_mov_b32_e32 v7, v20
	s_cmp_lg_u64 s[34:35], exec
	s_mov_b64 s[34:35], -1
                                        ; implicit-def: $vgpr20
                                        ; implicit-def: $vgpr21
	s_cbranch_scc1 .LBB250_64
; %bb.66:                               ;   in Loop: Header=BB250_65 Depth=1
	v_lshl_add_u64 v[30:31], v[18:19], 3, s[30:31]
	global_load_dwordx2 v[20:21], v[30:31], off sc1
	s_waitcnt vmcnt(0)
	v_cmp_eq_u16_sdwa s[36:37], v21, v19 src0_sel:BYTE_0 src1_sel:DWORD
	s_and_saveexec_b64 s[34:35], s[36:37]
	s_cbranch_execz .LBB250_63
; %bb.67:                               ;   in Loop: Header=BB250_65 Depth=1
	s_mov_b64 s[36:37], 0
.LBB250_68:                             ;   Parent Loop BB250_65 Depth=1
                                        ; =>  This Inner Loop Header: Depth=2
	global_load_dwordx2 v[20:21], v[30:31], off sc1
	s_waitcnt vmcnt(0)
	v_cmp_ne_u16_sdwa s[38:39], v21, v19 src0_sel:BYTE_0 src1_sel:DWORD
	s_or_b64 s[36:37], s[38:39], s[36:37]
	s_andn2_b64 exec, exec, s[36:37]
	s_cbranch_execnz .LBB250_68
; %bb.69:                               ;   in Loop: Header=BB250_65 Depth=1
	s_or_b64 exec, exec, s[36:37]
	s_branch .LBB250_63
.LBB250_70:
                                        ; implicit-def: $vgpr18
                                        ; implicit-def: $vgpr6
                                        ; implicit-def: $vgpr20
                                        ; implicit-def: $vgpr28
                                        ; implicit-def: $vgpr30
                                        ; implicit-def: $vgpr32
                                        ; implicit-def: $vgpr34
                                        ; implicit-def: $vgpr36
                                        ; implicit-def: $vgpr38
	s_cbranch_execnz .LBB250_76
	s_branch .LBB250_85
.LBB250_71:
	s_and_saveexec_b64 s[34:35], s[16:17]
	s_cbranch_execz .LBB250_73
; %bb.72:
	s_add_i32 s36, s33, 64
	s_mov_b32 s37, 0
	s_lshl_b64 s[36:37], s[36:37], 3
	s_add_u32 s36, s30, s36
	v_add_u32_e32 v18, v7, v6
	v_mov_b32_e32 v19, 2
	s_addc_u32 s37, s31, s37
	v_mov_b32_e32 v20, 0
	global_store_dwordx2 v20, v[18:19], s[36:37] sc1
	ds_write_b64 v20, v[6:7] offset:28672
.LBB250_73:
	s_or_b64 exec, exec, s[34:35]
	s_and_b64 exec, exec, s[18:19]
; %bb.74:
	v_mov_b32_e32 v6, 0
	ds_write_b32 v6, v7 offset:28
.LBB250_75:
	s_or_b64 exec, exec, s[0:1]
	v_mov_b32_e32 v6, 0
	s_waitcnt lgkmcnt(0)
	s_barrier
	ds_read_b32 v7, v6 offset:28
	v_cndmask_b32_e64 v18, v34, v32, s[16:17]
	v_cndmask_b32_e64 v18, v18, 0, s[18:19]
	s_waitcnt lgkmcnt(0)
	s_barrier
	v_add_u32_e32 v38, v7, v18
	v_add_u32_e32 v36, v38, v27
	ds_read_b64 v[6:7], v6 offset:28672
	v_add_u32_e32 v34, v36, v35
	v_add_u32_e32 v32, v34, v37
	;; [unrolled: 1-line block ×5, first 2 shown]
	s_waitcnt lgkmcnt(0)
	v_mov_b32_e32 v18, v7
	s_branch .LBB250_85
.LBB250_76:
	v_mov_b32_dpp v6, v46 row_shr:1 row_mask:0xf bank_mask:0xf
	v_cndmask_b32_e64 v6, v6, 0, s[14:15]
	v_add_u32_e32 v6, v6, v46
	s_nop 1
	v_mov_b32_dpp v7, v6 row_shr:2 row_mask:0xf bank_mask:0xf
	v_cndmask_b32_e64 v7, 0, v7, s[12:13]
	v_add_u32_e32 v6, v6, v7
	s_nop 1
	;; [unrolled: 4-line block ×4, first 2 shown]
	v_mov_b32_dpp v7, v6 row_bcast:15 row_mask:0xf bank_mask:0xf
	v_cndmask_b32_e64 v7, v7, 0, s[6:7]
	v_add_u32_e32 v6, v6, v7
	s_nop 1
	v_mov_b32_dpp v7, v6 row_bcast:31 row_mask:0xf bank_mask:0xf
	v_cndmask_b32_e64 v7, 0, v7, s[2:3]
	v_add_u32_e32 v6, v6, v7
	s_and_saveexec_b64 s[0:1], s[4:5]
; %bb.77:
	v_lshlrev_b32_e32 v7, 2, v45
	ds_write_b32 v7, v6
; %bb.78:
	s_or_b64 exec, exec, s[0:1]
	v_cmp_gt_u32_e32 vcc, 8, v0
	s_waitcnt lgkmcnt(0)
	s_barrier
	s_and_saveexec_b64 s[0:1], vcc
	s_cbranch_execz .LBB250_80
; %bb.79:
	s_movk_i32 s2, 0xffcc
	v_mad_i32_i24 v7, v0, s2, v33
	ds_read_b32 v18, v7
	v_and_b32_e32 v19, 7, v44
	v_cmp_ne_u32_e32 vcc, 0, v19
	s_waitcnt lgkmcnt(0)
	v_mov_b32_dpp v20, v18 row_shr:1 row_mask:0xf bank_mask:0xf
	v_cndmask_b32_e32 v20, 0, v20, vcc
	v_add_u32_e32 v18, v20, v18
	v_cmp_lt_u32_e32 vcc, 1, v19
	s_nop 0
	v_mov_b32_dpp v20, v18 row_shr:2 row_mask:0xf bank_mask:0xf
	v_cndmask_b32_e32 v20, 0, v20, vcc
	v_add_u32_e32 v18, v18, v20
	v_cmp_lt_u32_e32 vcc, 3, v19
	s_nop 0
	v_mov_b32_dpp v20, v18 row_shr:4 row_mask:0xf bank_mask:0xf
	v_cndmask_b32_e32 v19, 0, v20, vcc
	v_add_u32_e32 v18, v18, v19
	ds_write_b32 v7, v18
.LBB250_80:
	s_or_b64 exec, exec, s[0:1]
	v_cmp_lt_u32_e32 vcc, 63, v0
	v_mov_b32_e32 v7, 0
	v_mov_b32_e32 v18, 0
	s_waitcnt lgkmcnt(0)
	s_barrier
	s_and_saveexec_b64 s[0:1], vcc
; %bb.81:
	v_lshl_add_u32 v18, v45, 2, -4
	ds_read_b32 v18, v18
; %bb.82:
	s_or_b64 exec, exec, s[0:1]
	v_subrev_co_u32_e32 v19, vcc, 1, v44
	v_and_b32_e32 v20, 64, v44
	v_cmp_lt_i32_e64 s[0:1], v19, v20
	s_waitcnt lgkmcnt(0)
	v_add_u32_e32 v6, v18, v6
	v_cndmask_b32_e64 v19, v19, v44, s[0:1]
	v_lshlrev_b32_e32 v19, 2, v19
	ds_bpermute_b32 v19, v19, v6
	ds_read_b32 v6, v7 offset:28
	s_and_saveexec_b64 s[0:1], s[18:19]
	s_cbranch_execz .LBB250_84
; %bb.83:
	v_mov_b32_e32 v20, 0
	v_mov_b32_e32 v7, 2
	s_waitcnt lgkmcnt(0)
	global_store_dwordx2 v20, v[6:7], s[30:31] offset:512 sc1
.LBB250_84:
	s_or_b64 exec, exec, s[0:1]
	s_waitcnt lgkmcnt(1)
	v_cndmask_b32_e32 v7, v19, v18, vcc
	v_cndmask_b32_e64 v38, v7, 0, s[18:19]
	v_add_u32_e32 v36, v38, v27
	v_add_u32_e32 v34, v36, v35
	v_add_u32_e32 v32, v34, v37
	v_add_u32_e32 v30, v32, v39
	v_add_u32_e32 v28, v30, v42
	v_add_u32_e32 v20, v28, v43
	s_waitcnt lgkmcnt(0)
	s_barrier
	v_mov_b32_e32 v18, 0
.LBB250_85:
	s_movk_i32 s0, 0x201
	v_cmp_gt_u32_e32 vcc, s0, v6
	v_and_b32_e32 v7, 1, v24
	s_mov_b64 s[2:3], -1
	v_cmp_eq_u32_e64 s[0:1], 1, v7
	s_cbranch_vccnz .LBB250_89
; %bb.86:
	s_and_b64 vcc, exec, s[2:3]
	s_cbranch_vccnz .LBB250_104
.LBB250_87:
	s_and_b64 s[0:1], s[18:19], s[26:27]
	s_and_saveexec_b64 s[2:3], s[0:1]
	s_cbranch_execnz .LBB250_121
.LBB250_88:
	s_endpgm
.LBB250_89:
	v_add_u32_e32 v19, v18, v6
	v_cmp_lt_u32_e32 vcc, v38, v19
	s_or_b64 s[2:3], s[28:29], vcc
	s_and_b64 s[2:3], s[2:3], s[0:1]
	s_and_saveexec_b64 s[0:1], s[2:3]
	s_cbranch_execz .LBB250_91
; %bb.90:
	s_lshl_b64 s[2:3], s[22:23], 3
	s_add_u32 s2, s24, s2
	s_addc_u32 s3, s25, s3
	v_mov_b32_e32 v39, 0
	v_lshl_add_u64 v[42:43], v[38:39], 3, s[2:3]
	global_store_dwordx2 v[42:43], v[14:15], off
.LBB250_91:
	s_or_b64 exec, exec, s[0:1]
	v_cmp_lt_u32_e32 vcc, v36, v19
	v_and_b32_e32 v21, 1, v41
	s_or_b64 s[0:1], s[28:29], vcc
	v_cmp_eq_u32_e32 vcc, 1, v21
	s_and_b64 s[2:3], s[0:1], vcc
	s_and_saveexec_b64 s[0:1], s[2:3]
	s_cbranch_execz .LBB250_93
; %bb.92:
	s_lshl_b64 s[2:3], s[22:23], 3
	s_add_u32 s2, s24, s2
	s_addc_u32 s3, s25, s3
	v_mov_b32_e32 v37, 0
	v_lshl_add_u64 v[42:43], v[36:37], 3, s[2:3]
	global_store_dwordx2 v[42:43], v[16:17], off
.LBB250_93:
	s_or_b64 exec, exec, s[0:1]
	v_cmp_lt_u32_e32 vcc, v34, v19
	v_and_b32_e32 v21, 1, v40
	s_or_b64 s[0:1], s[28:29], vcc
	v_cmp_eq_u32_e32 vcc, 1, v21
	s_and_b64 s[2:3], s[0:1], vcc
	;; [unrolled: 16-line block ×6, first 2 shown]
	s_and_saveexec_b64 s[0:1], s[2:3]
	s_cbranch_execz .LBB250_103
; %bb.102:
	s_lshl_b64 s[2:3], s[22:23], 3
	s_add_u32 s2, s24, s2
	s_addc_u32 s3, s25, s3
	v_mov_b32_e32 v21, 0
	v_lshl_add_u64 v[42:43], v[20:21], 3, s[2:3]
	global_store_dwordx2 v[42:43], v[4:5], off
.LBB250_103:
	s_or_b64 exec, exec, s[0:1]
	s_branch .LBB250_87
.LBB250_104:
	v_cmp_eq_u32_e32 vcc, 1, v7
	s_and_saveexec_b64 s[0:1], vcc
; %bb.105:
	v_sub_u32_e32 v7, v38, v18
	v_lshlrev_b32_e32 v7, 3, v7
	ds_write_b64 v7, v[14:15]
; %bb.106:
	s_or_b64 exec, exec, s[0:1]
	v_and_b32_e32 v7, 1, v41
	v_cmp_eq_u32_e32 vcc, 1, v7
	s_and_saveexec_b64 s[0:1], vcc
; %bb.107:
	v_sub_u32_e32 v7, v36, v18
	v_lshlrev_b32_e32 v7, 3, v7
	ds_write_b64 v7, v[16:17]
; %bb.108:
	s_or_b64 exec, exec, s[0:1]
	v_and_b32_e32 v7, 1, v40
	;; [unrolled: 9-line block ×6, first 2 shown]
	v_cmp_eq_u32_e32 vcc, 1, v1
	s_and_saveexec_b64 s[0:1], vcc
; %bb.117:
	v_sub_u32_e32 v1, v20, v18
	v_lshlrev_b32_e32 v1, 3, v1
	ds_write_b64 v1, v[4:5]
; %bb.118:
	s_or_b64 exec, exec, s[0:1]
	v_mov_b32_e32 v19, 0
	s_lshl_b64 s[0:1], s[22:23], 3
	v_lshlrev_b64 v[2:3], 3, v[18:19]
	v_lshl_add_u64 v[2:3], s[0:1], 0, v[2:3]
	v_mov_b32_e32 v23, v19
	v_lshl_add_u64 v[2:3], s[24:25], 0, v[2:3]
	v_lshl_add_u64 v[2:3], v[2:3], 0, v[22:23]
	s_mov_b64 s[0:1], 0
	s_mov_b64 s[2:3], 0x1000
	s_waitcnt lgkmcnt(0)
	s_barrier
.LBB250_119:                            ; =>This Inner Loop Header: Depth=1
	ds_read_b64 v[4:5], v22
	v_add_u32_e32 v0, 0x200, v0
	v_cmp_ge_u32_e32 vcc, v0, v6
	v_add_u32_e32 v22, 0x1000, v22
	s_or_b64 s[0:1], vcc, s[0:1]
	s_waitcnt lgkmcnt(0)
	global_store_dwordx2 v[2:3], v[4:5], off
	v_lshl_add_u64 v[2:3], v[2:3], 0, s[2:3]
	s_andn2_b64 exec, exec, s[0:1]
	s_cbranch_execnz .LBB250_119
; %bb.120:
	s_or_b64 exec, exec, s[0:1]
	s_and_b64 s[0:1], s[18:19], s[26:27]
	s_and_saveexec_b64 s[2:3], s[0:1]
	s_cbranch_execz .LBB250_88
.LBB250_121:
	v_mov_b32_e32 v7, 0
	v_lshl_add_u64 v[0:1], s[22:23], 0, v[6:7]
	v_mov_b32_e32 v19, v7
	v_lshl_add_u64 v[0:1], v[0:1], 0, v[18:19]
	global_store_dwordx2 v7, v[0:1], s[20:21]
	s_endpgm
	.section	.rodata,"a",@progbits
	.p2align	6, 0x0
	.amdhsa_kernel _ZN7rocprim17ROCPRIM_400000_NS6detail17trampoline_kernelINS0_14default_configENS1_25partition_config_selectorILNS1_17partition_subalgoE8ElNS0_10empty_typeEbEEZZNS1_14partition_implILS5_8ELb0ES3_jPKlPS6_PKS6_NS0_5tupleIJPlS6_EEENSE_IJSB_SB_EEENS0_18inequality_wrapperIN6hipcub16HIPCUB_304000_NS8EqualityEEESF_JS6_EEE10hipError_tPvRmT3_T4_T5_T6_T7_T9_mT8_P12ihipStream_tbDpT10_ENKUlT_T0_E_clISt17integral_constantIbLb0EES15_IbLb1EEEEDaS11_S12_EUlS11_E_NS1_11comp_targetILNS1_3genE0ELNS1_11target_archE4294967295ELNS1_3gpuE0ELNS1_3repE0EEENS1_30default_config_static_selectorELNS0_4arch9wavefront6targetE1EEEvT1_
		.amdhsa_group_segment_fixed_size 28680
		.amdhsa_private_segment_fixed_size 0
		.amdhsa_kernarg_size 128
		.amdhsa_user_sgpr_count 2
		.amdhsa_user_sgpr_dispatch_ptr 0
		.amdhsa_user_sgpr_queue_ptr 0
		.amdhsa_user_sgpr_kernarg_segment_ptr 1
		.amdhsa_user_sgpr_dispatch_id 0
		.amdhsa_user_sgpr_kernarg_preload_length 0
		.amdhsa_user_sgpr_kernarg_preload_offset 0
		.amdhsa_user_sgpr_private_segment_size 0
		.amdhsa_uses_dynamic_stack 0
		.amdhsa_enable_private_segment 0
		.amdhsa_system_sgpr_workgroup_id_x 1
		.amdhsa_system_sgpr_workgroup_id_y 0
		.amdhsa_system_sgpr_workgroup_id_z 0
		.amdhsa_system_sgpr_workgroup_info 0
		.amdhsa_system_vgpr_workitem_id 0
		.amdhsa_next_free_vgpr 59
		.amdhsa_next_free_sgpr 40
		.amdhsa_accum_offset 60
		.amdhsa_reserve_vcc 1
		.amdhsa_float_round_mode_32 0
		.amdhsa_float_round_mode_16_64 0
		.amdhsa_float_denorm_mode_32 3
		.amdhsa_float_denorm_mode_16_64 3
		.amdhsa_dx10_clamp 1
		.amdhsa_ieee_mode 1
		.amdhsa_fp16_overflow 0
		.amdhsa_tg_split 0
		.amdhsa_exception_fp_ieee_invalid_op 0
		.amdhsa_exception_fp_denorm_src 0
		.amdhsa_exception_fp_ieee_div_zero 0
		.amdhsa_exception_fp_ieee_overflow 0
		.amdhsa_exception_fp_ieee_underflow 0
		.amdhsa_exception_fp_ieee_inexact 0
		.amdhsa_exception_int_div_zero 0
	.end_amdhsa_kernel
	.section	.text._ZN7rocprim17ROCPRIM_400000_NS6detail17trampoline_kernelINS0_14default_configENS1_25partition_config_selectorILNS1_17partition_subalgoE8ElNS0_10empty_typeEbEEZZNS1_14partition_implILS5_8ELb0ES3_jPKlPS6_PKS6_NS0_5tupleIJPlS6_EEENSE_IJSB_SB_EEENS0_18inequality_wrapperIN6hipcub16HIPCUB_304000_NS8EqualityEEESF_JS6_EEE10hipError_tPvRmT3_T4_T5_T6_T7_T9_mT8_P12ihipStream_tbDpT10_ENKUlT_T0_E_clISt17integral_constantIbLb0EES15_IbLb1EEEEDaS11_S12_EUlS11_E_NS1_11comp_targetILNS1_3genE0ELNS1_11target_archE4294967295ELNS1_3gpuE0ELNS1_3repE0EEENS1_30default_config_static_selectorELNS0_4arch9wavefront6targetE1EEEvT1_,"axG",@progbits,_ZN7rocprim17ROCPRIM_400000_NS6detail17trampoline_kernelINS0_14default_configENS1_25partition_config_selectorILNS1_17partition_subalgoE8ElNS0_10empty_typeEbEEZZNS1_14partition_implILS5_8ELb0ES3_jPKlPS6_PKS6_NS0_5tupleIJPlS6_EEENSE_IJSB_SB_EEENS0_18inequality_wrapperIN6hipcub16HIPCUB_304000_NS8EqualityEEESF_JS6_EEE10hipError_tPvRmT3_T4_T5_T6_T7_T9_mT8_P12ihipStream_tbDpT10_ENKUlT_T0_E_clISt17integral_constantIbLb0EES15_IbLb1EEEEDaS11_S12_EUlS11_E_NS1_11comp_targetILNS1_3genE0ELNS1_11target_archE4294967295ELNS1_3gpuE0ELNS1_3repE0EEENS1_30default_config_static_selectorELNS0_4arch9wavefront6targetE1EEEvT1_,comdat
.Lfunc_end250:
	.size	_ZN7rocprim17ROCPRIM_400000_NS6detail17trampoline_kernelINS0_14default_configENS1_25partition_config_selectorILNS1_17partition_subalgoE8ElNS0_10empty_typeEbEEZZNS1_14partition_implILS5_8ELb0ES3_jPKlPS6_PKS6_NS0_5tupleIJPlS6_EEENSE_IJSB_SB_EEENS0_18inequality_wrapperIN6hipcub16HIPCUB_304000_NS8EqualityEEESF_JS6_EEE10hipError_tPvRmT3_T4_T5_T6_T7_T9_mT8_P12ihipStream_tbDpT10_ENKUlT_T0_E_clISt17integral_constantIbLb0EES15_IbLb1EEEEDaS11_S12_EUlS11_E_NS1_11comp_targetILNS1_3genE0ELNS1_11target_archE4294967295ELNS1_3gpuE0ELNS1_3repE0EEENS1_30default_config_static_selectorELNS0_4arch9wavefront6targetE1EEEvT1_, .Lfunc_end250-_ZN7rocprim17ROCPRIM_400000_NS6detail17trampoline_kernelINS0_14default_configENS1_25partition_config_selectorILNS1_17partition_subalgoE8ElNS0_10empty_typeEbEEZZNS1_14partition_implILS5_8ELb0ES3_jPKlPS6_PKS6_NS0_5tupleIJPlS6_EEENSE_IJSB_SB_EEENS0_18inequality_wrapperIN6hipcub16HIPCUB_304000_NS8EqualityEEESF_JS6_EEE10hipError_tPvRmT3_T4_T5_T6_T7_T9_mT8_P12ihipStream_tbDpT10_ENKUlT_T0_E_clISt17integral_constantIbLb0EES15_IbLb1EEEEDaS11_S12_EUlS11_E_NS1_11comp_targetILNS1_3genE0ELNS1_11target_archE4294967295ELNS1_3gpuE0ELNS1_3repE0EEENS1_30default_config_static_selectorELNS0_4arch9wavefront6targetE1EEEvT1_
                                        ; -- End function
	.set _ZN7rocprim17ROCPRIM_400000_NS6detail17trampoline_kernelINS0_14default_configENS1_25partition_config_selectorILNS1_17partition_subalgoE8ElNS0_10empty_typeEbEEZZNS1_14partition_implILS5_8ELb0ES3_jPKlPS6_PKS6_NS0_5tupleIJPlS6_EEENSE_IJSB_SB_EEENS0_18inequality_wrapperIN6hipcub16HIPCUB_304000_NS8EqualityEEESF_JS6_EEE10hipError_tPvRmT3_T4_T5_T6_T7_T9_mT8_P12ihipStream_tbDpT10_ENKUlT_T0_E_clISt17integral_constantIbLb0EES15_IbLb1EEEEDaS11_S12_EUlS11_E_NS1_11comp_targetILNS1_3genE0ELNS1_11target_archE4294967295ELNS1_3gpuE0ELNS1_3repE0EEENS1_30default_config_static_selectorELNS0_4arch9wavefront6targetE1EEEvT1_.num_vgpr, 59
	.set _ZN7rocprim17ROCPRIM_400000_NS6detail17trampoline_kernelINS0_14default_configENS1_25partition_config_selectorILNS1_17partition_subalgoE8ElNS0_10empty_typeEbEEZZNS1_14partition_implILS5_8ELb0ES3_jPKlPS6_PKS6_NS0_5tupleIJPlS6_EEENSE_IJSB_SB_EEENS0_18inequality_wrapperIN6hipcub16HIPCUB_304000_NS8EqualityEEESF_JS6_EEE10hipError_tPvRmT3_T4_T5_T6_T7_T9_mT8_P12ihipStream_tbDpT10_ENKUlT_T0_E_clISt17integral_constantIbLb0EES15_IbLb1EEEEDaS11_S12_EUlS11_E_NS1_11comp_targetILNS1_3genE0ELNS1_11target_archE4294967295ELNS1_3gpuE0ELNS1_3repE0EEENS1_30default_config_static_selectorELNS0_4arch9wavefront6targetE1EEEvT1_.num_agpr, 0
	.set _ZN7rocprim17ROCPRIM_400000_NS6detail17trampoline_kernelINS0_14default_configENS1_25partition_config_selectorILNS1_17partition_subalgoE8ElNS0_10empty_typeEbEEZZNS1_14partition_implILS5_8ELb0ES3_jPKlPS6_PKS6_NS0_5tupleIJPlS6_EEENSE_IJSB_SB_EEENS0_18inequality_wrapperIN6hipcub16HIPCUB_304000_NS8EqualityEEESF_JS6_EEE10hipError_tPvRmT3_T4_T5_T6_T7_T9_mT8_P12ihipStream_tbDpT10_ENKUlT_T0_E_clISt17integral_constantIbLb0EES15_IbLb1EEEEDaS11_S12_EUlS11_E_NS1_11comp_targetILNS1_3genE0ELNS1_11target_archE4294967295ELNS1_3gpuE0ELNS1_3repE0EEENS1_30default_config_static_selectorELNS0_4arch9wavefront6targetE1EEEvT1_.numbered_sgpr, 40
	.set _ZN7rocprim17ROCPRIM_400000_NS6detail17trampoline_kernelINS0_14default_configENS1_25partition_config_selectorILNS1_17partition_subalgoE8ElNS0_10empty_typeEbEEZZNS1_14partition_implILS5_8ELb0ES3_jPKlPS6_PKS6_NS0_5tupleIJPlS6_EEENSE_IJSB_SB_EEENS0_18inequality_wrapperIN6hipcub16HIPCUB_304000_NS8EqualityEEESF_JS6_EEE10hipError_tPvRmT3_T4_T5_T6_T7_T9_mT8_P12ihipStream_tbDpT10_ENKUlT_T0_E_clISt17integral_constantIbLb0EES15_IbLb1EEEEDaS11_S12_EUlS11_E_NS1_11comp_targetILNS1_3genE0ELNS1_11target_archE4294967295ELNS1_3gpuE0ELNS1_3repE0EEENS1_30default_config_static_selectorELNS0_4arch9wavefront6targetE1EEEvT1_.num_named_barrier, 0
	.set _ZN7rocprim17ROCPRIM_400000_NS6detail17trampoline_kernelINS0_14default_configENS1_25partition_config_selectorILNS1_17partition_subalgoE8ElNS0_10empty_typeEbEEZZNS1_14partition_implILS5_8ELb0ES3_jPKlPS6_PKS6_NS0_5tupleIJPlS6_EEENSE_IJSB_SB_EEENS0_18inequality_wrapperIN6hipcub16HIPCUB_304000_NS8EqualityEEESF_JS6_EEE10hipError_tPvRmT3_T4_T5_T6_T7_T9_mT8_P12ihipStream_tbDpT10_ENKUlT_T0_E_clISt17integral_constantIbLb0EES15_IbLb1EEEEDaS11_S12_EUlS11_E_NS1_11comp_targetILNS1_3genE0ELNS1_11target_archE4294967295ELNS1_3gpuE0ELNS1_3repE0EEENS1_30default_config_static_selectorELNS0_4arch9wavefront6targetE1EEEvT1_.private_seg_size, 0
	.set _ZN7rocprim17ROCPRIM_400000_NS6detail17trampoline_kernelINS0_14default_configENS1_25partition_config_selectorILNS1_17partition_subalgoE8ElNS0_10empty_typeEbEEZZNS1_14partition_implILS5_8ELb0ES3_jPKlPS6_PKS6_NS0_5tupleIJPlS6_EEENSE_IJSB_SB_EEENS0_18inequality_wrapperIN6hipcub16HIPCUB_304000_NS8EqualityEEESF_JS6_EEE10hipError_tPvRmT3_T4_T5_T6_T7_T9_mT8_P12ihipStream_tbDpT10_ENKUlT_T0_E_clISt17integral_constantIbLb0EES15_IbLb1EEEEDaS11_S12_EUlS11_E_NS1_11comp_targetILNS1_3genE0ELNS1_11target_archE4294967295ELNS1_3gpuE0ELNS1_3repE0EEENS1_30default_config_static_selectorELNS0_4arch9wavefront6targetE1EEEvT1_.uses_vcc, 1
	.set _ZN7rocprim17ROCPRIM_400000_NS6detail17trampoline_kernelINS0_14default_configENS1_25partition_config_selectorILNS1_17partition_subalgoE8ElNS0_10empty_typeEbEEZZNS1_14partition_implILS5_8ELb0ES3_jPKlPS6_PKS6_NS0_5tupleIJPlS6_EEENSE_IJSB_SB_EEENS0_18inequality_wrapperIN6hipcub16HIPCUB_304000_NS8EqualityEEESF_JS6_EEE10hipError_tPvRmT3_T4_T5_T6_T7_T9_mT8_P12ihipStream_tbDpT10_ENKUlT_T0_E_clISt17integral_constantIbLb0EES15_IbLb1EEEEDaS11_S12_EUlS11_E_NS1_11comp_targetILNS1_3genE0ELNS1_11target_archE4294967295ELNS1_3gpuE0ELNS1_3repE0EEENS1_30default_config_static_selectorELNS0_4arch9wavefront6targetE1EEEvT1_.uses_flat_scratch, 0
	.set _ZN7rocprim17ROCPRIM_400000_NS6detail17trampoline_kernelINS0_14default_configENS1_25partition_config_selectorILNS1_17partition_subalgoE8ElNS0_10empty_typeEbEEZZNS1_14partition_implILS5_8ELb0ES3_jPKlPS6_PKS6_NS0_5tupleIJPlS6_EEENSE_IJSB_SB_EEENS0_18inequality_wrapperIN6hipcub16HIPCUB_304000_NS8EqualityEEESF_JS6_EEE10hipError_tPvRmT3_T4_T5_T6_T7_T9_mT8_P12ihipStream_tbDpT10_ENKUlT_T0_E_clISt17integral_constantIbLb0EES15_IbLb1EEEEDaS11_S12_EUlS11_E_NS1_11comp_targetILNS1_3genE0ELNS1_11target_archE4294967295ELNS1_3gpuE0ELNS1_3repE0EEENS1_30default_config_static_selectorELNS0_4arch9wavefront6targetE1EEEvT1_.has_dyn_sized_stack, 0
	.set _ZN7rocprim17ROCPRIM_400000_NS6detail17trampoline_kernelINS0_14default_configENS1_25partition_config_selectorILNS1_17partition_subalgoE8ElNS0_10empty_typeEbEEZZNS1_14partition_implILS5_8ELb0ES3_jPKlPS6_PKS6_NS0_5tupleIJPlS6_EEENSE_IJSB_SB_EEENS0_18inequality_wrapperIN6hipcub16HIPCUB_304000_NS8EqualityEEESF_JS6_EEE10hipError_tPvRmT3_T4_T5_T6_T7_T9_mT8_P12ihipStream_tbDpT10_ENKUlT_T0_E_clISt17integral_constantIbLb0EES15_IbLb1EEEEDaS11_S12_EUlS11_E_NS1_11comp_targetILNS1_3genE0ELNS1_11target_archE4294967295ELNS1_3gpuE0ELNS1_3repE0EEENS1_30default_config_static_selectorELNS0_4arch9wavefront6targetE1EEEvT1_.has_recursion, 0
	.set _ZN7rocprim17ROCPRIM_400000_NS6detail17trampoline_kernelINS0_14default_configENS1_25partition_config_selectorILNS1_17partition_subalgoE8ElNS0_10empty_typeEbEEZZNS1_14partition_implILS5_8ELb0ES3_jPKlPS6_PKS6_NS0_5tupleIJPlS6_EEENSE_IJSB_SB_EEENS0_18inequality_wrapperIN6hipcub16HIPCUB_304000_NS8EqualityEEESF_JS6_EEE10hipError_tPvRmT3_T4_T5_T6_T7_T9_mT8_P12ihipStream_tbDpT10_ENKUlT_T0_E_clISt17integral_constantIbLb0EES15_IbLb1EEEEDaS11_S12_EUlS11_E_NS1_11comp_targetILNS1_3genE0ELNS1_11target_archE4294967295ELNS1_3gpuE0ELNS1_3repE0EEENS1_30default_config_static_selectorELNS0_4arch9wavefront6targetE1EEEvT1_.has_indirect_call, 0
	.section	.AMDGPU.csdata,"",@progbits
; Kernel info:
; codeLenInByte = 5496
; TotalNumSgprs: 46
; NumVgprs: 59
; NumAgprs: 0
; TotalNumVgprs: 59
; ScratchSize: 0
; MemoryBound: 0
; FloatMode: 240
; IeeeMode: 1
; LDSByteSize: 28680 bytes/workgroup (compile time only)
; SGPRBlocks: 5
; VGPRBlocks: 7
; NumSGPRsForWavesPerEU: 46
; NumVGPRsForWavesPerEU: 59
; AccumOffset: 60
; Occupancy: 8
; WaveLimiterHint : 1
; COMPUTE_PGM_RSRC2:SCRATCH_EN: 0
; COMPUTE_PGM_RSRC2:USER_SGPR: 2
; COMPUTE_PGM_RSRC2:TRAP_HANDLER: 0
; COMPUTE_PGM_RSRC2:TGID_X_EN: 1
; COMPUTE_PGM_RSRC2:TGID_Y_EN: 0
; COMPUTE_PGM_RSRC2:TGID_Z_EN: 0
; COMPUTE_PGM_RSRC2:TIDIG_COMP_CNT: 0
; COMPUTE_PGM_RSRC3_GFX90A:ACCUM_OFFSET: 14
; COMPUTE_PGM_RSRC3_GFX90A:TG_SPLIT: 0
	.section	.text._ZN7rocprim17ROCPRIM_400000_NS6detail17trampoline_kernelINS0_14default_configENS1_25partition_config_selectorILNS1_17partition_subalgoE8ElNS0_10empty_typeEbEEZZNS1_14partition_implILS5_8ELb0ES3_jPKlPS6_PKS6_NS0_5tupleIJPlS6_EEENSE_IJSB_SB_EEENS0_18inequality_wrapperIN6hipcub16HIPCUB_304000_NS8EqualityEEESF_JS6_EEE10hipError_tPvRmT3_T4_T5_T6_T7_T9_mT8_P12ihipStream_tbDpT10_ENKUlT_T0_E_clISt17integral_constantIbLb0EES15_IbLb1EEEEDaS11_S12_EUlS11_E_NS1_11comp_targetILNS1_3genE5ELNS1_11target_archE942ELNS1_3gpuE9ELNS1_3repE0EEENS1_30default_config_static_selectorELNS0_4arch9wavefront6targetE1EEEvT1_,"axG",@progbits,_ZN7rocprim17ROCPRIM_400000_NS6detail17trampoline_kernelINS0_14default_configENS1_25partition_config_selectorILNS1_17partition_subalgoE8ElNS0_10empty_typeEbEEZZNS1_14partition_implILS5_8ELb0ES3_jPKlPS6_PKS6_NS0_5tupleIJPlS6_EEENSE_IJSB_SB_EEENS0_18inequality_wrapperIN6hipcub16HIPCUB_304000_NS8EqualityEEESF_JS6_EEE10hipError_tPvRmT3_T4_T5_T6_T7_T9_mT8_P12ihipStream_tbDpT10_ENKUlT_T0_E_clISt17integral_constantIbLb0EES15_IbLb1EEEEDaS11_S12_EUlS11_E_NS1_11comp_targetILNS1_3genE5ELNS1_11target_archE942ELNS1_3gpuE9ELNS1_3repE0EEENS1_30default_config_static_selectorELNS0_4arch9wavefront6targetE1EEEvT1_,comdat
	.protected	_ZN7rocprim17ROCPRIM_400000_NS6detail17trampoline_kernelINS0_14default_configENS1_25partition_config_selectorILNS1_17partition_subalgoE8ElNS0_10empty_typeEbEEZZNS1_14partition_implILS5_8ELb0ES3_jPKlPS6_PKS6_NS0_5tupleIJPlS6_EEENSE_IJSB_SB_EEENS0_18inequality_wrapperIN6hipcub16HIPCUB_304000_NS8EqualityEEESF_JS6_EEE10hipError_tPvRmT3_T4_T5_T6_T7_T9_mT8_P12ihipStream_tbDpT10_ENKUlT_T0_E_clISt17integral_constantIbLb0EES15_IbLb1EEEEDaS11_S12_EUlS11_E_NS1_11comp_targetILNS1_3genE5ELNS1_11target_archE942ELNS1_3gpuE9ELNS1_3repE0EEENS1_30default_config_static_selectorELNS0_4arch9wavefront6targetE1EEEvT1_ ; -- Begin function _ZN7rocprim17ROCPRIM_400000_NS6detail17trampoline_kernelINS0_14default_configENS1_25partition_config_selectorILNS1_17partition_subalgoE8ElNS0_10empty_typeEbEEZZNS1_14partition_implILS5_8ELb0ES3_jPKlPS6_PKS6_NS0_5tupleIJPlS6_EEENSE_IJSB_SB_EEENS0_18inequality_wrapperIN6hipcub16HIPCUB_304000_NS8EqualityEEESF_JS6_EEE10hipError_tPvRmT3_T4_T5_T6_T7_T9_mT8_P12ihipStream_tbDpT10_ENKUlT_T0_E_clISt17integral_constantIbLb0EES15_IbLb1EEEEDaS11_S12_EUlS11_E_NS1_11comp_targetILNS1_3genE5ELNS1_11target_archE942ELNS1_3gpuE9ELNS1_3repE0EEENS1_30default_config_static_selectorELNS0_4arch9wavefront6targetE1EEEvT1_
	.globl	_ZN7rocprim17ROCPRIM_400000_NS6detail17trampoline_kernelINS0_14default_configENS1_25partition_config_selectorILNS1_17partition_subalgoE8ElNS0_10empty_typeEbEEZZNS1_14partition_implILS5_8ELb0ES3_jPKlPS6_PKS6_NS0_5tupleIJPlS6_EEENSE_IJSB_SB_EEENS0_18inequality_wrapperIN6hipcub16HIPCUB_304000_NS8EqualityEEESF_JS6_EEE10hipError_tPvRmT3_T4_T5_T6_T7_T9_mT8_P12ihipStream_tbDpT10_ENKUlT_T0_E_clISt17integral_constantIbLb0EES15_IbLb1EEEEDaS11_S12_EUlS11_E_NS1_11comp_targetILNS1_3genE5ELNS1_11target_archE942ELNS1_3gpuE9ELNS1_3repE0EEENS1_30default_config_static_selectorELNS0_4arch9wavefront6targetE1EEEvT1_
	.p2align	8
	.type	_ZN7rocprim17ROCPRIM_400000_NS6detail17trampoline_kernelINS0_14default_configENS1_25partition_config_selectorILNS1_17partition_subalgoE8ElNS0_10empty_typeEbEEZZNS1_14partition_implILS5_8ELb0ES3_jPKlPS6_PKS6_NS0_5tupleIJPlS6_EEENSE_IJSB_SB_EEENS0_18inequality_wrapperIN6hipcub16HIPCUB_304000_NS8EqualityEEESF_JS6_EEE10hipError_tPvRmT3_T4_T5_T6_T7_T9_mT8_P12ihipStream_tbDpT10_ENKUlT_T0_E_clISt17integral_constantIbLb0EES15_IbLb1EEEEDaS11_S12_EUlS11_E_NS1_11comp_targetILNS1_3genE5ELNS1_11target_archE942ELNS1_3gpuE9ELNS1_3repE0EEENS1_30default_config_static_selectorELNS0_4arch9wavefront6targetE1EEEvT1_,@function
_ZN7rocprim17ROCPRIM_400000_NS6detail17trampoline_kernelINS0_14default_configENS1_25partition_config_selectorILNS1_17partition_subalgoE8ElNS0_10empty_typeEbEEZZNS1_14partition_implILS5_8ELb0ES3_jPKlPS6_PKS6_NS0_5tupleIJPlS6_EEENSE_IJSB_SB_EEENS0_18inequality_wrapperIN6hipcub16HIPCUB_304000_NS8EqualityEEESF_JS6_EEE10hipError_tPvRmT3_T4_T5_T6_T7_T9_mT8_P12ihipStream_tbDpT10_ENKUlT_T0_E_clISt17integral_constantIbLb0EES15_IbLb1EEEEDaS11_S12_EUlS11_E_NS1_11comp_targetILNS1_3genE5ELNS1_11target_archE942ELNS1_3gpuE9ELNS1_3repE0EEENS1_30default_config_static_selectorELNS0_4arch9wavefront6targetE1EEEvT1_: ; @_ZN7rocprim17ROCPRIM_400000_NS6detail17trampoline_kernelINS0_14default_configENS1_25partition_config_selectorILNS1_17partition_subalgoE8ElNS0_10empty_typeEbEEZZNS1_14partition_implILS5_8ELb0ES3_jPKlPS6_PKS6_NS0_5tupleIJPlS6_EEENSE_IJSB_SB_EEENS0_18inequality_wrapperIN6hipcub16HIPCUB_304000_NS8EqualityEEESF_JS6_EEE10hipError_tPvRmT3_T4_T5_T6_T7_T9_mT8_P12ihipStream_tbDpT10_ENKUlT_T0_E_clISt17integral_constantIbLb0EES15_IbLb1EEEEDaS11_S12_EUlS11_E_NS1_11comp_targetILNS1_3genE5ELNS1_11target_archE942ELNS1_3gpuE9ELNS1_3repE0EEENS1_30default_config_static_selectorELNS0_4arch9wavefront6targetE1EEEvT1_
; %bb.0:
	.section	.rodata,"a",@progbits
	.p2align	6, 0x0
	.amdhsa_kernel _ZN7rocprim17ROCPRIM_400000_NS6detail17trampoline_kernelINS0_14default_configENS1_25partition_config_selectorILNS1_17partition_subalgoE8ElNS0_10empty_typeEbEEZZNS1_14partition_implILS5_8ELb0ES3_jPKlPS6_PKS6_NS0_5tupleIJPlS6_EEENSE_IJSB_SB_EEENS0_18inequality_wrapperIN6hipcub16HIPCUB_304000_NS8EqualityEEESF_JS6_EEE10hipError_tPvRmT3_T4_T5_T6_T7_T9_mT8_P12ihipStream_tbDpT10_ENKUlT_T0_E_clISt17integral_constantIbLb0EES15_IbLb1EEEEDaS11_S12_EUlS11_E_NS1_11comp_targetILNS1_3genE5ELNS1_11target_archE942ELNS1_3gpuE9ELNS1_3repE0EEENS1_30default_config_static_selectorELNS0_4arch9wavefront6targetE1EEEvT1_
		.amdhsa_group_segment_fixed_size 0
		.amdhsa_private_segment_fixed_size 0
		.amdhsa_kernarg_size 128
		.amdhsa_user_sgpr_count 2
		.amdhsa_user_sgpr_dispatch_ptr 0
		.amdhsa_user_sgpr_queue_ptr 0
		.amdhsa_user_sgpr_kernarg_segment_ptr 1
		.amdhsa_user_sgpr_dispatch_id 0
		.amdhsa_user_sgpr_kernarg_preload_length 0
		.amdhsa_user_sgpr_kernarg_preload_offset 0
		.amdhsa_user_sgpr_private_segment_size 0
		.amdhsa_uses_dynamic_stack 0
		.amdhsa_enable_private_segment 0
		.amdhsa_system_sgpr_workgroup_id_x 1
		.amdhsa_system_sgpr_workgroup_id_y 0
		.amdhsa_system_sgpr_workgroup_id_z 0
		.amdhsa_system_sgpr_workgroup_info 0
		.amdhsa_system_vgpr_workitem_id 0
		.amdhsa_next_free_vgpr 1
		.amdhsa_next_free_sgpr 0
		.amdhsa_accum_offset 4
		.amdhsa_reserve_vcc 0
		.amdhsa_float_round_mode_32 0
		.amdhsa_float_round_mode_16_64 0
		.amdhsa_float_denorm_mode_32 3
		.amdhsa_float_denorm_mode_16_64 3
		.amdhsa_dx10_clamp 1
		.amdhsa_ieee_mode 1
		.amdhsa_fp16_overflow 0
		.amdhsa_tg_split 0
		.amdhsa_exception_fp_ieee_invalid_op 0
		.amdhsa_exception_fp_denorm_src 0
		.amdhsa_exception_fp_ieee_div_zero 0
		.amdhsa_exception_fp_ieee_overflow 0
		.amdhsa_exception_fp_ieee_underflow 0
		.amdhsa_exception_fp_ieee_inexact 0
		.amdhsa_exception_int_div_zero 0
	.end_amdhsa_kernel
	.section	.text._ZN7rocprim17ROCPRIM_400000_NS6detail17trampoline_kernelINS0_14default_configENS1_25partition_config_selectorILNS1_17partition_subalgoE8ElNS0_10empty_typeEbEEZZNS1_14partition_implILS5_8ELb0ES3_jPKlPS6_PKS6_NS0_5tupleIJPlS6_EEENSE_IJSB_SB_EEENS0_18inequality_wrapperIN6hipcub16HIPCUB_304000_NS8EqualityEEESF_JS6_EEE10hipError_tPvRmT3_T4_T5_T6_T7_T9_mT8_P12ihipStream_tbDpT10_ENKUlT_T0_E_clISt17integral_constantIbLb0EES15_IbLb1EEEEDaS11_S12_EUlS11_E_NS1_11comp_targetILNS1_3genE5ELNS1_11target_archE942ELNS1_3gpuE9ELNS1_3repE0EEENS1_30default_config_static_selectorELNS0_4arch9wavefront6targetE1EEEvT1_,"axG",@progbits,_ZN7rocprim17ROCPRIM_400000_NS6detail17trampoline_kernelINS0_14default_configENS1_25partition_config_selectorILNS1_17partition_subalgoE8ElNS0_10empty_typeEbEEZZNS1_14partition_implILS5_8ELb0ES3_jPKlPS6_PKS6_NS0_5tupleIJPlS6_EEENSE_IJSB_SB_EEENS0_18inequality_wrapperIN6hipcub16HIPCUB_304000_NS8EqualityEEESF_JS6_EEE10hipError_tPvRmT3_T4_T5_T6_T7_T9_mT8_P12ihipStream_tbDpT10_ENKUlT_T0_E_clISt17integral_constantIbLb0EES15_IbLb1EEEEDaS11_S12_EUlS11_E_NS1_11comp_targetILNS1_3genE5ELNS1_11target_archE942ELNS1_3gpuE9ELNS1_3repE0EEENS1_30default_config_static_selectorELNS0_4arch9wavefront6targetE1EEEvT1_,comdat
.Lfunc_end251:
	.size	_ZN7rocprim17ROCPRIM_400000_NS6detail17trampoline_kernelINS0_14default_configENS1_25partition_config_selectorILNS1_17partition_subalgoE8ElNS0_10empty_typeEbEEZZNS1_14partition_implILS5_8ELb0ES3_jPKlPS6_PKS6_NS0_5tupleIJPlS6_EEENSE_IJSB_SB_EEENS0_18inequality_wrapperIN6hipcub16HIPCUB_304000_NS8EqualityEEESF_JS6_EEE10hipError_tPvRmT3_T4_T5_T6_T7_T9_mT8_P12ihipStream_tbDpT10_ENKUlT_T0_E_clISt17integral_constantIbLb0EES15_IbLb1EEEEDaS11_S12_EUlS11_E_NS1_11comp_targetILNS1_3genE5ELNS1_11target_archE942ELNS1_3gpuE9ELNS1_3repE0EEENS1_30default_config_static_selectorELNS0_4arch9wavefront6targetE1EEEvT1_, .Lfunc_end251-_ZN7rocprim17ROCPRIM_400000_NS6detail17trampoline_kernelINS0_14default_configENS1_25partition_config_selectorILNS1_17partition_subalgoE8ElNS0_10empty_typeEbEEZZNS1_14partition_implILS5_8ELb0ES3_jPKlPS6_PKS6_NS0_5tupleIJPlS6_EEENSE_IJSB_SB_EEENS0_18inequality_wrapperIN6hipcub16HIPCUB_304000_NS8EqualityEEESF_JS6_EEE10hipError_tPvRmT3_T4_T5_T6_T7_T9_mT8_P12ihipStream_tbDpT10_ENKUlT_T0_E_clISt17integral_constantIbLb0EES15_IbLb1EEEEDaS11_S12_EUlS11_E_NS1_11comp_targetILNS1_3genE5ELNS1_11target_archE942ELNS1_3gpuE9ELNS1_3repE0EEENS1_30default_config_static_selectorELNS0_4arch9wavefront6targetE1EEEvT1_
                                        ; -- End function
	.set _ZN7rocprim17ROCPRIM_400000_NS6detail17trampoline_kernelINS0_14default_configENS1_25partition_config_selectorILNS1_17partition_subalgoE8ElNS0_10empty_typeEbEEZZNS1_14partition_implILS5_8ELb0ES3_jPKlPS6_PKS6_NS0_5tupleIJPlS6_EEENSE_IJSB_SB_EEENS0_18inequality_wrapperIN6hipcub16HIPCUB_304000_NS8EqualityEEESF_JS6_EEE10hipError_tPvRmT3_T4_T5_T6_T7_T9_mT8_P12ihipStream_tbDpT10_ENKUlT_T0_E_clISt17integral_constantIbLb0EES15_IbLb1EEEEDaS11_S12_EUlS11_E_NS1_11comp_targetILNS1_3genE5ELNS1_11target_archE942ELNS1_3gpuE9ELNS1_3repE0EEENS1_30default_config_static_selectorELNS0_4arch9wavefront6targetE1EEEvT1_.num_vgpr, 0
	.set _ZN7rocprim17ROCPRIM_400000_NS6detail17trampoline_kernelINS0_14default_configENS1_25partition_config_selectorILNS1_17partition_subalgoE8ElNS0_10empty_typeEbEEZZNS1_14partition_implILS5_8ELb0ES3_jPKlPS6_PKS6_NS0_5tupleIJPlS6_EEENSE_IJSB_SB_EEENS0_18inequality_wrapperIN6hipcub16HIPCUB_304000_NS8EqualityEEESF_JS6_EEE10hipError_tPvRmT3_T4_T5_T6_T7_T9_mT8_P12ihipStream_tbDpT10_ENKUlT_T0_E_clISt17integral_constantIbLb0EES15_IbLb1EEEEDaS11_S12_EUlS11_E_NS1_11comp_targetILNS1_3genE5ELNS1_11target_archE942ELNS1_3gpuE9ELNS1_3repE0EEENS1_30default_config_static_selectorELNS0_4arch9wavefront6targetE1EEEvT1_.num_agpr, 0
	.set _ZN7rocprim17ROCPRIM_400000_NS6detail17trampoline_kernelINS0_14default_configENS1_25partition_config_selectorILNS1_17partition_subalgoE8ElNS0_10empty_typeEbEEZZNS1_14partition_implILS5_8ELb0ES3_jPKlPS6_PKS6_NS0_5tupleIJPlS6_EEENSE_IJSB_SB_EEENS0_18inequality_wrapperIN6hipcub16HIPCUB_304000_NS8EqualityEEESF_JS6_EEE10hipError_tPvRmT3_T4_T5_T6_T7_T9_mT8_P12ihipStream_tbDpT10_ENKUlT_T0_E_clISt17integral_constantIbLb0EES15_IbLb1EEEEDaS11_S12_EUlS11_E_NS1_11comp_targetILNS1_3genE5ELNS1_11target_archE942ELNS1_3gpuE9ELNS1_3repE0EEENS1_30default_config_static_selectorELNS0_4arch9wavefront6targetE1EEEvT1_.numbered_sgpr, 0
	.set _ZN7rocprim17ROCPRIM_400000_NS6detail17trampoline_kernelINS0_14default_configENS1_25partition_config_selectorILNS1_17partition_subalgoE8ElNS0_10empty_typeEbEEZZNS1_14partition_implILS5_8ELb0ES3_jPKlPS6_PKS6_NS0_5tupleIJPlS6_EEENSE_IJSB_SB_EEENS0_18inequality_wrapperIN6hipcub16HIPCUB_304000_NS8EqualityEEESF_JS6_EEE10hipError_tPvRmT3_T4_T5_T6_T7_T9_mT8_P12ihipStream_tbDpT10_ENKUlT_T0_E_clISt17integral_constantIbLb0EES15_IbLb1EEEEDaS11_S12_EUlS11_E_NS1_11comp_targetILNS1_3genE5ELNS1_11target_archE942ELNS1_3gpuE9ELNS1_3repE0EEENS1_30default_config_static_selectorELNS0_4arch9wavefront6targetE1EEEvT1_.num_named_barrier, 0
	.set _ZN7rocprim17ROCPRIM_400000_NS6detail17trampoline_kernelINS0_14default_configENS1_25partition_config_selectorILNS1_17partition_subalgoE8ElNS0_10empty_typeEbEEZZNS1_14partition_implILS5_8ELb0ES3_jPKlPS6_PKS6_NS0_5tupleIJPlS6_EEENSE_IJSB_SB_EEENS0_18inequality_wrapperIN6hipcub16HIPCUB_304000_NS8EqualityEEESF_JS6_EEE10hipError_tPvRmT3_T4_T5_T6_T7_T9_mT8_P12ihipStream_tbDpT10_ENKUlT_T0_E_clISt17integral_constantIbLb0EES15_IbLb1EEEEDaS11_S12_EUlS11_E_NS1_11comp_targetILNS1_3genE5ELNS1_11target_archE942ELNS1_3gpuE9ELNS1_3repE0EEENS1_30default_config_static_selectorELNS0_4arch9wavefront6targetE1EEEvT1_.private_seg_size, 0
	.set _ZN7rocprim17ROCPRIM_400000_NS6detail17trampoline_kernelINS0_14default_configENS1_25partition_config_selectorILNS1_17partition_subalgoE8ElNS0_10empty_typeEbEEZZNS1_14partition_implILS5_8ELb0ES3_jPKlPS6_PKS6_NS0_5tupleIJPlS6_EEENSE_IJSB_SB_EEENS0_18inequality_wrapperIN6hipcub16HIPCUB_304000_NS8EqualityEEESF_JS6_EEE10hipError_tPvRmT3_T4_T5_T6_T7_T9_mT8_P12ihipStream_tbDpT10_ENKUlT_T0_E_clISt17integral_constantIbLb0EES15_IbLb1EEEEDaS11_S12_EUlS11_E_NS1_11comp_targetILNS1_3genE5ELNS1_11target_archE942ELNS1_3gpuE9ELNS1_3repE0EEENS1_30default_config_static_selectorELNS0_4arch9wavefront6targetE1EEEvT1_.uses_vcc, 0
	.set _ZN7rocprim17ROCPRIM_400000_NS6detail17trampoline_kernelINS0_14default_configENS1_25partition_config_selectorILNS1_17partition_subalgoE8ElNS0_10empty_typeEbEEZZNS1_14partition_implILS5_8ELb0ES3_jPKlPS6_PKS6_NS0_5tupleIJPlS6_EEENSE_IJSB_SB_EEENS0_18inequality_wrapperIN6hipcub16HIPCUB_304000_NS8EqualityEEESF_JS6_EEE10hipError_tPvRmT3_T4_T5_T6_T7_T9_mT8_P12ihipStream_tbDpT10_ENKUlT_T0_E_clISt17integral_constantIbLb0EES15_IbLb1EEEEDaS11_S12_EUlS11_E_NS1_11comp_targetILNS1_3genE5ELNS1_11target_archE942ELNS1_3gpuE9ELNS1_3repE0EEENS1_30default_config_static_selectorELNS0_4arch9wavefront6targetE1EEEvT1_.uses_flat_scratch, 0
	.set _ZN7rocprim17ROCPRIM_400000_NS6detail17trampoline_kernelINS0_14default_configENS1_25partition_config_selectorILNS1_17partition_subalgoE8ElNS0_10empty_typeEbEEZZNS1_14partition_implILS5_8ELb0ES3_jPKlPS6_PKS6_NS0_5tupleIJPlS6_EEENSE_IJSB_SB_EEENS0_18inequality_wrapperIN6hipcub16HIPCUB_304000_NS8EqualityEEESF_JS6_EEE10hipError_tPvRmT3_T4_T5_T6_T7_T9_mT8_P12ihipStream_tbDpT10_ENKUlT_T0_E_clISt17integral_constantIbLb0EES15_IbLb1EEEEDaS11_S12_EUlS11_E_NS1_11comp_targetILNS1_3genE5ELNS1_11target_archE942ELNS1_3gpuE9ELNS1_3repE0EEENS1_30default_config_static_selectorELNS0_4arch9wavefront6targetE1EEEvT1_.has_dyn_sized_stack, 0
	.set _ZN7rocprim17ROCPRIM_400000_NS6detail17trampoline_kernelINS0_14default_configENS1_25partition_config_selectorILNS1_17partition_subalgoE8ElNS0_10empty_typeEbEEZZNS1_14partition_implILS5_8ELb0ES3_jPKlPS6_PKS6_NS0_5tupleIJPlS6_EEENSE_IJSB_SB_EEENS0_18inequality_wrapperIN6hipcub16HIPCUB_304000_NS8EqualityEEESF_JS6_EEE10hipError_tPvRmT3_T4_T5_T6_T7_T9_mT8_P12ihipStream_tbDpT10_ENKUlT_T0_E_clISt17integral_constantIbLb0EES15_IbLb1EEEEDaS11_S12_EUlS11_E_NS1_11comp_targetILNS1_3genE5ELNS1_11target_archE942ELNS1_3gpuE9ELNS1_3repE0EEENS1_30default_config_static_selectorELNS0_4arch9wavefront6targetE1EEEvT1_.has_recursion, 0
	.set _ZN7rocprim17ROCPRIM_400000_NS6detail17trampoline_kernelINS0_14default_configENS1_25partition_config_selectorILNS1_17partition_subalgoE8ElNS0_10empty_typeEbEEZZNS1_14partition_implILS5_8ELb0ES3_jPKlPS6_PKS6_NS0_5tupleIJPlS6_EEENSE_IJSB_SB_EEENS0_18inequality_wrapperIN6hipcub16HIPCUB_304000_NS8EqualityEEESF_JS6_EEE10hipError_tPvRmT3_T4_T5_T6_T7_T9_mT8_P12ihipStream_tbDpT10_ENKUlT_T0_E_clISt17integral_constantIbLb0EES15_IbLb1EEEEDaS11_S12_EUlS11_E_NS1_11comp_targetILNS1_3genE5ELNS1_11target_archE942ELNS1_3gpuE9ELNS1_3repE0EEENS1_30default_config_static_selectorELNS0_4arch9wavefront6targetE1EEEvT1_.has_indirect_call, 0
	.section	.AMDGPU.csdata,"",@progbits
; Kernel info:
; codeLenInByte = 0
; TotalNumSgprs: 6
; NumVgprs: 0
; NumAgprs: 0
; TotalNumVgprs: 0
; ScratchSize: 0
; MemoryBound: 0
; FloatMode: 240
; IeeeMode: 1
; LDSByteSize: 0 bytes/workgroup (compile time only)
; SGPRBlocks: 0
; VGPRBlocks: 0
; NumSGPRsForWavesPerEU: 6
; NumVGPRsForWavesPerEU: 1
; AccumOffset: 4
; Occupancy: 8
; WaveLimiterHint : 0
; COMPUTE_PGM_RSRC2:SCRATCH_EN: 0
; COMPUTE_PGM_RSRC2:USER_SGPR: 2
; COMPUTE_PGM_RSRC2:TRAP_HANDLER: 0
; COMPUTE_PGM_RSRC2:TGID_X_EN: 1
; COMPUTE_PGM_RSRC2:TGID_Y_EN: 0
; COMPUTE_PGM_RSRC2:TGID_Z_EN: 0
; COMPUTE_PGM_RSRC2:TIDIG_COMP_CNT: 0
; COMPUTE_PGM_RSRC3_GFX90A:ACCUM_OFFSET: 0
; COMPUTE_PGM_RSRC3_GFX90A:TG_SPLIT: 0
	.section	.text._ZN7rocprim17ROCPRIM_400000_NS6detail17trampoline_kernelINS0_14default_configENS1_25partition_config_selectorILNS1_17partition_subalgoE8ElNS0_10empty_typeEbEEZZNS1_14partition_implILS5_8ELb0ES3_jPKlPS6_PKS6_NS0_5tupleIJPlS6_EEENSE_IJSB_SB_EEENS0_18inequality_wrapperIN6hipcub16HIPCUB_304000_NS8EqualityEEESF_JS6_EEE10hipError_tPvRmT3_T4_T5_T6_T7_T9_mT8_P12ihipStream_tbDpT10_ENKUlT_T0_E_clISt17integral_constantIbLb0EES15_IbLb1EEEEDaS11_S12_EUlS11_E_NS1_11comp_targetILNS1_3genE4ELNS1_11target_archE910ELNS1_3gpuE8ELNS1_3repE0EEENS1_30default_config_static_selectorELNS0_4arch9wavefront6targetE1EEEvT1_,"axG",@progbits,_ZN7rocprim17ROCPRIM_400000_NS6detail17trampoline_kernelINS0_14default_configENS1_25partition_config_selectorILNS1_17partition_subalgoE8ElNS0_10empty_typeEbEEZZNS1_14partition_implILS5_8ELb0ES3_jPKlPS6_PKS6_NS0_5tupleIJPlS6_EEENSE_IJSB_SB_EEENS0_18inequality_wrapperIN6hipcub16HIPCUB_304000_NS8EqualityEEESF_JS6_EEE10hipError_tPvRmT3_T4_T5_T6_T7_T9_mT8_P12ihipStream_tbDpT10_ENKUlT_T0_E_clISt17integral_constantIbLb0EES15_IbLb1EEEEDaS11_S12_EUlS11_E_NS1_11comp_targetILNS1_3genE4ELNS1_11target_archE910ELNS1_3gpuE8ELNS1_3repE0EEENS1_30default_config_static_selectorELNS0_4arch9wavefront6targetE1EEEvT1_,comdat
	.protected	_ZN7rocprim17ROCPRIM_400000_NS6detail17trampoline_kernelINS0_14default_configENS1_25partition_config_selectorILNS1_17partition_subalgoE8ElNS0_10empty_typeEbEEZZNS1_14partition_implILS5_8ELb0ES3_jPKlPS6_PKS6_NS0_5tupleIJPlS6_EEENSE_IJSB_SB_EEENS0_18inequality_wrapperIN6hipcub16HIPCUB_304000_NS8EqualityEEESF_JS6_EEE10hipError_tPvRmT3_T4_T5_T6_T7_T9_mT8_P12ihipStream_tbDpT10_ENKUlT_T0_E_clISt17integral_constantIbLb0EES15_IbLb1EEEEDaS11_S12_EUlS11_E_NS1_11comp_targetILNS1_3genE4ELNS1_11target_archE910ELNS1_3gpuE8ELNS1_3repE0EEENS1_30default_config_static_selectorELNS0_4arch9wavefront6targetE1EEEvT1_ ; -- Begin function _ZN7rocprim17ROCPRIM_400000_NS6detail17trampoline_kernelINS0_14default_configENS1_25partition_config_selectorILNS1_17partition_subalgoE8ElNS0_10empty_typeEbEEZZNS1_14partition_implILS5_8ELb0ES3_jPKlPS6_PKS6_NS0_5tupleIJPlS6_EEENSE_IJSB_SB_EEENS0_18inequality_wrapperIN6hipcub16HIPCUB_304000_NS8EqualityEEESF_JS6_EEE10hipError_tPvRmT3_T4_T5_T6_T7_T9_mT8_P12ihipStream_tbDpT10_ENKUlT_T0_E_clISt17integral_constantIbLb0EES15_IbLb1EEEEDaS11_S12_EUlS11_E_NS1_11comp_targetILNS1_3genE4ELNS1_11target_archE910ELNS1_3gpuE8ELNS1_3repE0EEENS1_30default_config_static_selectorELNS0_4arch9wavefront6targetE1EEEvT1_
	.globl	_ZN7rocprim17ROCPRIM_400000_NS6detail17trampoline_kernelINS0_14default_configENS1_25partition_config_selectorILNS1_17partition_subalgoE8ElNS0_10empty_typeEbEEZZNS1_14partition_implILS5_8ELb0ES3_jPKlPS6_PKS6_NS0_5tupleIJPlS6_EEENSE_IJSB_SB_EEENS0_18inequality_wrapperIN6hipcub16HIPCUB_304000_NS8EqualityEEESF_JS6_EEE10hipError_tPvRmT3_T4_T5_T6_T7_T9_mT8_P12ihipStream_tbDpT10_ENKUlT_T0_E_clISt17integral_constantIbLb0EES15_IbLb1EEEEDaS11_S12_EUlS11_E_NS1_11comp_targetILNS1_3genE4ELNS1_11target_archE910ELNS1_3gpuE8ELNS1_3repE0EEENS1_30default_config_static_selectorELNS0_4arch9wavefront6targetE1EEEvT1_
	.p2align	8
	.type	_ZN7rocprim17ROCPRIM_400000_NS6detail17trampoline_kernelINS0_14default_configENS1_25partition_config_selectorILNS1_17partition_subalgoE8ElNS0_10empty_typeEbEEZZNS1_14partition_implILS5_8ELb0ES3_jPKlPS6_PKS6_NS0_5tupleIJPlS6_EEENSE_IJSB_SB_EEENS0_18inequality_wrapperIN6hipcub16HIPCUB_304000_NS8EqualityEEESF_JS6_EEE10hipError_tPvRmT3_T4_T5_T6_T7_T9_mT8_P12ihipStream_tbDpT10_ENKUlT_T0_E_clISt17integral_constantIbLb0EES15_IbLb1EEEEDaS11_S12_EUlS11_E_NS1_11comp_targetILNS1_3genE4ELNS1_11target_archE910ELNS1_3gpuE8ELNS1_3repE0EEENS1_30default_config_static_selectorELNS0_4arch9wavefront6targetE1EEEvT1_,@function
_ZN7rocprim17ROCPRIM_400000_NS6detail17trampoline_kernelINS0_14default_configENS1_25partition_config_selectorILNS1_17partition_subalgoE8ElNS0_10empty_typeEbEEZZNS1_14partition_implILS5_8ELb0ES3_jPKlPS6_PKS6_NS0_5tupleIJPlS6_EEENSE_IJSB_SB_EEENS0_18inequality_wrapperIN6hipcub16HIPCUB_304000_NS8EqualityEEESF_JS6_EEE10hipError_tPvRmT3_T4_T5_T6_T7_T9_mT8_P12ihipStream_tbDpT10_ENKUlT_T0_E_clISt17integral_constantIbLb0EES15_IbLb1EEEEDaS11_S12_EUlS11_E_NS1_11comp_targetILNS1_3genE4ELNS1_11target_archE910ELNS1_3gpuE8ELNS1_3repE0EEENS1_30default_config_static_selectorELNS0_4arch9wavefront6targetE1EEEvT1_: ; @_ZN7rocprim17ROCPRIM_400000_NS6detail17trampoline_kernelINS0_14default_configENS1_25partition_config_selectorILNS1_17partition_subalgoE8ElNS0_10empty_typeEbEEZZNS1_14partition_implILS5_8ELb0ES3_jPKlPS6_PKS6_NS0_5tupleIJPlS6_EEENSE_IJSB_SB_EEENS0_18inequality_wrapperIN6hipcub16HIPCUB_304000_NS8EqualityEEESF_JS6_EEE10hipError_tPvRmT3_T4_T5_T6_T7_T9_mT8_P12ihipStream_tbDpT10_ENKUlT_T0_E_clISt17integral_constantIbLb0EES15_IbLb1EEEEDaS11_S12_EUlS11_E_NS1_11comp_targetILNS1_3genE4ELNS1_11target_archE910ELNS1_3gpuE8ELNS1_3repE0EEENS1_30default_config_static_selectorELNS0_4arch9wavefront6targetE1EEEvT1_
; %bb.0:
	.section	.rodata,"a",@progbits
	.p2align	6, 0x0
	.amdhsa_kernel _ZN7rocprim17ROCPRIM_400000_NS6detail17trampoline_kernelINS0_14default_configENS1_25partition_config_selectorILNS1_17partition_subalgoE8ElNS0_10empty_typeEbEEZZNS1_14partition_implILS5_8ELb0ES3_jPKlPS6_PKS6_NS0_5tupleIJPlS6_EEENSE_IJSB_SB_EEENS0_18inequality_wrapperIN6hipcub16HIPCUB_304000_NS8EqualityEEESF_JS6_EEE10hipError_tPvRmT3_T4_T5_T6_T7_T9_mT8_P12ihipStream_tbDpT10_ENKUlT_T0_E_clISt17integral_constantIbLb0EES15_IbLb1EEEEDaS11_S12_EUlS11_E_NS1_11comp_targetILNS1_3genE4ELNS1_11target_archE910ELNS1_3gpuE8ELNS1_3repE0EEENS1_30default_config_static_selectorELNS0_4arch9wavefront6targetE1EEEvT1_
		.amdhsa_group_segment_fixed_size 0
		.amdhsa_private_segment_fixed_size 0
		.amdhsa_kernarg_size 128
		.amdhsa_user_sgpr_count 2
		.amdhsa_user_sgpr_dispatch_ptr 0
		.amdhsa_user_sgpr_queue_ptr 0
		.amdhsa_user_sgpr_kernarg_segment_ptr 1
		.amdhsa_user_sgpr_dispatch_id 0
		.amdhsa_user_sgpr_kernarg_preload_length 0
		.amdhsa_user_sgpr_kernarg_preload_offset 0
		.amdhsa_user_sgpr_private_segment_size 0
		.amdhsa_uses_dynamic_stack 0
		.amdhsa_enable_private_segment 0
		.amdhsa_system_sgpr_workgroup_id_x 1
		.amdhsa_system_sgpr_workgroup_id_y 0
		.amdhsa_system_sgpr_workgroup_id_z 0
		.amdhsa_system_sgpr_workgroup_info 0
		.amdhsa_system_vgpr_workitem_id 0
		.amdhsa_next_free_vgpr 1
		.amdhsa_next_free_sgpr 0
		.amdhsa_accum_offset 4
		.amdhsa_reserve_vcc 0
		.amdhsa_float_round_mode_32 0
		.amdhsa_float_round_mode_16_64 0
		.amdhsa_float_denorm_mode_32 3
		.amdhsa_float_denorm_mode_16_64 3
		.amdhsa_dx10_clamp 1
		.amdhsa_ieee_mode 1
		.amdhsa_fp16_overflow 0
		.amdhsa_tg_split 0
		.amdhsa_exception_fp_ieee_invalid_op 0
		.amdhsa_exception_fp_denorm_src 0
		.amdhsa_exception_fp_ieee_div_zero 0
		.amdhsa_exception_fp_ieee_overflow 0
		.amdhsa_exception_fp_ieee_underflow 0
		.amdhsa_exception_fp_ieee_inexact 0
		.amdhsa_exception_int_div_zero 0
	.end_amdhsa_kernel
	.section	.text._ZN7rocprim17ROCPRIM_400000_NS6detail17trampoline_kernelINS0_14default_configENS1_25partition_config_selectorILNS1_17partition_subalgoE8ElNS0_10empty_typeEbEEZZNS1_14partition_implILS5_8ELb0ES3_jPKlPS6_PKS6_NS0_5tupleIJPlS6_EEENSE_IJSB_SB_EEENS0_18inequality_wrapperIN6hipcub16HIPCUB_304000_NS8EqualityEEESF_JS6_EEE10hipError_tPvRmT3_T4_T5_T6_T7_T9_mT8_P12ihipStream_tbDpT10_ENKUlT_T0_E_clISt17integral_constantIbLb0EES15_IbLb1EEEEDaS11_S12_EUlS11_E_NS1_11comp_targetILNS1_3genE4ELNS1_11target_archE910ELNS1_3gpuE8ELNS1_3repE0EEENS1_30default_config_static_selectorELNS0_4arch9wavefront6targetE1EEEvT1_,"axG",@progbits,_ZN7rocprim17ROCPRIM_400000_NS6detail17trampoline_kernelINS0_14default_configENS1_25partition_config_selectorILNS1_17partition_subalgoE8ElNS0_10empty_typeEbEEZZNS1_14partition_implILS5_8ELb0ES3_jPKlPS6_PKS6_NS0_5tupleIJPlS6_EEENSE_IJSB_SB_EEENS0_18inequality_wrapperIN6hipcub16HIPCUB_304000_NS8EqualityEEESF_JS6_EEE10hipError_tPvRmT3_T4_T5_T6_T7_T9_mT8_P12ihipStream_tbDpT10_ENKUlT_T0_E_clISt17integral_constantIbLb0EES15_IbLb1EEEEDaS11_S12_EUlS11_E_NS1_11comp_targetILNS1_3genE4ELNS1_11target_archE910ELNS1_3gpuE8ELNS1_3repE0EEENS1_30default_config_static_selectorELNS0_4arch9wavefront6targetE1EEEvT1_,comdat
.Lfunc_end252:
	.size	_ZN7rocprim17ROCPRIM_400000_NS6detail17trampoline_kernelINS0_14default_configENS1_25partition_config_selectorILNS1_17partition_subalgoE8ElNS0_10empty_typeEbEEZZNS1_14partition_implILS5_8ELb0ES3_jPKlPS6_PKS6_NS0_5tupleIJPlS6_EEENSE_IJSB_SB_EEENS0_18inequality_wrapperIN6hipcub16HIPCUB_304000_NS8EqualityEEESF_JS6_EEE10hipError_tPvRmT3_T4_T5_T6_T7_T9_mT8_P12ihipStream_tbDpT10_ENKUlT_T0_E_clISt17integral_constantIbLb0EES15_IbLb1EEEEDaS11_S12_EUlS11_E_NS1_11comp_targetILNS1_3genE4ELNS1_11target_archE910ELNS1_3gpuE8ELNS1_3repE0EEENS1_30default_config_static_selectorELNS0_4arch9wavefront6targetE1EEEvT1_, .Lfunc_end252-_ZN7rocprim17ROCPRIM_400000_NS6detail17trampoline_kernelINS0_14default_configENS1_25partition_config_selectorILNS1_17partition_subalgoE8ElNS0_10empty_typeEbEEZZNS1_14partition_implILS5_8ELb0ES3_jPKlPS6_PKS6_NS0_5tupleIJPlS6_EEENSE_IJSB_SB_EEENS0_18inequality_wrapperIN6hipcub16HIPCUB_304000_NS8EqualityEEESF_JS6_EEE10hipError_tPvRmT3_T4_T5_T6_T7_T9_mT8_P12ihipStream_tbDpT10_ENKUlT_T0_E_clISt17integral_constantIbLb0EES15_IbLb1EEEEDaS11_S12_EUlS11_E_NS1_11comp_targetILNS1_3genE4ELNS1_11target_archE910ELNS1_3gpuE8ELNS1_3repE0EEENS1_30default_config_static_selectorELNS0_4arch9wavefront6targetE1EEEvT1_
                                        ; -- End function
	.set _ZN7rocprim17ROCPRIM_400000_NS6detail17trampoline_kernelINS0_14default_configENS1_25partition_config_selectorILNS1_17partition_subalgoE8ElNS0_10empty_typeEbEEZZNS1_14partition_implILS5_8ELb0ES3_jPKlPS6_PKS6_NS0_5tupleIJPlS6_EEENSE_IJSB_SB_EEENS0_18inequality_wrapperIN6hipcub16HIPCUB_304000_NS8EqualityEEESF_JS6_EEE10hipError_tPvRmT3_T4_T5_T6_T7_T9_mT8_P12ihipStream_tbDpT10_ENKUlT_T0_E_clISt17integral_constantIbLb0EES15_IbLb1EEEEDaS11_S12_EUlS11_E_NS1_11comp_targetILNS1_3genE4ELNS1_11target_archE910ELNS1_3gpuE8ELNS1_3repE0EEENS1_30default_config_static_selectorELNS0_4arch9wavefront6targetE1EEEvT1_.num_vgpr, 0
	.set _ZN7rocprim17ROCPRIM_400000_NS6detail17trampoline_kernelINS0_14default_configENS1_25partition_config_selectorILNS1_17partition_subalgoE8ElNS0_10empty_typeEbEEZZNS1_14partition_implILS5_8ELb0ES3_jPKlPS6_PKS6_NS0_5tupleIJPlS6_EEENSE_IJSB_SB_EEENS0_18inequality_wrapperIN6hipcub16HIPCUB_304000_NS8EqualityEEESF_JS6_EEE10hipError_tPvRmT3_T4_T5_T6_T7_T9_mT8_P12ihipStream_tbDpT10_ENKUlT_T0_E_clISt17integral_constantIbLb0EES15_IbLb1EEEEDaS11_S12_EUlS11_E_NS1_11comp_targetILNS1_3genE4ELNS1_11target_archE910ELNS1_3gpuE8ELNS1_3repE0EEENS1_30default_config_static_selectorELNS0_4arch9wavefront6targetE1EEEvT1_.num_agpr, 0
	.set _ZN7rocprim17ROCPRIM_400000_NS6detail17trampoline_kernelINS0_14default_configENS1_25partition_config_selectorILNS1_17partition_subalgoE8ElNS0_10empty_typeEbEEZZNS1_14partition_implILS5_8ELb0ES3_jPKlPS6_PKS6_NS0_5tupleIJPlS6_EEENSE_IJSB_SB_EEENS0_18inequality_wrapperIN6hipcub16HIPCUB_304000_NS8EqualityEEESF_JS6_EEE10hipError_tPvRmT3_T4_T5_T6_T7_T9_mT8_P12ihipStream_tbDpT10_ENKUlT_T0_E_clISt17integral_constantIbLb0EES15_IbLb1EEEEDaS11_S12_EUlS11_E_NS1_11comp_targetILNS1_3genE4ELNS1_11target_archE910ELNS1_3gpuE8ELNS1_3repE0EEENS1_30default_config_static_selectorELNS0_4arch9wavefront6targetE1EEEvT1_.numbered_sgpr, 0
	.set _ZN7rocprim17ROCPRIM_400000_NS6detail17trampoline_kernelINS0_14default_configENS1_25partition_config_selectorILNS1_17partition_subalgoE8ElNS0_10empty_typeEbEEZZNS1_14partition_implILS5_8ELb0ES3_jPKlPS6_PKS6_NS0_5tupleIJPlS6_EEENSE_IJSB_SB_EEENS0_18inequality_wrapperIN6hipcub16HIPCUB_304000_NS8EqualityEEESF_JS6_EEE10hipError_tPvRmT3_T4_T5_T6_T7_T9_mT8_P12ihipStream_tbDpT10_ENKUlT_T0_E_clISt17integral_constantIbLb0EES15_IbLb1EEEEDaS11_S12_EUlS11_E_NS1_11comp_targetILNS1_3genE4ELNS1_11target_archE910ELNS1_3gpuE8ELNS1_3repE0EEENS1_30default_config_static_selectorELNS0_4arch9wavefront6targetE1EEEvT1_.num_named_barrier, 0
	.set _ZN7rocprim17ROCPRIM_400000_NS6detail17trampoline_kernelINS0_14default_configENS1_25partition_config_selectorILNS1_17partition_subalgoE8ElNS0_10empty_typeEbEEZZNS1_14partition_implILS5_8ELb0ES3_jPKlPS6_PKS6_NS0_5tupleIJPlS6_EEENSE_IJSB_SB_EEENS0_18inequality_wrapperIN6hipcub16HIPCUB_304000_NS8EqualityEEESF_JS6_EEE10hipError_tPvRmT3_T4_T5_T6_T7_T9_mT8_P12ihipStream_tbDpT10_ENKUlT_T0_E_clISt17integral_constantIbLb0EES15_IbLb1EEEEDaS11_S12_EUlS11_E_NS1_11comp_targetILNS1_3genE4ELNS1_11target_archE910ELNS1_3gpuE8ELNS1_3repE0EEENS1_30default_config_static_selectorELNS0_4arch9wavefront6targetE1EEEvT1_.private_seg_size, 0
	.set _ZN7rocprim17ROCPRIM_400000_NS6detail17trampoline_kernelINS0_14default_configENS1_25partition_config_selectorILNS1_17partition_subalgoE8ElNS0_10empty_typeEbEEZZNS1_14partition_implILS5_8ELb0ES3_jPKlPS6_PKS6_NS0_5tupleIJPlS6_EEENSE_IJSB_SB_EEENS0_18inequality_wrapperIN6hipcub16HIPCUB_304000_NS8EqualityEEESF_JS6_EEE10hipError_tPvRmT3_T4_T5_T6_T7_T9_mT8_P12ihipStream_tbDpT10_ENKUlT_T0_E_clISt17integral_constantIbLb0EES15_IbLb1EEEEDaS11_S12_EUlS11_E_NS1_11comp_targetILNS1_3genE4ELNS1_11target_archE910ELNS1_3gpuE8ELNS1_3repE0EEENS1_30default_config_static_selectorELNS0_4arch9wavefront6targetE1EEEvT1_.uses_vcc, 0
	.set _ZN7rocprim17ROCPRIM_400000_NS6detail17trampoline_kernelINS0_14default_configENS1_25partition_config_selectorILNS1_17partition_subalgoE8ElNS0_10empty_typeEbEEZZNS1_14partition_implILS5_8ELb0ES3_jPKlPS6_PKS6_NS0_5tupleIJPlS6_EEENSE_IJSB_SB_EEENS0_18inequality_wrapperIN6hipcub16HIPCUB_304000_NS8EqualityEEESF_JS6_EEE10hipError_tPvRmT3_T4_T5_T6_T7_T9_mT8_P12ihipStream_tbDpT10_ENKUlT_T0_E_clISt17integral_constantIbLb0EES15_IbLb1EEEEDaS11_S12_EUlS11_E_NS1_11comp_targetILNS1_3genE4ELNS1_11target_archE910ELNS1_3gpuE8ELNS1_3repE0EEENS1_30default_config_static_selectorELNS0_4arch9wavefront6targetE1EEEvT1_.uses_flat_scratch, 0
	.set _ZN7rocprim17ROCPRIM_400000_NS6detail17trampoline_kernelINS0_14default_configENS1_25partition_config_selectorILNS1_17partition_subalgoE8ElNS0_10empty_typeEbEEZZNS1_14partition_implILS5_8ELb0ES3_jPKlPS6_PKS6_NS0_5tupleIJPlS6_EEENSE_IJSB_SB_EEENS0_18inequality_wrapperIN6hipcub16HIPCUB_304000_NS8EqualityEEESF_JS6_EEE10hipError_tPvRmT3_T4_T5_T6_T7_T9_mT8_P12ihipStream_tbDpT10_ENKUlT_T0_E_clISt17integral_constantIbLb0EES15_IbLb1EEEEDaS11_S12_EUlS11_E_NS1_11comp_targetILNS1_3genE4ELNS1_11target_archE910ELNS1_3gpuE8ELNS1_3repE0EEENS1_30default_config_static_selectorELNS0_4arch9wavefront6targetE1EEEvT1_.has_dyn_sized_stack, 0
	.set _ZN7rocprim17ROCPRIM_400000_NS6detail17trampoline_kernelINS0_14default_configENS1_25partition_config_selectorILNS1_17partition_subalgoE8ElNS0_10empty_typeEbEEZZNS1_14partition_implILS5_8ELb0ES3_jPKlPS6_PKS6_NS0_5tupleIJPlS6_EEENSE_IJSB_SB_EEENS0_18inequality_wrapperIN6hipcub16HIPCUB_304000_NS8EqualityEEESF_JS6_EEE10hipError_tPvRmT3_T4_T5_T6_T7_T9_mT8_P12ihipStream_tbDpT10_ENKUlT_T0_E_clISt17integral_constantIbLb0EES15_IbLb1EEEEDaS11_S12_EUlS11_E_NS1_11comp_targetILNS1_3genE4ELNS1_11target_archE910ELNS1_3gpuE8ELNS1_3repE0EEENS1_30default_config_static_selectorELNS0_4arch9wavefront6targetE1EEEvT1_.has_recursion, 0
	.set _ZN7rocprim17ROCPRIM_400000_NS6detail17trampoline_kernelINS0_14default_configENS1_25partition_config_selectorILNS1_17partition_subalgoE8ElNS0_10empty_typeEbEEZZNS1_14partition_implILS5_8ELb0ES3_jPKlPS6_PKS6_NS0_5tupleIJPlS6_EEENSE_IJSB_SB_EEENS0_18inequality_wrapperIN6hipcub16HIPCUB_304000_NS8EqualityEEESF_JS6_EEE10hipError_tPvRmT3_T4_T5_T6_T7_T9_mT8_P12ihipStream_tbDpT10_ENKUlT_T0_E_clISt17integral_constantIbLb0EES15_IbLb1EEEEDaS11_S12_EUlS11_E_NS1_11comp_targetILNS1_3genE4ELNS1_11target_archE910ELNS1_3gpuE8ELNS1_3repE0EEENS1_30default_config_static_selectorELNS0_4arch9wavefront6targetE1EEEvT1_.has_indirect_call, 0
	.section	.AMDGPU.csdata,"",@progbits
; Kernel info:
; codeLenInByte = 0
; TotalNumSgprs: 6
; NumVgprs: 0
; NumAgprs: 0
; TotalNumVgprs: 0
; ScratchSize: 0
; MemoryBound: 0
; FloatMode: 240
; IeeeMode: 1
; LDSByteSize: 0 bytes/workgroup (compile time only)
; SGPRBlocks: 0
; VGPRBlocks: 0
; NumSGPRsForWavesPerEU: 6
; NumVGPRsForWavesPerEU: 1
; AccumOffset: 4
; Occupancy: 8
; WaveLimiterHint : 0
; COMPUTE_PGM_RSRC2:SCRATCH_EN: 0
; COMPUTE_PGM_RSRC2:USER_SGPR: 2
; COMPUTE_PGM_RSRC2:TRAP_HANDLER: 0
; COMPUTE_PGM_RSRC2:TGID_X_EN: 1
; COMPUTE_PGM_RSRC2:TGID_Y_EN: 0
; COMPUTE_PGM_RSRC2:TGID_Z_EN: 0
; COMPUTE_PGM_RSRC2:TIDIG_COMP_CNT: 0
; COMPUTE_PGM_RSRC3_GFX90A:ACCUM_OFFSET: 0
; COMPUTE_PGM_RSRC3_GFX90A:TG_SPLIT: 0
	.section	.text._ZN7rocprim17ROCPRIM_400000_NS6detail17trampoline_kernelINS0_14default_configENS1_25partition_config_selectorILNS1_17partition_subalgoE8ElNS0_10empty_typeEbEEZZNS1_14partition_implILS5_8ELb0ES3_jPKlPS6_PKS6_NS0_5tupleIJPlS6_EEENSE_IJSB_SB_EEENS0_18inequality_wrapperIN6hipcub16HIPCUB_304000_NS8EqualityEEESF_JS6_EEE10hipError_tPvRmT3_T4_T5_T6_T7_T9_mT8_P12ihipStream_tbDpT10_ENKUlT_T0_E_clISt17integral_constantIbLb0EES15_IbLb1EEEEDaS11_S12_EUlS11_E_NS1_11comp_targetILNS1_3genE3ELNS1_11target_archE908ELNS1_3gpuE7ELNS1_3repE0EEENS1_30default_config_static_selectorELNS0_4arch9wavefront6targetE1EEEvT1_,"axG",@progbits,_ZN7rocprim17ROCPRIM_400000_NS6detail17trampoline_kernelINS0_14default_configENS1_25partition_config_selectorILNS1_17partition_subalgoE8ElNS0_10empty_typeEbEEZZNS1_14partition_implILS5_8ELb0ES3_jPKlPS6_PKS6_NS0_5tupleIJPlS6_EEENSE_IJSB_SB_EEENS0_18inequality_wrapperIN6hipcub16HIPCUB_304000_NS8EqualityEEESF_JS6_EEE10hipError_tPvRmT3_T4_T5_T6_T7_T9_mT8_P12ihipStream_tbDpT10_ENKUlT_T0_E_clISt17integral_constantIbLb0EES15_IbLb1EEEEDaS11_S12_EUlS11_E_NS1_11comp_targetILNS1_3genE3ELNS1_11target_archE908ELNS1_3gpuE7ELNS1_3repE0EEENS1_30default_config_static_selectorELNS0_4arch9wavefront6targetE1EEEvT1_,comdat
	.protected	_ZN7rocprim17ROCPRIM_400000_NS6detail17trampoline_kernelINS0_14default_configENS1_25partition_config_selectorILNS1_17partition_subalgoE8ElNS0_10empty_typeEbEEZZNS1_14partition_implILS5_8ELb0ES3_jPKlPS6_PKS6_NS0_5tupleIJPlS6_EEENSE_IJSB_SB_EEENS0_18inequality_wrapperIN6hipcub16HIPCUB_304000_NS8EqualityEEESF_JS6_EEE10hipError_tPvRmT3_T4_T5_T6_T7_T9_mT8_P12ihipStream_tbDpT10_ENKUlT_T0_E_clISt17integral_constantIbLb0EES15_IbLb1EEEEDaS11_S12_EUlS11_E_NS1_11comp_targetILNS1_3genE3ELNS1_11target_archE908ELNS1_3gpuE7ELNS1_3repE0EEENS1_30default_config_static_selectorELNS0_4arch9wavefront6targetE1EEEvT1_ ; -- Begin function _ZN7rocprim17ROCPRIM_400000_NS6detail17trampoline_kernelINS0_14default_configENS1_25partition_config_selectorILNS1_17partition_subalgoE8ElNS0_10empty_typeEbEEZZNS1_14partition_implILS5_8ELb0ES3_jPKlPS6_PKS6_NS0_5tupleIJPlS6_EEENSE_IJSB_SB_EEENS0_18inequality_wrapperIN6hipcub16HIPCUB_304000_NS8EqualityEEESF_JS6_EEE10hipError_tPvRmT3_T4_T5_T6_T7_T9_mT8_P12ihipStream_tbDpT10_ENKUlT_T0_E_clISt17integral_constantIbLb0EES15_IbLb1EEEEDaS11_S12_EUlS11_E_NS1_11comp_targetILNS1_3genE3ELNS1_11target_archE908ELNS1_3gpuE7ELNS1_3repE0EEENS1_30default_config_static_selectorELNS0_4arch9wavefront6targetE1EEEvT1_
	.globl	_ZN7rocprim17ROCPRIM_400000_NS6detail17trampoline_kernelINS0_14default_configENS1_25partition_config_selectorILNS1_17partition_subalgoE8ElNS0_10empty_typeEbEEZZNS1_14partition_implILS5_8ELb0ES3_jPKlPS6_PKS6_NS0_5tupleIJPlS6_EEENSE_IJSB_SB_EEENS0_18inequality_wrapperIN6hipcub16HIPCUB_304000_NS8EqualityEEESF_JS6_EEE10hipError_tPvRmT3_T4_T5_T6_T7_T9_mT8_P12ihipStream_tbDpT10_ENKUlT_T0_E_clISt17integral_constantIbLb0EES15_IbLb1EEEEDaS11_S12_EUlS11_E_NS1_11comp_targetILNS1_3genE3ELNS1_11target_archE908ELNS1_3gpuE7ELNS1_3repE0EEENS1_30default_config_static_selectorELNS0_4arch9wavefront6targetE1EEEvT1_
	.p2align	8
	.type	_ZN7rocprim17ROCPRIM_400000_NS6detail17trampoline_kernelINS0_14default_configENS1_25partition_config_selectorILNS1_17partition_subalgoE8ElNS0_10empty_typeEbEEZZNS1_14partition_implILS5_8ELb0ES3_jPKlPS6_PKS6_NS0_5tupleIJPlS6_EEENSE_IJSB_SB_EEENS0_18inequality_wrapperIN6hipcub16HIPCUB_304000_NS8EqualityEEESF_JS6_EEE10hipError_tPvRmT3_T4_T5_T6_T7_T9_mT8_P12ihipStream_tbDpT10_ENKUlT_T0_E_clISt17integral_constantIbLb0EES15_IbLb1EEEEDaS11_S12_EUlS11_E_NS1_11comp_targetILNS1_3genE3ELNS1_11target_archE908ELNS1_3gpuE7ELNS1_3repE0EEENS1_30default_config_static_selectorELNS0_4arch9wavefront6targetE1EEEvT1_,@function
_ZN7rocprim17ROCPRIM_400000_NS6detail17trampoline_kernelINS0_14default_configENS1_25partition_config_selectorILNS1_17partition_subalgoE8ElNS0_10empty_typeEbEEZZNS1_14partition_implILS5_8ELb0ES3_jPKlPS6_PKS6_NS0_5tupleIJPlS6_EEENSE_IJSB_SB_EEENS0_18inequality_wrapperIN6hipcub16HIPCUB_304000_NS8EqualityEEESF_JS6_EEE10hipError_tPvRmT3_T4_T5_T6_T7_T9_mT8_P12ihipStream_tbDpT10_ENKUlT_T0_E_clISt17integral_constantIbLb0EES15_IbLb1EEEEDaS11_S12_EUlS11_E_NS1_11comp_targetILNS1_3genE3ELNS1_11target_archE908ELNS1_3gpuE7ELNS1_3repE0EEENS1_30default_config_static_selectorELNS0_4arch9wavefront6targetE1EEEvT1_: ; @_ZN7rocprim17ROCPRIM_400000_NS6detail17trampoline_kernelINS0_14default_configENS1_25partition_config_selectorILNS1_17partition_subalgoE8ElNS0_10empty_typeEbEEZZNS1_14partition_implILS5_8ELb0ES3_jPKlPS6_PKS6_NS0_5tupleIJPlS6_EEENSE_IJSB_SB_EEENS0_18inequality_wrapperIN6hipcub16HIPCUB_304000_NS8EqualityEEESF_JS6_EEE10hipError_tPvRmT3_T4_T5_T6_T7_T9_mT8_P12ihipStream_tbDpT10_ENKUlT_T0_E_clISt17integral_constantIbLb0EES15_IbLb1EEEEDaS11_S12_EUlS11_E_NS1_11comp_targetILNS1_3genE3ELNS1_11target_archE908ELNS1_3gpuE7ELNS1_3repE0EEENS1_30default_config_static_selectorELNS0_4arch9wavefront6targetE1EEEvT1_
; %bb.0:
	.section	.rodata,"a",@progbits
	.p2align	6, 0x0
	.amdhsa_kernel _ZN7rocprim17ROCPRIM_400000_NS6detail17trampoline_kernelINS0_14default_configENS1_25partition_config_selectorILNS1_17partition_subalgoE8ElNS0_10empty_typeEbEEZZNS1_14partition_implILS5_8ELb0ES3_jPKlPS6_PKS6_NS0_5tupleIJPlS6_EEENSE_IJSB_SB_EEENS0_18inequality_wrapperIN6hipcub16HIPCUB_304000_NS8EqualityEEESF_JS6_EEE10hipError_tPvRmT3_T4_T5_T6_T7_T9_mT8_P12ihipStream_tbDpT10_ENKUlT_T0_E_clISt17integral_constantIbLb0EES15_IbLb1EEEEDaS11_S12_EUlS11_E_NS1_11comp_targetILNS1_3genE3ELNS1_11target_archE908ELNS1_3gpuE7ELNS1_3repE0EEENS1_30default_config_static_selectorELNS0_4arch9wavefront6targetE1EEEvT1_
		.amdhsa_group_segment_fixed_size 0
		.amdhsa_private_segment_fixed_size 0
		.amdhsa_kernarg_size 128
		.amdhsa_user_sgpr_count 2
		.amdhsa_user_sgpr_dispatch_ptr 0
		.amdhsa_user_sgpr_queue_ptr 0
		.amdhsa_user_sgpr_kernarg_segment_ptr 1
		.amdhsa_user_sgpr_dispatch_id 0
		.amdhsa_user_sgpr_kernarg_preload_length 0
		.amdhsa_user_sgpr_kernarg_preload_offset 0
		.amdhsa_user_sgpr_private_segment_size 0
		.amdhsa_uses_dynamic_stack 0
		.amdhsa_enable_private_segment 0
		.amdhsa_system_sgpr_workgroup_id_x 1
		.amdhsa_system_sgpr_workgroup_id_y 0
		.amdhsa_system_sgpr_workgroup_id_z 0
		.amdhsa_system_sgpr_workgroup_info 0
		.amdhsa_system_vgpr_workitem_id 0
		.amdhsa_next_free_vgpr 1
		.amdhsa_next_free_sgpr 0
		.amdhsa_accum_offset 4
		.amdhsa_reserve_vcc 0
		.amdhsa_float_round_mode_32 0
		.amdhsa_float_round_mode_16_64 0
		.amdhsa_float_denorm_mode_32 3
		.amdhsa_float_denorm_mode_16_64 3
		.amdhsa_dx10_clamp 1
		.amdhsa_ieee_mode 1
		.amdhsa_fp16_overflow 0
		.amdhsa_tg_split 0
		.amdhsa_exception_fp_ieee_invalid_op 0
		.amdhsa_exception_fp_denorm_src 0
		.amdhsa_exception_fp_ieee_div_zero 0
		.amdhsa_exception_fp_ieee_overflow 0
		.amdhsa_exception_fp_ieee_underflow 0
		.amdhsa_exception_fp_ieee_inexact 0
		.amdhsa_exception_int_div_zero 0
	.end_amdhsa_kernel
	.section	.text._ZN7rocprim17ROCPRIM_400000_NS6detail17trampoline_kernelINS0_14default_configENS1_25partition_config_selectorILNS1_17partition_subalgoE8ElNS0_10empty_typeEbEEZZNS1_14partition_implILS5_8ELb0ES3_jPKlPS6_PKS6_NS0_5tupleIJPlS6_EEENSE_IJSB_SB_EEENS0_18inequality_wrapperIN6hipcub16HIPCUB_304000_NS8EqualityEEESF_JS6_EEE10hipError_tPvRmT3_T4_T5_T6_T7_T9_mT8_P12ihipStream_tbDpT10_ENKUlT_T0_E_clISt17integral_constantIbLb0EES15_IbLb1EEEEDaS11_S12_EUlS11_E_NS1_11comp_targetILNS1_3genE3ELNS1_11target_archE908ELNS1_3gpuE7ELNS1_3repE0EEENS1_30default_config_static_selectorELNS0_4arch9wavefront6targetE1EEEvT1_,"axG",@progbits,_ZN7rocprim17ROCPRIM_400000_NS6detail17trampoline_kernelINS0_14default_configENS1_25partition_config_selectorILNS1_17partition_subalgoE8ElNS0_10empty_typeEbEEZZNS1_14partition_implILS5_8ELb0ES3_jPKlPS6_PKS6_NS0_5tupleIJPlS6_EEENSE_IJSB_SB_EEENS0_18inequality_wrapperIN6hipcub16HIPCUB_304000_NS8EqualityEEESF_JS6_EEE10hipError_tPvRmT3_T4_T5_T6_T7_T9_mT8_P12ihipStream_tbDpT10_ENKUlT_T0_E_clISt17integral_constantIbLb0EES15_IbLb1EEEEDaS11_S12_EUlS11_E_NS1_11comp_targetILNS1_3genE3ELNS1_11target_archE908ELNS1_3gpuE7ELNS1_3repE0EEENS1_30default_config_static_selectorELNS0_4arch9wavefront6targetE1EEEvT1_,comdat
.Lfunc_end253:
	.size	_ZN7rocprim17ROCPRIM_400000_NS6detail17trampoline_kernelINS0_14default_configENS1_25partition_config_selectorILNS1_17partition_subalgoE8ElNS0_10empty_typeEbEEZZNS1_14partition_implILS5_8ELb0ES3_jPKlPS6_PKS6_NS0_5tupleIJPlS6_EEENSE_IJSB_SB_EEENS0_18inequality_wrapperIN6hipcub16HIPCUB_304000_NS8EqualityEEESF_JS6_EEE10hipError_tPvRmT3_T4_T5_T6_T7_T9_mT8_P12ihipStream_tbDpT10_ENKUlT_T0_E_clISt17integral_constantIbLb0EES15_IbLb1EEEEDaS11_S12_EUlS11_E_NS1_11comp_targetILNS1_3genE3ELNS1_11target_archE908ELNS1_3gpuE7ELNS1_3repE0EEENS1_30default_config_static_selectorELNS0_4arch9wavefront6targetE1EEEvT1_, .Lfunc_end253-_ZN7rocprim17ROCPRIM_400000_NS6detail17trampoline_kernelINS0_14default_configENS1_25partition_config_selectorILNS1_17partition_subalgoE8ElNS0_10empty_typeEbEEZZNS1_14partition_implILS5_8ELb0ES3_jPKlPS6_PKS6_NS0_5tupleIJPlS6_EEENSE_IJSB_SB_EEENS0_18inequality_wrapperIN6hipcub16HIPCUB_304000_NS8EqualityEEESF_JS6_EEE10hipError_tPvRmT3_T4_T5_T6_T7_T9_mT8_P12ihipStream_tbDpT10_ENKUlT_T0_E_clISt17integral_constantIbLb0EES15_IbLb1EEEEDaS11_S12_EUlS11_E_NS1_11comp_targetILNS1_3genE3ELNS1_11target_archE908ELNS1_3gpuE7ELNS1_3repE0EEENS1_30default_config_static_selectorELNS0_4arch9wavefront6targetE1EEEvT1_
                                        ; -- End function
	.set _ZN7rocprim17ROCPRIM_400000_NS6detail17trampoline_kernelINS0_14default_configENS1_25partition_config_selectorILNS1_17partition_subalgoE8ElNS0_10empty_typeEbEEZZNS1_14partition_implILS5_8ELb0ES3_jPKlPS6_PKS6_NS0_5tupleIJPlS6_EEENSE_IJSB_SB_EEENS0_18inequality_wrapperIN6hipcub16HIPCUB_304000_NS8EqualityEEESF_JS6_EEE10hipError_tPvRmT3_T4_T5_T6_T7_T9_mT8_P12ihipStream_tbDpT10_ENKUlT_T0_E_clISt17integral_constantIbLb0EES15_IbLb1EEEEDaS11_S12_EUlS11_E_NS1_11comp_targetILNS1_3genE3ELNS1_11target_archE908ELNS1_3gpuE7ELNS1_3repE0EEENS1_30default_config_static_selectorELNS0_4arch9wavefront6targetE1EEEvT1_.num_vgpr, 0
	.set _ZN7rocprim17ROCPRIM_400000_NS6detail17trampoline_kernelINS0_14default_configENS1_25partition_config_selectorILNS1_17partition_subalgoE8ElNS0_10empty_typeEbEEZZNS1_14partition_implILS5_8ELb0ES3_jPKlPS6_PKS6_NS0_5tupleIJPlS6_EEENSE_IJSB_SB_EEENS0_18inequality_wrapperIN6hipcub16HIPCUB_304000_NS8EqualityEEESF_JS6_EEE10hipError_tPvRmT3_T4_T5_T6_T7_T9_mT8_P12ihipStream_tbDpT10_ENKUlT_T0_E_clISt17integral_constantIbLb0EES15_IbLb1EEEEDaS11_S12_EUlS11_E_NS1_11comp_targetILNS1_3genE3ELNS1_11target_archE908ELNS1_3gpuE7ELNS1_3repE0EEENS1_30default_config_static_selectorELNS0_4arch9wavefront6targetE1EEEvT1_.num_agpr, 0
	.set _ZN7rocprim17ROCPRIM_400000_NS6detail17trampoline_kernelINS0_14default_configENS1_25partition_config_selectorILNS1_17partition_subalgoE8ElNS0_10empty_typeEbEEZZNS1_14partition_implILS5_8ELb0ES3_jPKlPS6_PKS6_NS0_5tupleIJPlS6_EEENSE_IJSB_SB_EEENS0_18inequality_wrapperIN6hipcub16HIPCUB_304000_NS8EqualityEEESF_JS6_EEE10hipError_tPvRmT3_T4_T5_T6_T7_T9_mT8_P12ihipStream_tbDpT10_ENKUlT_T0_E_clISt17integral_constantIbLb0EES15_IbLb1EEEEDaS11_S12_EUlS11_E_NS1_11comp_targetILNS1_3genE3ELNS1_11target_archE908ELNS1_3gpuE7ELNS1_3repE0EEENS1_30default_config_static_selectorELNS0_4arch9wavefront6targetE1EEEvT1_.numbered_sgpr, 0
	.set _ZN7rocprim17ROCPRIM_400000_NS6detail17trampoline_kernelINS0_14default_configENS1_25partition_config_selectorILNS1_17partition_subalgoE8ElNS0_10empty_typeEbEEZZNS1_14partition_implILS5_8ELb0ES3_jPKlPS6_PKS6_NS0_5tupleIJPlS6_EEENSE_IJSB_SB_EEENS0_18inequality_wrapperIN6hipcub16HIPCUB_304000_NS8EqualityEEESF_JS6_EEE10hipError_tPvRmT3_T4_T5_T6_T7_T9_mT8_P12ihipStream_tbDpT10_ENKUlT_T0_E_clISt17integral_constantIbLb0EES15_IbLb1EEEEDaS11_S12_EUlS11_E_NS1_11comp_targetILNS1_3genE3ELNS1_11target_archE908ELNS1_3gpuE7ELNS1_3repE0EEENS1_30default_config_static_selectorELNS0_4arch9wavefront6targetE1EEEvT1_.num_named_barrier, 0
	.set _ZN7rocprim17ROCPRIM_400000_NS6detail17trampoline_kernelINS0_14default_configENS1_25partition_config_selectorILNS1_17partition_subalgoE8ElNS0_10empty_typeEbEEZZNS1_14partition_implILS5_8ELb0ES3_jPKlPS6_PKS6_NS0_5tupleIJPlS6_EEENSE_IJSB_SB_EEENS0_18inequality_wrapperIN6hipcub16HIPCUB_304000_NS8EqualityEEESF_JS6_EEE10hipError_tPvRmT3_T4_T5_T6_T7_T9_mT8_P12ihipStream_tbDpT10_ENKUlT_T0_E_clISt17integral_constantIbLb0EES15_IbLb1EEEEDaS11_S12_EUlS11_E_NS1_11comp_targetILNS1_3genE3ELNS1_11target_archE908ELNS1_3gpuE7ELNS1_3repE0EEENS1_30default_config_static_selectorELNS0_4arch9wavefront6targetE1EEEvT1_.private_seg_size, 0
	.set _ZN7rocprim17ROCPRIM_400000_NS6detail17trampoline_kernelINS0_14default_configENS1_25partition_config_selectorILNS1_17partition_subalgoE8ElNS0_10empty_typeEbEEZZNS1_14partition_implILS5_8ELb0ES3_jPKlPS6_PKS6_NS0_5tupleIJPlS6_EEENSE_IJSB_SB_EEENS0_18inequality_wrapperIN6hipcub16HIPCUB_304000_NS8EqualityEEESF_JS6_EEE10hipError_tPvRmT3_T4_T5_T6_T7_T9_mT8_P12ihipStream_tbDpT10_ENKUlT_T0_E_clISt17integral_constantIbLb0EES15_IbLb1EEEEDaS11_S12_EUlS11_E_NS1_11comp_targetILNS1_3genE3ELNS1_11target_archE908ELNS1_3gpuE7ELNS1_3repE0EEENS1_30default_config_static_selectorELNS0_4arch9wavefront6targetE1EEEvT1_.uses_vcc, 0
	.set _ZN7rocprim17ROCPRIM_400000_NS6detail17trampoline_kernelINS0_14default_configENS1_25partition_config_selectorILNS1_17partition_subalgoE8ElNS0_10empty_typeEbEEZZNS1_14partition_implILS5_8ELb0ES3_jPKlPS6_PKS6_NS0_5tupleIJPlS6_EEENSE_IJSB_SB_EEENS0_18inequality_wrapperIN6hipcub16HIPCUB_304000_NS8EqualityEEESF_JS6_EEE10hipError_tPvRmT3_T4_T5_T6_T7_T9_mT8_P12ihipStream_tbDpT10_ENKUlT_T0_E_clISt17integral_constantIbLb0EES15_IbLb1EEEEDaS11_S12_EUlS11_E_NS1_11comp_targetILNS1_3genE3ELNS1_11target_archE908ELNS1_3gpuE7ELNS1_3repE0EEENS1_30default_config_static_selectorELNS0_4arch9wavefront6targetE1EEEvT1_.uses_flat_scratch, 0
	.set _ZN7rocprim17ROCPRIM_400000_NS6detail17trampoline_kernelINS0_14default_configENS1_25partition_config_selectorILNS1_17partition_subalgoE8ElNS0_10empty_typeEbEEZZNS1_14partition_implILS5_8ELb0ES3_jPKlPS6_PKS6_NS0_5tupleIJPlS6_EEENSE_IJSB_SB_EEENS0_18inequality_wrapperIN6hipcub16HIPCUB_304000_NS8EqualityEEESF_JS6_EEE10hipError_tPvRmT3_T4_T5_T6_T7_T9_mT8_P12ihipStream_tbDpT10_ENKUlT_T0_E_clISt17integral_constantIbLb0EES15_IbLb1EEEEDaS11_S12_EUlS11_E_NS1_11comp_targetILNS1_3genE3ELNS1_11target_archE908ELNS1_3gpuE7ELNS1_3repE0EEENS1_30default_config_static_selectorELNS0_4arch9wavefront6targetE1EEEvT1_.has_dyn_sized_stack, 0
	.set _ZN7rocprim17ROCPRIM_400000_NS6detail17trampoline_kernelINS0_14default_configENS1_25partition_config_selectorILNS1_17partition_subalgoE8ElNS0_10empty_typeEbEEZZNS1_14partition_implILS5_8ELb0ES3_jPKlPS6_PKS6_NS0_5tupleIJPlS6_EEENSE_IJSB_SB_EEENS0_18inequality_wrapperIN6hipcub16HIPCUB_304000_NS8EqualityEEESF_JS6_EEE10hipError_tPvRmT3_T4_T5_T6_T7_T9_mT8_P12ihipStream_tbDpT10_ENKUlT_T0_E_clISt17integral_constantIbLb0EES15_IbLb1EEEEDaS11_S12_EUlS11_E_NS1_11comp_targetILNS1_3genE3ELNS1_11target_archE908ELNS1_3gpuE7ELNS1_3repE0EEENS1_30default_config_static_selectorELNS0_4arch9wavefront6targetE1EEEvT1_.has_recursion, 0
	.set _ZN7rocprim17ROCPRIM_400000_NS6detail17trampoline_kernelINS0_14default_configENS1_25partition_config_selectorILNS1_17partition_subalgoE8ElNS0_10empty_typeEbEEZZNS1_14partition_implILS5_8ELb0ES3_jPKlPS6_PKS6_NS0_5tupleIJPlS6_EEENSE_IJSB_SB_EEENS0_18inequality_wrapperIN6hipcub16HIPCUB_304000_NS8EqualityEEESF_JS6_EEE10hipError_tPvRmT3_T4_T5_T6_T7_T9_mT8_P12ihipStream_tbDpT10_ENKUlT_T0_E_clISt17integral_constantIbLb0EES15_IbLb1EEEEDaS11_S12_EUlS11_E_NS1_11comp_targetILNS1_3genE3ELNS1_11target_archE908ELNS1_3gpuE7ELNS1_3repE0EEENS1_30default_config_static_selectorELNS0_4arch9wavefront6targetE1EEEvT1_.has_indirect_call, 0
	.section	.AMDGPU.csdata,"",@progbits
; Kernel info:
; codeLenInByte = 0
; TotalNumSgprs: 6
; NumVgprs: 0
; NumAgprs: 0
; TotalNumVgprs: 0
; ScratchSize: 0
; MemoryBound: 0
; FloatMode: 240
; IeeeMode: 1
; LDSByteSize: 0 bytes/workgroup (compile time only)
; SGPRBlocks: 0
; VGPRBlocks: 0
; NumSGPRsForWavesPerEU: 6
; NumVGPRsForWavesPerEU: 1
; AccumOffset: 4
; Occupancy: 8
; WaveLimiterHint : 0
; COMPUTE_PGM_RSRC2:SCRATCH_EN: 0
; COMPUTE_PGM_RSRC2:USER_SGPR: 2
; COMPUTE_PGM_RSRC2:TRAP_HANDLER: 0
; COMPUTE_PGM_RSRC2:TGID_X_EN: 1
; COMPUTE_PGM_RSRC2:TGID_Y_EN: 0
; COMPUTE_PGM_RSRC2:TGID_Z_EN: 0
; COMPUTE_PGM_RSRC2:TIDIG_COMP_CNT: 0
; COMPUTE_PGM_RSRC3_GFX90A:ACCUM_OFFSET: 0
; COMPUTE_PGM_RSRC3_GFX90A:TG_SPLIT: 0
	.section	.text._ZN7rocprim17ROCPRIM_400000_NS6detail17trampoline_kernelINS0_14default_configENS1_25partition_config_selectorILNS1_17partition_subalgoE8ElNS0_10empty_typeEbEEZZNS1_14partition_implILS5_8ELb0ES3_jPKlPS6_PKS6_NS0_5tupleIJPlS6_EEENSE_IJSB_SB_EEENS0_18inequality_wrapperIN6hipcub16HIPCUB_304000_NS8EqualityEEESF_JS6_EEE10hipError_tPvRmT3_T4_T5_T6_T7_T9_mT8_P12ihipStream_tbDpT10_ENKUlT_T0_E_clISt17integral_constantIbLb0EES15_IbLb1EEEEDaS11_S12_EUlS11_E_NS1_11comp_targetILNS1_3genE2ELNS1_11target_archE906ELNS1_3gpuE6ELNS1_3repE0EEENS1_30default_config_static_selectorELNS0_4arch9wavefront6targetE1EEEvT1_,"axG",@progbits,_ZN7rocprim17ROCPRIM_400000_NS6detail17trampoline_kernelINS0_14default_configENS1_25partition_config_selectorILNS1_17partition_subalgoE8ElNS0_10empty_typeEbEEZZNS1_14partition_implILS5_8ELb0ES3_jPKlPS6_PKS6_NS0_5tupleIJPlS6_EEENSE_IJSB_SB_EEENS0_18inequality_wrapperIN6hipcub16HIPCUB_304000_NS8EqualityEEESF_JS6_EEE10hipError_tPvRmT3_T4_T5_T6_T7_T9_mT8_P12ihipStream_tbDpT10_ENKUlT_T0_E_clISt17integral_constantIbLb0EES15_IbLb1EEEEDaS11_S12_EUlS11_E_NS1_11comp_targetILNS1_3genE2ELNS1_11target_archE906ELNS1_3gpuE6ELNS1_3repE0EEENS1_30default_config_static_selectorELNS0_4arch9wavefront6targetE1EEEvT1_,comdat
	.protected	_ZN7rocprim17ROCPRIM_400000_NS6detail17trampoline_kernelINS0_14default_configENS1_25partition_config_selectorILNS1_17partition_subalgoE8ElNS0_10empty_typeEbEEZZNS1_14partition_implILS5_8ELb0ES3_jPKlPS6_PKS6_NS0_5tupleIJPlS6_EEENSE_IJSB_SB_EEENS0_18inequality_wrapperIN6hipcub16HIPCUB_304000_NS8EqualityEEESF_JS6_EEE10hipError_tPvRmT3_T4_T5_T6_T7_T9_mT8_P12ihipStream_tbDpT10_ENKUlT_T0_E_clISt17integral_constantIbLb0EES15_IbLb1EEEEDaS11_S12_EUlS11_E_NS1_11comp_targetILNS1_3genE2ELNS1_11target_archE906ELNS1_3gpuE6ELNS1_3repE0EEENS1_30default_config_static_selectorELNS0_4arch9wavefront6targetE1EEEvT1_ ; -- Begin function _ZN7rocprim17ROCPRIM_400000_NS6detail17trampoline_kernelINS0_14default_configENS1_25partition_config_selectorILNS1_17partition_subalgoE8ElNS0_10empty_typeEbEEZZNS1_14partition_implILS5_8ELb0ES3_jPKlPS6_PKS6_NS0_5tupleIJPlS6_EEENSE_IJSB_SB_EEENS0_18inequality_wrapperIN6hipcub16HIPCUB_304000_NS8EqualityEEESF_JS6_EEE10hipError_tPvRmT3_T4_T5_T6_T7_T9_mT8_P12ihipStream_tbDpT10_ENKUlT_T0_E_clISt17integral_constantIbLb0EES15_IbLb1EEEEDaS11_S12_EUlS11_E_NS1_11comp_targetILNS1_3genE2ELNS1_11target_archE906ELNS1_3gpuE6ELNS1_3repE0EEENS1_30default_config_static_selectorELNS0_4arch9wavefront6targetE1EEEvT1_
	.globl	_ZN7rocprim17ROCPRIM_400000_NS6detail17trampoline_kernelINS0_14default_configENS1_25partition_config_selectorILNS1_17partition_subalgoE8ElNS0_10empty_typeEbEEZZNS1_14partition_implILS5_8ELb0ES3_jPKlPS6_PKS6_NS0_5tupleIJPlS6_EEENSE_IJSB_SB_EEENS0_18inequality_wrapperIN6hipcub16HIPCUB_304000_NS8EqualityEEESF_JS6_EEE10hipError_tPvRmT3_T4_T5_T6_T7_T9_mT8_P12ihipStream_tbDpT10_ENKUlT_T0_E_clISt17integral_constantIbLb0EES15_IbLb1EEEEDaS11_S12_EUlS11_E_NS1_11comp_targetILNS1_3genE2ELNS1_11target_archE906ELNS1_3gpuE6ELNS1_3repE0EEENS1_30default_config_static_selectorELNS0_4arch9wavefront6targetE1EEEvT1_
	.p2align	8
	.type	_ZN7rocprim17ROCPRIM_400000_NS6detail17trampoline_kernelINS0_14default_configENS1_25partition_config_selectorILNS1_17partition_subalgoE8ElNS0_10empty_typeEbEEZZNS1_14partition_implILS5_8ELb0ES3_jPKlPS6_PKS6_NS0_5tupleIJPlS6_EEENSE_IJSB_SB_EEENS0_18inequality_wrapperIN6hipcub16HIPCUB_304000_NS8EqualityEEESF_JS6_EEE10hipError_tPvRmT3_T4_T5_T6_T7_T9_mT8_P12ihipStream_tbDpT10_ENKUlT_T0_E_clISt17integral_constantIbLb0EES15_IbLb1EEEEDaS11_S12_EUlS11_E_NS1_11comp_targetILNS1_3genE2ELNS1_11target_archE906ELNS1_3gpuE6ELNS1_3repE0EEENS1_30default_config_static_selectorELNS0_4arch9wavefront6targetE1EEEvT1_,@function
_ZN7rocprim17ROCPRIM_400000_NS6detail17trampoline_kernelINS0_14default_configENS1_25partition_config_selectorILNS1_17partition_subalgoE8ElNS0_10empty_typeEbEEZZNS1_14partition_implILS5_8ELb0ES3_jPKlPS6_PKS6_NS0_5tupleIJPlS6_EEENSE_IJSB_SB_EEENS0_18inequality_wrapperIN6hipcub16HIPCUB_304000_NS8EqualityEEESF_JS6_EEE10hipError_tPvRmT3_T4_T5_T6_T7_T9_mT8_P12ihipStream_tbDpT10_ENKUlT_T0_E_clISt17integral_constantIbLb0EES15_IbLb1EEEEDaS11_S12_EUlS11_E_NS1_11comp_targetILNS1_3genE2ELNS1_11target_archE906ELNS1_3gpuE6ELNS1_3repE0EEENS1_30default_config_static_selectorELNS0_4arch9wavefront6targetE1EEEvT1_: ; @_ZN7rocprim17ROCPRIM_400000_NS6detail17trampoline_kernelINS0_14default_configENS1_25partition_config_selectorILNS1_17partition_subalgoE8ElNS0_10empty_typeEbEEZZNS1_14partition_implILS5_8ELb0ES3_jPKlPS6_PKS6_NS0_5tupleIJPlS6_EEENSE_IJSB_SB_EEENS0_18inequality_wrapperIN6hipcub16HIPCUB_304000_NS8EqualityEEESF_JS6_EEE10hipError_tPvRmT3_T4_T5_T6_T7_T9_mT8_P12ihipStream_tbDpT10_ENKUlT_T0_E_clISt17integral_constantIbLb0EES15_IbLb1EEEEDaS11_S12_EUlS11_E_NS1_11comp_targetILNS1_3genE2ELNS1_11target_archE906ELNS1_3gpuE6ELNS1_3repE0EEENS1_30default_config_static_selectorELNS0_4arch9wavefront6targetE1EEEvT1_
; %bb.0:
	.section	.rodata,"a",@progbits
	.p2align	6, 0x0
	.amdhsa_kernel _ZN7rocprim17ROCPRIM_400000_NS6detail17trampoline_kernelINS0_14default_configENS1_25partition_config_selectorILNS1_17partition_subalgoE8ElNS0_10empty_typeEbEEZZNS1_14partition_implILS5_8ELb0ES3_jPKlPS6_PKS6_NS0_5tupleIJPlS6_EEENSE_IJSB_SB_EEENS0_18inequality_wrapperIN6hipcub16HIPCUB_304000_NS8EqualityEEESF_JS6_EEE10hipError_tPvRmT3_T4_T5_T6_T7_T9_mT8_P12ihipStream_tbDpT10_ENKUlT_T0_E_clISt17integral_constantIbLb0EES15_IbLb1EEEEDaS11_S12_EUlS11_E_NS1_11comp_targetILNS1_3genE2ELNS1_11target_archE906ELNS1_3gpuE6ELNS1_3repE0EEENS1_30default_config_static_selectorELNS0_4arch9wavefront6targetE1EEEvT1_
		.amdhsa_group_segment_fixed_size 0
		.amdhsa_private_segment_fixed_size 0
		.amdhsa_kernarg_size 128
		.amdhsa_user_sgpr_count 2
		.amdhsa_user_sgpr_dispatch_ptr 0
		.amdhsa_user_sgpr_queue_ptr 0
		.amdhsa_user_sgpr_kernarg_segment_ptr 1
		.amdhsa_user_sgpr_dispatch_id 0
		.amdhsa_user_sgpr_kernarg_preload_length 0
		.amdhsa_user_sgpr_kernarg_preload_offset 0
		.amdhsa_user_sgpr_private_segment_size 0
		.amdhsa_uses_dynamic_stack 0
		.amdhsa_enable_private_segment 0
		.amdhsa_system_sgpr_workgroup_id_x 1
		.amdhsa_system_sgpr_workgroup_id_y 0
		.amdhsa_system_sgpr_workgroup_id_z 0
		.amdhsa_system_sgpr_workgroup_info 0
		.amdhsa_system_vgpr_workitem_id 0
		.amdhsa_next_free_vgpr 1
		.amdhsa_next_free_sgpr 0
		.amdhsa_accum_offset 4
		.amdhsa_reserve_vcc 0
		.amdhsa_float_round_mode_32 0
		.amdhsa_float_round_mode_16_64 0
		.amdhsa_float_denorm_mode_32 3
		.amdhsa_float_denorm_mode_16_64 3
		.amdhsa_dx10_clamp 1
		.amdhsa_ieee_mode 1
		.amdhsa_fp16_overflow 0
		.amdhsa_tg_split 0
		.amdhsa_exception_fp_ieee_invalid_op 0
		.amdhsa_exception_fp_denorm_src 0
		.amdhsa_exception_fp_ieee_div_zero 0
		.amdhsa_exception_fp_ieee_overflow 0
		.amdhsa_exception_fp_ieee_underflow 0
		.amdhsa_exception_fp_ieee_inexact 0
		.amdhsa_exception_int_div_zero 0
	.end_amdhsa_kernel
	.section	.text._ZN7rocprim17ROCPRIM_400000_NS6detail17trampoline_kernelINS0_14default_configENS1_25partition_config_selectorILNS1_17partition_subalgoE8ElNS0_10empty_typeEbEEZZNS1_14partition_implILS5_8ELb0ES3_jPKlPS6_PKS6_NS0_5tupleIJPlS6_EEENSE_IJSB_SB_EEENS0_18inequality_wrapperIN6hipcub16HIPCUB_304000_NS8EqualityEEESF_JS6_EEE10hipError_tPvRmT3_T4_T5_T6_T7_T9_mT8_P12ihipStream_tbDpT10_ENKUlT_T0_E_clISt17integral_constantIbLb0EES15_IbLb1EEEEDaS11_S12_EUlS11_E_NS1_11comp_targetILNS1_3genE2ELNS1_11target_archE906ELNS1_3gpuE6ELNS1_3repE0EEENS1_30default_config_static_selectorELNS0_4arch9wavefront6targetE1EEEvT1_,"axG",@progbits,_ZN7rocprim17ROCPRIM_400000_NS6detail17trampoline_kernelINS0_14default_configENS1_25partition_config_selectorILNS1_17partition_subalgoE8ElNS0_10empty_typeEbEEZZNS1_14partition_implILS5_8ELb0ES3_jPKlPS6_PKS6_NS0_5tupleIJPlS6_EEENSE_IJSB_SB_EEENS0_18inequality_wrapperIN6hipcub16HIPCUB_304000_NS8EqualityEEESF_JS6_EEE10hipError_tPvRmT3_T4_T5_T6_T7_T9_mT8_P12ihipStream_tbDpT10_ENKUlT_T0_E_clISt17integral_constantIbLb0EES15_IbLb1EEEEDaS11_S12_EUlS11_E_NS1_11comp_targetILNS1_3genE2ELNS1_11target_archE906ELNS1_3gpuE6ELNS1_3repE0EEENS1_30default_config_static_selectorELNS0_4arch9wavefront6targetE1EEEvT1_,comdat
.Lfunc_end254:
	.size	_ZN7rocprim17ROCPRIM_400000_NS6detail17trampoline_kernelINS0_14default_configENS1_25partition_config_selectorILNS1_17partition_subalgoE8ElNS0_10empty_typeEbEEZZNS1_14partition_implILS5_8ELb0ES3_jPKlPS6_PKS6_NS0_5tupleIJPlS6_EEENSE_IJSB_SB_EEENS0_18inequality_wrapperIN6hipcub16HIPCUB_304000_NS8EqualityEEESF_JS6_EEE10hipError_tPvRmT3_T4_T5_T6_T7_T9_mT8_P12ihipStream_tbDpT10_ENKUlT_T0_E_clISt17integral_constantIbLb0EES15_IbLb1EEEEDaS11_S12_EUlS11_E_NS1_11comp_targetILNS1_3genE2ELNS1_11target_archE906ELNS1_3gpuE6ELNS1_3repE0EEENS1_30default_config_static_selectorELNS0_4arch9wavefront6targetE1EEEvT1_, .Lfunc_end254-_ZN7rocprim17ROCPRIM_400000_NS6detail17trampoline_kernelINS0_14default_configENS1_25partition_config_selectorILNS1_17partition_subalgoE8ElNS0_10empty_typeEbEEZZNS1_14partition_implILS5_8ELb0ES3_jPKlPS6_PKS6_NS0_5tupleIJPlS6_EEENSE_IJSB_SB_EEENS0_18inequality_wrapperIN6hipcub16HIPCUB_304000_NS8EqualityEEESF_JS6_EEE10hipError_tPvRmT3_T4_T5_T6_T7_T9_mT8_P12ihipStream_tbDpT10_ENKUlT_T0_E_clISt17integral_constantIbLb0EES15_IbLb1EEEEDaS11_S12_EUlS11_E_NS1_11comp_targetILNS1_3genE2ELNS1_11target_archE906ELNS1_3gpuE6ELNS1_3repE0EEENS1_30default_config_static_selectorELNS0_4arch9wavefront6targetE1EEEvT1_
                                        ; -- End function
	.set _ZN7rocprim17ROCPRIM_400000_NS6detail17trampoline_kernelINS0_14default_configENS1_25partition_config_selectorILNS1_17partition_subalgoE8ElNS0_10empty_typeEbEEZZNS1_14partition_implILS5_8ELb0ES3_jPKlPS6_PKS6_NS0_5tupleIJPlS6_EEENSE_IJSB_SB_EEENS0_18inequality_wrapperIN6hipcub16HIPCUB_304000_NS8EqualityEEESF_JS6_EEE10hipError_tPvRmT3_T4_T5_T6_T7_T9_mT8_P12ihipStream_tbDpT10_ENKUlT_T0_E_clISt17integral_constantIbLb0EES15_IbLb1EEEEDaS11_S12_EUlS11_E_NS1_11comp_targetILNS1_3genE2ELNS1_11target_archE906ELNS1_3gpuE6ELNS1_3repE0EEENS1_30default_config_static_selectorELNS0_4arch9wavefront6targetE1EEEvT1_.num_vgpr, 0
	.set _ZN7rocprim17ROCPRIM_400000_NS6detail17trampoline_kernelINS0_14default_configENS1_25partition_config_selectorILNS1_17partition_subalgoE8ElNS0_10empty_typeEbEEZZNS1_14partition_implILS5_8ELb0ES3_jPKlPS6_PKS6_NS0_5tupleIJPlS6_EEENSE_IJSB_SB_EEENS0_18inequality_wrapperIN6hipcub16HIPCUB_304000_NS8EqualityEEESF_JS6_EEE10hipError_tPvRmT3_T4_T5_T6_T7_T9_mT8_P12ihipStream_tbDpT10_ENKUlT_T0_E_clISt17integral_constantIbLb0EES15_IbLb1EEEEDaS11_S12_EUlS11_E_NS1_11comp_targetILNS1_3genE2ELNS1_11target_archE906ELNS1_3gpuE6ELNS1_3repE0EEENS1_30default_config_static_selectorELNS0_4arch9wavefront6targetE1EEEvT1_.num_agpr, 0
	.set _ZN7rocprim17ROCPRIM_400000_NS6detail17trampoline_kernelINS0_14default_configENS1_25partition_config_selectorILNS1_17partition_subalgoE8ElNS0_10empty_typeEbEEZZNS1_14partition_implILS5_8ELb0ES3_jPKlPS6_PKS6_NS0_5tupleIJPlS6_EEENSE_IJSB_SB_EEENS0_18inequality_wrapperIN6hipcub16HIPCUB_304000_NS8EqualityEEESF_JS6_EEE10hipError_tPvRmT3_T4_T5_T6_T7_T9_mT8_P12ihipStream_tbDpT10_ENKUlT_T0_E_clISt17integral_constantIbLb0EES15_IbLb1EEEEDaS11_S12_EUlS11_E_NS1_11comp_targetILNS1_3genE2ELNS1_11target_archE906ELNS1_3gpuE6ELNS1_3repE0EEENS1_30default_config_static_selectorELNS0_4arch9wavefront6targetE1EEEvT1_.numbered_sgpr, 0
	.set _ZN7rocprim17ROCPRIM_400000_NS6detail17trampoline_kernelINS0_14default_configENS1_25partition_config_selectorILNS1_17partition_subalgoE8ElNS0_10empty_typeEbEEZZNS1_14partition_implILS5_8ELb0ES3_jPKlPS6_PKS6_NS0_5tupleIJPlS6_EEENSE_IJSB_SB_EEENS0_18inequality_wrapperIN6hipcub16HIPCUB_304000_NS8EqualityEEESF_JS6_EEE10hipError_tPvRmT3_T4_T5_T6_T7_T9_mT8_P12ihipStream_tbDpT10_ENKUlT_T0_E_clISt17integral_constantIbLb0EES15_IbLb1EEEEDaS11_S12_EUlS11_E_NS1_11comp_targetILNS1_3genE2ELNS1_11target_archE906ELNS1_3gpuE6ELNS1_3repE0EEENS1_30default_config_static_selectorELNS0_4arch9wavefront6targetE1EEEvT1_.num_named_barrier, 0
	.set _ZN7rocprim17ROCPRIM_400000_NS6detail17trampoline_kernelINS0_14default_configENS1_25partition_config_selectorILNS1_17partition_subalgoE8ElNS0_10empty_typeEbEEZZNS1_14partition_implILS5_8ELb0ES3_jPKlPS6_PKS6_NS0_5tupleIJPlS6_EEENSE_IJSB_SB_EEENS0_18inequality_wrapperIN6hipcub16HIPCUB_304000_NS8EqualityEEESF_JS6_EEE10hipError_tPvRmT3_T4_T5_T6_T7_T9_mT8_P12ihipStream_tbDpT10_ENKUlT_T0_E_clISt17integral_constantIbLb0EES15_IbLb1EEEEDaS11_S12_EUlS11_E_NS1_11comp_targetILNS1_3genE2ELNS1_11target_archE906ELNS1_3gpuE6ELNS1_3repE0EEENS1_30default_config_static_selectorELNS0_4arch9wavefront6targetE1EEEvT1_.private_seg_size, 0
	.set _ZN7rocprim17ROCPRIM_400000_NS6detail17trampoline_kernelINS0_14default_configENS1_25partition_config_selectorILNS1_17partition_subalgoE8ElNS0_10empty_typeEbEEZZNS1_14partition_implILS5_8ELb0ES3_jPKlPS6_PKS6_NS0_5tupleIJPlS6_EEENSE_IJSB_SB_EEENS0_18inequality_wrapperIN6hipcub16HIPCUB_304000_NS8EqualityEEESF_JS6_EEE10hipError_tPvRmT3_T4_T5_T6_T7_T9_mT8_P12ihipStream_tbDpT10_ENKUlT_T0_E_clISt17integral_constantIbLb0EES15_IbLb1EEEEDaS11_S12_EUlS11_E_NS1_11comp_targetILNS1_3genE2ELNS1_11target_archE906ELNS1_3gpuE6ELNS1_3repE0EEENS1_30default_config_static_selectorELNS0_4arch9wavefront6targetE1EEEvT1_.uses_vcc, 0
	.set _ZN7rocprim17ROCPRIM_400000_NS6detail17trampoline_kernelINS0_14default_configENS1_25partition_config_selectorILNS1_17partition_subalgoE8ElNS0_10empty_typeEbEEZZNS1_14partition_implILS5_8ELb0ES3_jPKlPS6_PKS6_NS0_5tupleIJPlS6_EEENSE_IJSB_SB_EEENS0_18inequality_wrapperIN6hipcub16HIPCUB_304000_NS8EqualityEEESF_JS6_EEE10hipError_tPvRmT3_T4_T5_T6_T7_T9_mT8_P12ihipStream_tbDpT10_ENKUlT_T0_E_clISt17integral_constantIbLb0EES15_IbLb1EEEEDaS11_S12_EUlS11_E_NS1_11comp_targetILNS1_3genE2ELNS1_11target_archE906ELNS1_3gpuE6ELNS1_3repE0EEENS1_30default_config_static_selectorELNS0_4arch9wavefront6targetE1EEEvT1_.uses_flat_scratch, 0
	.set _ZN7rocprim17ROCPRIM_400000_NS6detail17trampoline_kernelINS0_14default_configENS1_25partition_config_selectorILNS1_17partition_subalgoE8ElNS0_10empty_typeEbEEZZNS1_14partition_implILS5_8ELb0ES3_jPKlPS6_PKS6_NS0_5tupleIJPlS6_EEENSE_IJSB_SB_EEENS0_18inequality_wrapperIN6hipcub16HIPCUB_304000_NS8EqualityEEESF_JS6_EEE10hipError_tPvRmT3_T4_T5_T6_T7_T9_mT8_P12ihipStream_tbDpT10_ENKUlT_T0_E_clISt17integral_constantIbLb0EES15_IbLb1EEEEDaS11_S12_EUlS11_E_NS1_11comp_targetILNS1_3genE2ELNS1_11target_archE906ELNS1_3gpuE6ELNS1_3repE0EEENS1_30default_config_static_selectorELNS0_4arch9wavefront6targetE1EEEvT1_.has_dyn_sized_stack, 0
	.set _ZN7rocprim17ROCPRIM_400000_NS6detail17trampoline_kernelINS0_14default_configENS1_25partition_config_selectorILNS1_17partition_subalgoE8ElNS0_10empty_typeEbEEZZNS1_14partition_implILS5_8ELb0ES3_jPKlPS6_PKS6_NS0_5tupleIJPlS6_EEENSE_IJSB_SB_EEENS0_18inequality_wrapperIN6hipcub16HIPCUB_304000_NS8EqualityEEESF_JS6_EEE10hipError_tPvRmT3_T4_T5_T6_T7_T9_mT8_P12ihipStream_tbDpT10_ENKUlT_T0_E_clISt17integral_constantIbLb0EES15_IbLb1EEEEDaS11_S12_EUlS11_E_NS1_11comp_targetILNS1_3genE2ELNS1_11target_archE906ELNS1_3gpuE6ELNS1_3repE0EEENS1_30default_config_static_selectorELNS0_4arch9wavefront6targetE1EEEvT1_.has_recursion, 0
	.set _ZN7rocprim17ROCPRIM_400000_NS6detail17trampoline_kernelINS0_14default_configENS1_25partition_config_selectorILNS1_17partition_subalgoE8ElNS0_10empty_typeEbEEZZNS1_14partition_implILS5_8ELb0ES3_jPKlPS6_PKS6_NS0_5tupleIJPlS6_EEENSE_IJSB_SB_EEENS0_18inequality_wrapperIN6hipcub16HIPCUB_304000_NS8EqualityEEESF_JS6_EEE10hipError_tPvRmT3_T4_T5_T6_T7_T9_mT8_P12ihipStream_tbDpT10_ENKUlT_T0_E_clISt17integral_constantIbLb0EES15_IbLb1EEEEDaS11_S12_EUlS11_E_NS1_11comp_targetILNS1_3genE2ELNS1_11target_archE906ELNS1_3gpuE6ELNS1_3repE0EEENS1_30default_config_static_selectorELNS0_4arch9wavefront6targetE1EEEvT1_.has_indirect_call, 0
	.section	.AMDGPU.csdata,"",@progbits
; Kernel info:
; codeLenInByte = 0
; TotalNumSgprs: 6
; NumVgprs: 0
; NumAgprs: 0
; TotalNumVgprs: 0
; ScratchSize: 0
; MemoryBound: 0
; FloatMode: 240
; IeeeMode: 1
; LDSByteSize: 0 bytes/workgroup (compile time only)
; SGPRBlocks: 0
; VGPRBlocks: 0
; NumSGPRsForWavesPerEU: 6
; NumVGPRsForWavesPerEU: 1
; AccumOffset: 4
; Occupancy: 8
; WaveLimiterHint : 0
; COMPUTE_PGM_RSRC2:SCRATCH_EN: 0
; COMPUTE_PGM_RSRC2:USER_SGPR: 2
; COMPUTE_PGM_RSRC2:TRAP_HANDLER: 0
; COMPUTE_PGM_RSRC2:TGID_X_EN: 1
; COMPUTE_PGM_RSRC2:TGID_Y_EN: 0
; COMPUTE_PGM_RSRC2:TGID_Z_EN: 0
; COMPUTE_PGM_RSRC2:TIDIG_COMP_CNT: 0
; COMPUTE_PGM_RSRC3_GFX90A:ACCUM_OFFSET: 0
; COMPUTE_PGM_RSRC3_GFX90A:TG_SPLIT: 0
	.section	.text._ZN7rocprim17ROCPRIM_400000_NS6detail17trampoline_kernelINS0_14default_configENS1_25partition_config_selectorILNS1_17partition_subalgoE8ElNS0_10empty_typeEbEEZZNS1_14partition_implILS5_8ELb0ES3_jPKlPS6_PKS6_NS0_5tupleIJPlS6_EEENSE_IJSB_SB_EEENS0_18inequality_wrapperIN6hipcub16HIPCUB_304000_NS8EqualityEEESF_JS6_EEE10hipError_tPvRmT3_T4_T5_T6_T7_T9_mT8_P12ihipStream_tbDpT10_ENKUlT_T0_E_clISt17integral_constantIbLb0EES15_IbLb1EEEEDaS11_S12_EUlS11_E_NS1_11comp_targetILNS1_3genE10ELNS1_11target_archE1200ELNS1_3gpuE4ELNS1_3repE0EEENS1_30default_config_static_selectorELNS0_4arch9wavefront6targetE1EEEvT1_,"axG",@progbits,_ZN7rocprim17ROCPRIM_400000_NS6detail17trampoline_kernelINS0_14default_configENS1_25partition_config_selectorILNS1_17partition_subalgoE8ElNS0_10empty_typeEbEEZZNS1_14partition_implILS5_8ELb0ES3_jPKlPS6_PKS6_NS0_5tupleIJPlS6_EEENSE_IJSB_SB_EEENS0_18inequality_wrapperIN6hipcub16HIPCUB_304000_NS8EqualityEEESF_JS6_EEE10hipError_tPvRmT3_T4_T5_T6_T7_T9_mT8_P12ihipStream_tbDpT10_ENKUlT_T0_E_clISt17integral_constantIbLb0EES15_IbLb1EEEEDaS11_S12_EUlS11_E_NS1_11comp_targetILNS1_3genE10ELNS1_11target_archE1200ELNS1_3gpuE4ELNS1_3repE0EEENS1_30default_config_static_selectorELNS0_4arch9wavefront6targetE1EEEvT1_,comdat
	.protected	_ZN7rocprim17ROCPRIM_400000_NS6detail17trampoline_kernelINS0_14default_configENS1_25partition_config_selectorILNS1_17partition_subalgoE8ElNS0_10empty_typeEbEEZZNS1_14partition_implILS5_8ELb0ES3_jPKlPS6_PKS6_NS0_5tupleIJPlS6_EEENSE_IJSB_SB_EEENS0_18inequality_wrapperIN6hipcub16HIPCUB_304000_NS8EqualityEEESF_JS6_EEE10hipError_tPvRmT3_T4_T5_T6_T7_T9_mT8_P12ihipStream_tbDpT10_ENKUlT_T0_E_clISt17integral_constantIbLb0EES15_IbLb1EEEEDaS11_S12_EUlS11_E_NS1_11comp_targetILNS1_3genE10ELNS1_11target_archE1200ELNS1_3gpuE4ELNS1_3repE0EEENS1_30default_config_static_selectorELNS0_4arch9wavefront6targetE1EEEvT1_ ; -- Begin function _ZN7rocprim17ROCPRIM_400000_NS6detail17trampoline_kernelINS0_14default_configENS1_25partition_config_selectorILNS1_17partition_subalgoE8ElNS0_10empty_typeEbEEZZNS1_14partition_implILS5_8ELb0ES3_jPKlPS6_PKS6_NS0_5tupleIJPlS6_EEENSE_IJSB_SB_EEENS0_18inequality_wrapperIN6hipcub16HIPCUB_304000_NS8EqualityEEESF_JS6_EEE10hipError_tPvRmT3_T4_T5_T6_T7_T9_mT8_P12ihipStream_tbDpT10_ENKUlT_T0_E_clISt17integral_constantIbLb0EES15_IbLb1EEEEDaS11_S12_EUlS11_E_NS1_11comp_targetILNS1_3genE10ELNS1_11target_archE1200ELNS1_3gpuE4ELNS1_3repE0EEENS1_30default_config_static_selectorELNS0_4arch9wavefront6targetE1EEEvT1_
	.globl	_ZN7rocprim17ROCPRIM_400000_NS6detail17trampoline_kernelINS0_14default_configENS1_25partition_config_selectorILNS1_17partition_subalgoE8ElNS0_10empty_typeEbEEZZNS1_14partition_implILS5_8ELb0ES3_jPKlPS6_PKS6_NS0_5tupleIJPlS6_EEENSE_IJSB_SB_EEENS0_18inequality_wrapperIN6hipcub16HIPCUB_304000_NS8EqualityEEESF_JS6_EEE10hipError_tPvRmT3_T4_T5_T6_T7_T9_mT8_P12ihipStream_tbDpT10_ENKUlT_T0_E_clISt17integral_constantIbLb0EES15_IbLb1EEEEDaS11_S12_EUlS11_E_NS1_11comp_targetILNS1_3genE10ELNS1_11target_archE1200ELNS1_3gpuE4ELNS1_3repE0EEENS1_30default_config_static_selectorELNS0_4arch9wavefront6targetE1EEEvT1_
	.p2align	8
	.type	_ZN7rocprim17ROCPRIM_400000_NS6detail17trampoline_kernelINS0_14default_configENS1_25partition_config_selectorILNS1_17partition_subalgoE8ElNS0_10empty_typeEbEEZZNS1_14partition_implILS5_8ELb0ES3_jPKlPS6_PKS6_NS0_5tupleIJPlS6_EEENSE_IJSB_SB_EEENS0_18inequality_wrapperIN6hipcub16HIPCUB_304000_NS8EqualityEEESF_JS6_EEE10hipError_tPvRmT3_T4_T5_T6_T7_T9_mT8_P12ihipStream_tbDpT10_ENKUlT_T0_E_clISt17integral_constantIbLb0EES15_IbLb1EEEEDaS11_S12_EUlS11_E_NS1_11comp_targetILNS1_3genE10ELNS1_11target_archE1200ELNS1_3gpuE4ELNS1_3repE0EEENS1_30default_config_static_selectorELNS0_4arch9wavefront6targetE1EEEvT1_,@function
_ZN7rocprim17ROCPRIM_400000_NS6detail17trampoline_kernelINS0_14default_configENS1_25partition_config_selectorILNS1_17partition_subalgoE8ElNS0_10empty_typeEbEEZZNS1_14partition_implILS5_8ELb0ES3_jPKlPS6_PKS6_NS0_5tupleIJPlS6_EEENSE_IJSB_SB_EEENS0_18inequality_wrapperIN6hipcub16HIPCUB_304000_NS8EqualityEEESF_JS6_EEE10hipError_tPvRmT3_T4_T5_T6_T7_T9_mT8_P12ihipStream_tbDpT10_ENKUlT_T0_E_clISt17integral_constantIbLb0EES15_IbLb1EEEEDaS11_S12_EUlS11_E_NS1_11comp_targetILNS1_3genE10ELNS1_11target_archE1200ELNS1_3gpuE4ELNS1_3repE0EEENS1_30default_config_static_selectorELNS0_4arch9wavefront6targetE1EEEvT1_: ; @_ZN7rocprim17ROCPRIM_400000_NS6detail17trampoline_kernelINS0_14default_configENS1_25partition_config_selectorILNS1_17partition_subalgoE8ElNS0_10empty_typeEbEEZZNS1_14partition_implILS5_8ELb0ES3_jPKlPS6_PKS6_NS0_5tupleIJPlS6_EEENSE_IJSB_SB_EEENS0_18inequality_wrapperIN6hipcub16HIPCUB_304000_NS8EqualityEEESF_JS6_EEE10hipError_tPvRmT3_T4_T5_T6_T7_T9_mT8_P12ihipStream_tbDpT10_ENKUlT_T0_E_clISt17integral_constantIbLb0EES15_IbLb1EEEEDaS11_S12_EUlS11_E_NS1_11comp_targetILNS1_3genE10ELNS1_11target_archE1200ELNS1_3gpuE4ELNS1_3repE0EEENS1_30default_config_static_selectorELNS0_4arch9wavefront6targetE1EEEvT1_
; %bb.0:
	.section	.rodata,"a",@progbits
	.p2align	6, 0x0
	.amdhsa_kernel _ZN7rocprim17ROCPRIM_400000_NS6detail17trampoline_kernelINS0_14default_configENS1_25partition_config_selectorILNS1_17partition_subalgoE8ElNS0_10empty_typeEbEEZZNS1_14partition_implILS5_8ELb0ES3_jPKlPS6_PKS6_NS0_5tupleIJPlS6_EEENSE_IJSB_SB_EEENS0_18inequality_wrapperIN6hipcub16HIPCUB_304000_NS8EqualityEEESF_JS6_EEE10hipError_tPvRmT3_T4_T5_T6_T7_T9_mT8_P12ihipStream_tbDpT10_ENKUlT_T0_E_clISt17integral_constantIbLb0EES15_IbLb1EEEEDaS11_S12_EUlS11_E_NS1_11comp_targetILNS1_3genE10ELNS1_11target_archE1200ELNS1_3gpuE4ELNS1_3repE0EEENS1_30default_config_static_selectorELNS0_4arch9wavefront6targetE1EEEvT1_
		.amdhsa_group_segment_fixed_size 0
		.amdhsa_private_segment_fixed_size 0
		.amdhsa_kernarg_size 128
		.amdhsa_user_sgpr_count 2
		.amdhsa_user_sgpr_dispatch_ptr 0
		.amdhsa_user_sgpr_queue_ptr 0
		.amdhsa_user_sgpr_kernarg_segment_ptr 1
		.amdhsa_user_sgpr_dispatch_id 0
		.amdhsa_user_sgpr_kernarg_preload_length 0
		.amdhsa_user_sgpr_kernarg_preload_offset 0
		.amdhsa_user_sgpr_private_segment_size 0
		.amdhsa_uses_dynamic_stack 0
		.amdhsa_enable_private_segment 0
		.amdhsa_system_sgpr_workgroup_id_x 1
		.amdhsa_system_sgpr_workgroup_id_y 0
		.amdhsa_system_sgpr_workgroup_id_z 0
		.amdhsa_system_sgpr_workgroup_info 0
		.amdhsa_system_vgpr_workitem_id 0
		.amdhsa_next_free_vgpr 1
		.amdhsa_next_free_sgpr 0
		.amdhsa_accum_offset 4
		.amdhsa_reserve_vcc 0
		.amdhsa_float_round_mode_32 0
		.amdhsa_float_round_mode_16_64 0
		.amdhsa_float_denorm_mode_32 3
		.amdhsa_float_denorm_mode_16_64 3
		.amdhsa_dx10_clamp 1
		.amdhsa_ieee_mode 1
		.amdhsa_fp16_overflow 0
		.amdhsa_tg_split 0
		.amdhsa_exception_fp_ieee_invalid_op 0
		.amdhsa_exception_fp_denorm_src 0
		.amdhsa_exception_fp_ieee_div_zero 0
		.amdhsa_exception_fp_ieee_overflow 0
		.amdhsa_exception_fp_ieee_underflow 0
		.amdhsa_exception_fp_ieee_inexact 0
		.amdhsa_exception_int_div_zero 0
	.end_amdhsa_kernel
	.section	.text._ZN7rocprim17ROCPRIM_400000_NS6detail17trampoline_kernelINS0_14default_configENS1_25partition_config_selectorILNS1_17partition_subalgoE8ElNS0_10empty_typeEbEEZZNS1_14partition_implILS5_8ELb0ES3_jPKlPS6_PKS6_NS0_5tupleIJPlS6_EEENSE_IJSB_SB_EEENS0_18inequality_wrapperIN6hipcub16HIPCUB_304000_NS8EqualityEEESF_JS6_EEE10hipError_tPvRmT3_T4_T5_T6_T7_T9_mT8_P12ihipStream_tbDpT10_ENKUlT_T0_E_clISt17integral_constantIbLb0EES15_IbLb1EEEEDaS11_S12_EUlS11_E_NS1_11comp_targetILNS1_3genE10ELNS1_11target_archE1200ELNS1_3gpuE4ELNS1_3repE0EEENS1_30default_config_static_selectorELNS0_4arch9wavefront6targetE1EEEvT1_,"axG",@progbits,_ZN7rocprim17ROCPRIM_400000_NS6detail17trampoline_kernelINS0_14default_configENS1_25partition_config_selectorILNS1_17partition_subalgoE8ElNS0_10empty_typeEbEEZZNS1_14partition_implILS5_8ELb0ES3_jPKlPS6_PKS6_NS0_5tupleIJPlS6_EEENSE_IJSB_SB_EEENS0_18inequality_wrapperIN6hipcub16HIPCUB_304000_NS8EqualityEEESF_JS6_EEE10hipError_tPvRmT3_T4_T5_T6_T7_T9_mT8_P12ihipStream_tbDpT10_ENKUlT_T0_E_clISt17integral_constantIbLb0EES15_IbLb1EEEEDaS11_S12_EUlS11_E_NS1_11comp_targetILNS1_3genE10ELNS1_11target_archE1200ELNS1_3gpuE4ELNS1_3repE0EEENS1_30default_config_static_selectorELNS0_4arch9wavefront6targetE1EEEvT1_,comdat
.Lfunc_end255:
	.size	_ZN7rocprim17ROCPRIM_400000_NS6detail17trampoline_kernelINS0_14default_configENS1_25partition_config_selectorILNS1_17partition_subalgoE8ElNS0_10empty_typeEbEEZZNS1_14partition_implILS5_8ELb0ES3_jPKlPS6_PKS6_NS0_5tupleIJPlS6_EEENSE_IJSB_SB_EEENS0_18inequality_wrapperIN6hipcub16HIPCUB_304000_NS8EqualityEEESF_JS6_EEE10hipError_tPvRmT3_T4_T5_T6_T7_T9_mT8_P12ihipStream_tbDpT10_ENKUlT_T0_E_clISt17integral_constantIbLb0EES15_IbLb1EEEEDaS11_S12_EUlS11_E_NS1_11comp_targetILNS1_3genE10ELNS1_11target_archE1200ELNS1_3gpuE4ELNS1_3repE0EEENS1_30default_config_static_selectorELNS0_4arch9wavefront6targetE1EEEvT1_, .Lfunc_end255-_ZN7rocprim17ROCPRIM_400000_NS6detail17trampoline_kernelINS0_14default_configENS1_25partition_config_selectorILNS1_17partition_subalgoE8ElNS0_10empty_typeEbEEZZNS1_14partition_implILS5_8ELb0ES3_jPKlPS6_PKS6_NS0_5tupleIJPlS6_EEENSE_IJSB_SB_EEENS0_18inequality_wrapperIN6hipcub16HIPCUB_304000_NS8EqualityEEESF_JS6_EEE10hipError_tPvRmT3_T4_T5_T6_T7_T9_mT8_P12ihipStream_tbDpT10_ENKUlT_T0_E_clISt17integral_constantIbLb0EES15_IbLb1EEEEDaS11_S12_EUlS11_E_NS1_11comp_targetILNS1_3genE10ELNS1_11target_archE1200ELNS1_3gpuE4ELNS1_3repE0EEENS1_30default_config_static_selectorELNS0_4arch9wavefront6targetE1EEEvT1_
                                        ; -- End function
	.set _ZN7rocprim17ROCPRIM_400000_NS6detail17trampoline_kernelINS0_14default_configENS1_25partition_config_selectorILNS1_17partition_subalgoE8ElNS0_10empty_typeEbEEZZNS1_14partition_implILS5_8ELb0ES3_jPKlPS6_PKS6_NS0_5tupleIJPlS6_EEENSE_IJSB_SB_EEENS0_18inequality_wrapperIN6hipcub16HIPCUB_304000_NS8EqualityEEESF_JS6_EEE10hipError_tPvRmT3_T4_T5_T6_T7_T9_mT8_P12ihipStream_tbDpT10_ENKUlT_T0_E_clISt17integral_constantIbLb0EES15_IbLb1EEEEDaS11_S12_EUlS11_E_NS1_11comp_targetILNS1_3genE10ELNS1_11target_archE1200ELNS1_3gpuE4ELNS1_3repE0EEENS1_30default_config_static_selectorELNS0_4arch9wavefront6targetE1EEEvT1_.num_vgpr, 0
	.set _ZN7rocprim17ROCPRIM_400000_NS6detail17trampoline_kernelINS0_14default_configENS1_25partition_config_selectorILNS1_17partition_subalgoE8ElNS0_10empty_typeEbEEZZNS1_14partition_implILS5_8ELb0ES3_jPKlPS6_PKS6_NS0_5tupleIJPlS6_EEENSE_IJSB_SB_EEENS0_18inequality_wrapperIN6hipcub16HIPCUB_304000_NS8EqualityEEESF_JS6_EEE10hipError_tPvRmT3_T4_T5_T6_T7_T9_mT8_P12ihipStream_tbDpT10_ENKUlT_T0_E_clISt17integral_constantIbLb0EES15_IbLb1EEEEDaS11_S12_EUlS11_E_NS1_11comp_targetILNS1_3genE10ELNS1_11target_archE1200ELNS1_3gpuE4ELNS1_3repE0EEENS1_30default_config_static_selectorELNS0_4arch9wavefront6targetE1EEEvT1_.num_agpr, 0
	.set _ZN7rocprim17ROCPRIM_400000_NS6detail17trampoline_kernelINS0_14default_configENS1_25partition_config_selectorILNS1_17partition_subalgoE8ElNS0_10empty_typeEbEEZZNS1_14partition_implILS5_8ELb0ES3_jPKlPS6_PKS6_NS0_5tupleIJPlS6_EEENSE_IJSB_SB_EEENS0_18inequality_wrapperIN6hipcub16HIPCUB_304000_NS8EqualityEEESF_JS6_EEE10hipError_tPvRmT3_T4_T5_T6_T7_T9_mT8_P12ihipStream_tbDpT10_ENKUlT_T0_E_clISt17integral_constantIbLb0EES15_IbLb1EEEEDaS11_S12_EUlS11_E_NS1_11comp_targetILNS1_3genE10ELNS1_11target_archE1200ELNS1_3gpuE4ELNS1_3repE0EEENS1_30default_config_static_selectorELNS0_4arch9wavefront6targetE1EEEvT1_.numbered_sgpr, 0
	.set _ZN7rocprim17ROCPRIM_400000_NS6detail17trampoline_kernelINS0_14default_configENS1_25partition_config_selectorILNS1_17partition_subalgoE8ElNS0_10empty_typeEbEEZZNS1_14partition_implILS5_8ELb0ES3_jPKlPS6_PKS6_NS0_5tupleIJPlS6_EEENSE_IJSB_SB_EEENS0_18inequality_wrapperIN6hipcub16HIPCUB_304000_NS8EqualityEEESF_JS6_EEE10hipError_tPvRmT3_T4_T5_T6_T7_T9_mT8_P12ihipStream_tbDpT10_ENKUlT_T0_E_clISt17integral_constantIbLb0EES15_IbLb1EEEEDaS11_S12_EUlS11_E_NS1_11comp_targetILNS1_3genE10ELNS1_11target_archE1200ELNS1_3gpuE4ELNS1_3repE0EEENS1_30default_config_static_selectorELNS0_4arch9wavefront6targetE1EEEvT1_.num_named_barrier, 0
	.set _ZN7rocprim17ROCPRIM_400000_NS6detail17trampoline_kernelINS0_14default_configENS1_25partition_config_selectorILNS1_17partition_subalgoE8ElNS0_10empty_typeEbEEZZNS1_14partition_implILS5_8ELb0ES3_jPKlPS6_PKS6_NS0_5tupleIJPlS6_EEENSE_IJSB_SB_EEENS0_18inequality_wrapperIN6hipcub16HIPCUB_304000_NS8EqualityEEESF_JS6_EEE10hipError_tPvRmT3_T4_T5_T6_T7_T9_mT8_P12ihipStream_tbDpT10_ENKUlT_T0_E_clISt17integral_constantIbLb0EES15_IbLb1EEEEDaS11_S12_EUlS11_E_NS1_11comp_targetILNS1_3genE10ELNS1_11target_archE1200ELNS1_3gpuE4ELNS1_3repE0EEENS1_30default_config_static_selectorELNS0_4arch9wavefront6targetE1EEEvT1_.private_seg_size, 0
	.set _ZN7rocprim17ROCPRIM_400000_NS6detail17trampoline_kernelINS0_14default_configENS1_25partition_config_selectorILNS1_17partition_subalgoE8ElNS0_10empty_typeEbEEZZNS1_14partition_implILS5_8ELb0ES3_jPKlPS6_PKS6_NS0_5tupleIJPlS6_EEENSE_IJSB_SB_EEENS0_18inequality_wrapperIN6hipcub16HIPCUB_304000_NS8EqualityEEESF_JS6_EEE10hipError_tPvRmT3_T4_T5_T6_T7_T9_mT8_P12ihipStream_tbDpT10_ENKUlT_T0_E_clISt17integral_constantIbLb0EES15_IbLb1EEEEDaS11_S12_EUlS11_E_NS1_11comp_targetILNS1_3genE10ELNS1_11target_archE1200ELNS1_3gpuE4ELNS1_3repE0EEENS1_30default_config_static_selectorELNS0_4arch9wavefront6targetE1EEEvT1_.uses_vcc, 0
	.set _ZN7rocprim17ROCPRIM_400000_NS6detail17trampoline_kernelINS0_14default_configENS1_25partition_config_selectorILNS1_17partition_subalgoE8ElNS0_10empty_typeEbEEZZNS1_14partition_implILS5_8ELb0ES3_jPKlPS6_PKS6_NS0_5tupleIJPlS6_EEENSE_IJSB_SB_EEENS0_18inequality_wrapperIN6hipcub16HIPCUB_304000_NS8EqualityEEESF_JS6_EEE10hipError_tPvRmT3_T4_T5_T6_T7_T9_mT8_P12ihipStream_tbDpT10_ENKUlT_T0_E_clISt17integral_constantIbLb0EES15_IbLb1EEEEDaS11_S12_EUlS11_E_NS1_11comp_targetILNS1_3genE10ELNS1_11target_archE1200ELNS1_3gpuE4ELNS1_3repE0EEENS1_30default_config_static_selectorELNS0_4arch9wavefront6targetE1EEEvT1_.uses_flat_scratch, 0
	.set _ZN7rocprim17ROCPRIM_400000_NS6detail17trampoline_kernelINS0_14default_configENS1_25partition_config_selectorILNS1_17partition_subalgoE8ElNS0_10empty_typeEbEEZZNS1_14partition_implILS5_8ELb0ES3_jPKlPS6_PKS6_NS0_5tupleIJPlS6_EEENSE_IJSB_SB_EEENS0_18inequality_wrapperIN6hipcub16HIPCUB_304000_NS8EqualityEEESF_JS6_EEE10hipError_tPvRmT3_T4_T5_T6_T7_T9_mT8_P12ihipStream_tbDpT10_ENKUlT_T0_E_clISt17integral_constantIbLb0EES15_IbLb1EEEEDaS11_S12_EUlS11_E_NS1_11comp_targetILNS1_3genE10ELNS1_11target_archE1200ELNS1_3gpuE4ELNS1_3repE0EEENS1_30default_config_static_selectorELNS0_4arch9wavefront6targetE1EEEvT1_.has_dyn_sized_stack, 0
	.set _ZN7rocprim17ROCPRIM_400000_NS6detail17trampoline_kernelINS0_14default_configENS1_25partition_config_selectorILNS1_17partition_subalgoE8ElNS0_10empty_typeEbEEZZNS1_14partition_implILS5_8ELb0ES3_jPKlPS6_PKS6_NS0_5tupleIJPlS6_EEENSE_IJSB_SB_EEENS0_18inequality_wrapperIN6hipcub16HIPCUB_304000_NS8EqualityEEESF_JS6_EEE10hipError_tPvRmT3_T4_T5_T6_T7_T9_mT8_P12ihipStream_tbDpT10_ENKUlT_T0_E_clISt17integral_constantIbLb0EES15_IbLb1EEEEDaS11_S12_EUlS11_E_NS1_11comp_targetILNS1_3genE10ELNS1_11target_archE1200ELNS1_3gpuE4ELNS1_3repE0EEENS1_30default_config_static_selectorELNS0_4arch9wavefront6targetE1EEEvT1_.has_recursion, 0
	.set _ZN7rocprim17ROCPRIM_400000_NS6detail17trampoline_kernelINS0_14default_configENS1_25partition_config_selectorILNS1_17partition_subalgoE8ElNS0_10empty_typeEbEEZZNS1_14partition_implILS5_8ELb0ES3_jPKlPS6_PKS6_NS0_5tupleIJPlS6_EEENSE_IJSB_SB_EEENS0_18inequality_wrapperIN6hipcub16HIPCUB_304000_NS8EqualityEEESF_JS6_EEE10hipError_tPvRmT3_T4_T5_T6_T7_T9_mT8_P12ihipStream_tbDpT10_ENKUlT_T0_E_clISt17integral_constantIbLb0EES15_IbLb1EEEEDaS11_S12_EUlS11_E_NS1_11comp_targetILNS1_3genE10ELNS1_11target_archE1200ELNS1_3gpuE4ELNS1_3repE0EEENS1_30default_config_static_selectorELNS0_4arch9wavefront6targetE1EEEvT1_.has_indirect_call, 0
	.section	.AMDGPU.csdata,"",@progbits
; Kernel info:
; codeLenInByte = 0
; TotalNumSgprs: 6
; NumVgprs: 0
; NumAgprs: 0
; TotalNumVgprs: 0
; ScratchSize: 0
; MemoryBound: 0
; FloatMode: 240
; IeeeMode: 1
; LDSByteSize: 0 bytes/workgroup (compile time only)
; SGPRBlocks: 0
; VGPRBlocks: 0
; NumSGPRsForWavesPerEU: 6
; NumVGPRsForWavesPerEU: 1
; AccumOffset: 4
; Occupancy: 8
; WaveLimiterHint : 0
; COMPUTE_PGM_RSRC2:SCRATCH_EN: 0
; COMPUTE_PGM_RSRC2:USER_SGPR: 2
; COMPUTE_PGM_RSRC2:TRAP_HANDLER: 0
; COMPUTE_PGM_RSRC2:TGID_X_EN: 1
; COMPUTE_PGM_RSRC2:TGID_Y_EN: 0
; COMPUTE_PGM_RSRC2:TGID_Z_EN: 0
; COMPUTE_PGM_RSRC2:TIDIG_COMP_CNT: 0
; COMPUTE_PGM_RSRC3_GFX90A:ACCUM_OFFSET: 0
; COMPUTE_PGM_RSRC3_GFX90A:TG_SPLIT: 0
	.section	.text._ZN7rocprim17ROCPRIM_400000_NS6detail17trampoline_kernelINS0_14default_configENS1_25partition_config_selectorILNS1_17partition_subalgoE8ElNS0_10empty_typeEbEEZZNS1_14partition_implILS5_8ELb0ES3_jPKlPS6_PKS6_NS0_5tupleIJPlS6_EEENSE_IJSB_SB_EEENS0_18inequality_wrapperIN6hipcub16HIPCUB_304000_NS8EqualityEEESF_JS6_EEE10hipError_tPvRmT3_T4_T5_T6_T7_T9_mT8_P12ihipStream_tbDpT10_ENKUlT_T0_E_clISt17integral_constantIbLb0EES15_IbLb1EEEEDaS11_S12_EUlS11_E_NS1_11comp_targetILNS1_3genE9ELNS1_11target_archE1100ELNS1_3gpuE3ELNS1_3repE0EEENS1_30default_config_static_selectorELNS0_4arch9wavefront6targetE1EEEvT1_,"axG",@progbits,_ZN7rocprim17ROCPRIM_400000_NS6detail17trampoline_kernelINS0_14default_configENS1_25partition_config_selectorILNS1_17partition_subalgoE8ElNS0_10empty_typeEbEEZZNS1_14partition_implILS5_8ELb0ES3_jPKlPS6_PKS6_NS0_5tupleIJPlS6_EEENSE_IJSB_SB_EEENS0_18inequality_wrapperIN6hipcub16HIPCUB_304000_NS8EqualityEEESF_JS6_EEE10hipError_tPvRmT3_T4_T5_T6_T7_T9_mT8_P12ihipStream_tbDpT10_ENKUlT_T0_E_clISt17integral_constantIbLb0EES15_IbLb1EEEEDaS11_S12_EUlS11_E_NS1_11comp_targetILNS1_3genE9ELNS1_11target_archE1100ELNS1_3gpuE3ELNS1_3repE0EEENS1_30default_config_static_selectorELNS0_4arch9wavefront6targetE1EEEvT1_,comdat
	.protected	_ZN7rocprim17ROCPRIM_400000_NS6detail17trampoline_kernelINS0_14default_configENS1_25partition_config_selectorILNS1_17partition_subalgoE8ElNS0_10empty_typeEbEEZZNS1_14partition_implILS5_8ELb0ES3_jPKlPS6_PKS6_NS0_5tupleIJPlS6_EEENSE_IJSB_SB_EEENS0_18inequality_wrapperIN6hipcub16HIPCUB_304000_NS8EqualityEEESF_JS6_EEE10hipError_tPvRmT3_T4_T5_T6_T7_T9_mT8_P12ihipStream_tbDpT10_ENKUlT_T0_E_clISt17integral_constantIbLb0EES15_IbLb1EEEEDaS11_S12_EUlS11_E_NS1_11comp_targetILNS1_3genE9ELNS1_11target_archE1100ELNS1_3gpuE3ELNS1_3repE0EEENS1_30default_config_static_selectorELNS0_4arch9wavefront6targetE1EEEvT1_ ; -- Begin function _ZN7rocprim17ROCPRIM_400000_NS6detail17trampoline_kernelINS0_14default_configENS1_25partition_config_selectorILNS1_17partition_subalgoE8ElNS0_10empty_typeEbEEZZNS1_14partition_implILS5_8ELb0ES3_jPKlPS6_PKS6_NS0_5tupleIJPlS6_EEENSE_IJSB_SB_EEENS0_18inequality_wrapperIN6hipcub16HIPCUB_304000_NS8EqualityEEESF_JS6_EEE10hipError_tPvRmT3_T4_T5_T6_T7_T9_mT8_P12ihipStream_tbDpT10_ENKUlT_T0_E_clISt17integral_constantIbLb0EES15_IbLb1EEEEDaS11_S12_EUlS11_E_NS1_11comp_targetILNS1_3genE9ELNS1_11target_archE1100ELNS1_3gpuE3ELNS1_3repE0EEENS1_30default_config_static_selectorELNS0_4arch9wavefront6targetE1EEEvT1_
	.globl	_ZN7rocprim17ROCPRIM_400000_NS6detail17trampoline_kernelINS0_14default_configENS1_25partition_config_selectorILNS1_17partition_subalgoE8ElNS0_10empty_typeEbEEZZNS1_14partition_implILS5_8ELb0ES3_jPKlPS6_PKS6_NS0_5tupleIJPlS6_EEENSE_IJSB_SB_EEENS0_18inequality_wrapperIN6hipcub16HIPCUB_304000_NS8EqualityEEESF_JS6_EEE10hipError_tPvRmT3_T4_T5_T6_T7_T9_mT8_P12ihipStream_tbDpT10_ENKUlT_T0_E_clISt17integral_constantIbLb0EES15_IbLb1EEEEDaS11_S12_EUlS11_E_NS1_11comp_targetILNS1_3genE9ELNS1_11target_archE1100ELNS1_3gpuE3ELNS1_3repE0EEENS1_30default_config_static_selectorELNS0_4arch9wavefront6targetE1EEEvT1_
	.p2align	8
	.type	_ZN7rocprim17ROCPRIM_400000_NS6detail17trampoline_kernelINS0_14default_configENS1_25partition_config_selectorILNS1_17partition_subalgoE8ElNS0_10empty_typeEbEEZZNS1_14partition_implILS5_8ELb0ES3_jPKlPS6_PKS6_NS0_5tupleIJPlS6_EEENSE_IJSB_SB_EEENS0_18inequality_wrapperIN6hipcub16HIPCUB_304000_NS8EqualityEEESF_JS6_EEE10hipError_tPvRmT3_T4_T5_T6_T7_T9_mT8_P12ihipStream_tbDpT10_ENKUlT_T0_E_clISt17integral_constantIbLb0EES15_IbLb1EEEEDaS11_S12_EUlS11_E_NS1_11comp_targetILNS1_3genE9ELNS1_11target_archE1100ELNS1_3gpuE3ELNS1_3repE0EEENS1_30default_config_static_selectorELNS0_4arch9wavefront6targetE1EEEvT1_,@function
_ZN7rocprim17ROCPRIM_400000_NS6detail17trampoline_kernelINS0_14default_configENS1_25partition_config_selectorILNS1_17partition_subalgoE8ElNS0_10empty_typeEbEEZZNS1_14partition_implILS5_8ELb0ES3_jPKlPS6_PKS6_NS0_5tupleIJPlS6_EEENSE_IJSB_SB_EEENS0_18inequality_wrapperIN6hipcub16HIPCUB_304000_NS8EqualityEEESF_JS6_EEE10hipError_tPvRmT3_T4_T5_T6_T7_T9_mT8_P12ihipStream_tbDpT10_ENKUlT_T0_E_clISt17integral_constantIbLb0EES15_IbLb1EEEEDaS11_S12_EUlS11_E_NS1_11comp_targetILNS1_3genE9ELNS1_11target_archE1100ELNS1_3gpuE3ELNS1_3repE0EEENS1_30default_config_static_selectorELNS0_4arch9wavefront6targetE1EEEvT1_: ; @_ZN7rocprim17ROCPRIM_400000_NS6detail17trampoline_kernelINS0_14default_configENS1_25partition_config_selectorILNS1_17partition_subalgoE8ElNS0_10empty_typeEbEEZZNS1_14partition_implILS5_8ELb0ES3_jPKlPS6_PKS6_NS0_5tupleIJPlS6_EEENSE_IJSB_SB_EEENS0_18inequality_wrapperIN6hipcub16HIPCUB_304000_NS8EqualityEEESF_JS6_EEE10hipError_tPvRmT3_T4_T5_T6_T7_T9_mT8_P12ihipStream_tbDpT10_ENKUlT_T0_E_clISt17integral_constantIbLb0EES15_IbLb1EEEEDaS11_S12_EUlS11_E_NS1_11comp_targetILNS1_3genE9ELNS1_11target_archE1100ELNS1_3gpuE3ELNS1_3repE0EEENS1_30default_config_static_selectorELNS0_4arch9wavefront6targetE1EEEvT1_
; %bb.0:
	.section	.rodata,"a",@progbits
	.p2align	6, 0x0
	.amdhsa_kernel _ZN7rocprim17ROCPRIM_400000_NS6detail17trampoline_kernelINS0_14default_configENS1_25partition_config_selectorILNS1_17partition_subalgoE8ElNS0_10empty_typeEbEEZZNS1_14partition_implILS5_8ELb0ES3_jPKlPS6_PKS6_NS0_5tupleIJPlS6_EEENSE_IJSB_SB_EEENS0_18inequality_wrapperIN6hipcub16HIPCUB_304000_NS8EqualityEEESF_JS6_EEE10hipError_tPvRmT3_T4_T5_T6_T7_T9_mT8_P12ihipStream_tbDpT10_ENKUlT_T0_E_clISt17integral_constantIbLb0EES15_IbLb1EEEEDaS11_S12_EUlS11_E_NS1_11comp_targetILNS1_3genE9ELNS1_11target_archE1100ELNS1_3gpuE3ELNS1_3repE0EEENS1_30default_config_static_selectorELNS0_4arch9wavefront6targetE1EEEvT1_
		.amdhsa_group_segment_fixed_size 0
		.amdhsa_private_segment_fixed_size 0
		.amdhsa_kernarg_size 128
		.amdhsa_user_sgpr_count 2
		.amdhsa_user_sgpr_dispatch_ptr 0
		.amdhsa_user_sgpr_queue_ptr 0
		.amdhsa_user_sgpr_kernarg_segment_ptr 1
		.amdhsa_user_sgpr_dispatch_id 0
		.amdhsa_user_sgpr_kernarg_preload_length 0
		.amdhsa_user_sgpr_kernarg_preload_offset 0
		.amdhsa_user_sgpr_private_segment_size 0
		.amdhsa_uses_dynamic_stack 0
		.amdhsa_enable_private_segment 0
		.amdhsa_system_sgpr_workgroup_id_x 1
		.amdhsa_system_sgpr_workgroup_id_y 0
		.amdhsa_system_sgpr_workgroup_id_z 0
		.amdhsa_system_sgpr_workgroup_info 0
		.amdhsa_system_vgpr_workitem_id 0
		.amdhsa_next_free_vgpr 1
		.amdhsa_next_free_sgpr 0
		.amdhsa_accum_offset 4
		.amdhsa_reserve_vcc 0
		.amdhsa_float_round_mode_32 0
		.amdhsa_float_round_mode_16_64 0
		.amdhsa_float_denorm_mode_32 3
		.amdhsa_float_denorm_mode_16_64 3
		.amdhsa_dx10_clamp 1
		.amdhsa_ieee_mode 1
		.amdhsa_fp16_overflow 0
		.amdhsa_tg_split 0
		.amdhsa_exception_fp_ieee_invalid_op 0
		.amdhsa_exception_fp_denorm_src 0
		.amdhsa_exception_fp_ieee_div_zero 0
		.amdhsa_exception_fp_ieee_overflow 0
		.amdhsa_exception_fp_ieee_underflow 0
		.amdhsa_exception_fp_ieee_inexact 0
		.amdhsa_exception_int_div_zero 0
	.end_amdhsa_kernel
	.section	.text._ZN7rocprim17ROCPRIM_400000_NS6detail17trampoline_kernelINS0_14default_configENS1_25partition_config_selectorILNS1_17partition_subalgoE8ElNS0_10empty_typeEbEEZZNS1_14partition_implILS5_8ELb0ES3_jPKlPS6_PKS6_NS0_5tupleIJPlS6_EEENSE_IJSB_SB_EEENS0_18inequality_wrapperIN6hipcub16HIPCUB_304000_NS8EqualityEEESF_JS6_EEE10hipError_tPvRmT3_T4_T5_T6_T7_T9_mT8_P12ihipStream_tbDpT10_ENKUlT_T0_E_clISt17integral_constantIbLb0EES15_IbLb1EEEEDaS11_S12_EUlS11_E_NS1_11comp_targetILNS1_3genE9ELNS1_11target_archE1100ELNS1_3gpuE3ELNS1_3repE0EEENS1_30default_config_static_selectorELNS0_4arch9wavefront6targetE1EEEvT1_,"axG",@progbits,_ZN7rocprim17ROCPRIM_400000_NS6detail17trampoline_kernelINS0_14default_configENS1_25partition_config_selectorILNS1_17partition_subalgoE8ElNS0_10empty_typeEbEEZZNS1_14partition_implILS5_8ELb0ES3_jPKlPS6_PKS6_NS0_5tupleIJPlS6_EEENSE_IJSB_SB_EEENS0_18inequality_wrapperIN6hipcub16HIPCUB_304000_NS8EqualityEEESF_JS6_EEE10hipError_tPvRmT3_T4_T5_T6_T7_T9_mT8_P12ihipStream_tbDpT10_ENKUlT_T0_E_clISt17integral_constantIbLb0EES15_IbLb1EEEEDaS11_S12_EUlS11_E_NS1_11comp_targetILNS1_3genE9ELNS1_11target_archE1100ELNS1_3gpuE3ELNS1_3repE0EEENS1_30default_config_static_selectorELNS0_4arch9wavefront6targetE1EEEvT1_,comdat
.Lfunc_end256:
	.size	_ZN7rocprim17ROCPRIM_400000_NS6detail17trampoline_kernelINS0_14default_configENS1_25partition_config_selectorILNS1_17partition_subalgoE8ElNS0_10empty_typeEbEEZZNS1_14partition_implILS5_8ELb0ES3_jPKlPS6_PKS6_NS0_5tupleIJPlS6_EEENSE_IJSB_SB_EEENS0_18inequality_wrapperIN6hipcub16HIPCUB_304000_NS8EqualityEEESF_JS6_EEE10hipError_tPvRmT3_T4_T5_T6_T7_T9_mT8_P12ihipStream_tbDpT10_ENKUlT_T0_E_clISt17integral_constantIbLb0EES15_IbLb1EEEEDaS11_S12_EUlS11_E_NS1_11comp_targetILNS1_3genE9ELNS1_11target_archE1100ELNS1_3gpuE3ELNS1_3repE0EEENS1_30default_config_static_selectorELNS0_4arch9wavefront6targetE1EEEvT1_, .Lfunc_end256-_ZN7rocprim17ROCPRIM_400000_NS6detail17trampoline_kernelINS0_14default_configENS1_25partition_config_selectorILNS1_17partition_subalgoE8ElNS0_10empty_typeEbEEZZNS1_14partition_implILS5_8ELb0ES3_jPKlPS6_PKS6_NS0_5tupleIJPlS6_EEENSE_IJSB_SB_EEENS0_18inequality_wrapperIN6hipcub16HIPCUB_304000_NS8EqualityEEESF_JS6_EEE10hipError_tPvRmT3_T4_T5_T6_T7_T9_mT8_P12ihipStream_tbDpT10_ENKUlT_T0_E_clISt17integral_constantIbLb0EES15_IbLb1EEEEDaS11_S12_EUlS11_E_NS1_11comp_targetILNS1_3genE9ELNS1_11target_archE1100ELNS1_3gpuE3ELNS1_3repE0EEENS1_30default_config_static_selectorELNS0_4arch9wavefront6targetE1EEEvT1_
                                        ; -- End function
	.set _ZN7rocprim17ROCPRIM_400000_NS6detail17trampoline_kernelINS0_14default_configENS1_25partition_config_selectorILNS1_17partition_subalgoE8ElNS0_10empty_typeEbEEZZNS1_14partition_implILS5_8ELb0ES3_jPKlPS6_PKS6_NS0_5tupleIJPlS6_EEENSE_IJSB_SB_EEENS0_18inequality_wrapperIN6hipcub16HIPCUB_304000_NS8EqualityEEESF_JS6_EEE10hipError_tPvRmT3_T4_T5_T6_T7_T9_mT8_P12ihipStream_tbDpT10_ENKUlT_T0_E_clISt17integral_constantIbLb0EES15_IbLb1EEEEDaS11_S12_EUlS11_E_NS1_11comp_targetILNS1_3genE9ELNS1_11target_archE1100ELNS1_3gpuE3ELNS1_3repE0EEENS1_30default_config_static_selectorELNS0_4arch9wavefront6targetE1EEEvT1_.num_vgpr, 0
	.set _ZN7rocprim17ROCPRIM_400000_NS6detail17trampoline_kernelINS0_14default_configENS1_25partition_config_selectorILNS1_17partition_subalgoE8ElNS0_10empty_typeEbEEZZNS1_14partition_implILS5_8ELb0ES3_jPKlPS6_PKS6_NS0_5tupleIJPlS6_EEENSE_IJSB_SB_EEENS0_18inequality_wrapperIN6hipcub16HIPCUB_304000_NS8EqualityEEESF_JS6_EEE10hipError_tPvRmT3_T4_T5_T6_T7_T9_mT8_P12ihipStream_tbDpT10_ENKUlT_T0_E_clISt17integral_constantIbLb0EES15_IbLb1EEEEDaS11_S12_EUlS11_E_NS1_11comp_targetILNS1_3genE9ELNS1_11target_archE1100ELNS1_3gpuE3ELNS1_3repE0EEENS1_30default_config_static_selectorELNS0_4arch9wavefront6targetE1EEEvT1_.num_agpr, 0
	.set _ZN7rocprim17ROCPRIM_400000_NS6detail17trampoline_kernelINS0_14default_configENS1_25partition_config_selectorILNS1_17partition_subalgoE8ElNS0_10empty_typeEbEEZZNS1_14partition_implILS5_8ELb0ES3_jPKlPS6_PKS6_NS0_5tupleIJPlS6_EEENSE_IJSB_SB_EEENS0_18inequality_wrapperIN6hipcub16HIPCUB_304000_NS8EqualityEEESF_JS6_EEE10hipError_tPvRmT3_T4_T5_T6_T7_T9_mT8_P12ihipStream_tbDpT10_ENKUlT_T0_E_clISt17integral_constantIbLb0EES15_IbLb1EEEEDaS11_S12_EUlS11_E_NS1_11comp_targetILNS1_3genE9ELNS1_11target_archE1100ELNS1_3gpuE3ELNS1_3repE0EEENS1_30default_config_static_selectorELNS0_4arch9wavefront6targetE1EEEvT1_.numbered_sgpr, 0
	.set _ZN7rocprim17ROCPRIM_400000_NS6detail17trampoline_kernelINS0_14default_configENS1_25partition_config_selectorILNS1_17partition_subalgoE8ElNS0_10empty_typeEbEEZZNS1_14partition_implILS5_8ELb0ES3_jPKlPS6_PKS6_NS0_5tupleIJPlS6_EEENSE_IJSB_SB_EEENS0_18inequality_wrapperIN6hipcub16HIPCUB_304000_NS8EqualityEEESF_JS6_EEE10hipError_tPvRmT3_T4_T5_T6_T7_T9_mT8_P12ihipStream_tbDpT10_ENKUlT_T0_E_clISt17integral_constantIbLb0EES15_IbLb1EEEEDaS11_S12_EUlS11_E_NS1_11comp_targetILNS1_3genE9ELNS1_11target_archE1100ELNS1_3gpuE3ELNS1_3repE0EEENS1_30default_config_static_selectorELNS0_4arch9wavefront6targetE1EEEvT1_.num_named_barrier, 0
	.set _ZN7rocprim17ROCPRIM_400000_NS6detail17trampoline_kernelINS0_14default_configENS1_25partition_config_selectorILNS1_17partition_subalgoE8ElNS0_10empty_typeEbEEZZNS1_14partition_implILS5_8ELb0ES3_jPKlPS6_PKS6_NS0_5tupleIJPlS6_EEENSE_IJSB_SB_EEENS0_18inequality_wrapperIN6hipcub16HIPCUB_304000_NS8EqualityEEESF_JS6_EEE10hipError_tPvRmT3_T4_T5_T6_T7_T9_mT8_P12ihipStream_tbDpT10_ENKUlT_T0_E_clISt17integral_constantIbLb0EES15_IbLb1EEEEDaS11_S12_EUlS11_E_NS1_11comp_targetILNS1_3genE9ELNS1_11target_archE1100ELNS1_3gpuE3ELNS1_3repE0EEENS1_30default_config_static_selectorELNS0_4arch9wavefront6targetE1EEEvT1_.private_seg_size, 0
	.set _ZN7rocprim17ROCPRIM_400000_NS6detail17trampoline_kernelINS0_14default_configENS1_25partition_config_selectorILNS1_17partition_subalgoE8ElNS0_10empty_typeEbEEZZNS1_14partition_implILS5_8ELb0ES3_jPKlPS6_PKS6_NS0_5tupleIJPlS6_EEENSE_IJSB_SB_EEENS0_18inequality_wrapperIN6hipcub16HIPCUB_304000_NS8EqualityEEESF_JS6_EEE10hipError_tPvRmT3_T4_T5_T6_T7_T9_mT8_P12ihipStream_tbDpT10_ENKUlT_T0_E_clISt17integral_constantIbLb0EES15_IbLb1EEEEDaS11_S12_EUlS11_E_NS1_11comp_targetILNS1_3genE9ELNS1_11target_archE1100ELNS1_3gpuE3ELNS1_3repE0EEENS1_30default_config_static_selectorELNS0_4arch9wavefront6targetE1EEEvT1_.uses_vcc, 0
	.set _ZN7rocprim17ROCPRIM_400000_NS6detail17trampoline_kernelINS0_14default_configENS1_25partition_config_selectorILNS1_17partition_subalgoE8ElNS0_10empty_typeEbEEZZNS1_14partition_implILS5_8ELb0ES3_jPKlPS6_PKS6_NS0_5tupleIJPlS6_EEENSE_IJSB_SB_EEENS0_18inequality_wrapperIN6hipcub16HIPCUB_304000_NS8EqualityEEESF_JS6_EEE10hipError_tPvRmT3_T4_T5_T6_T7_T9_mT8_P12ihipStream_tbDpT10_ENKUlT_T0_E_clISt17integral_constantIbLb0EES15_IbLb1EEEEDaS11_S12_EUlS11_E_NS1_11comp_targetILNS1_3genE9ELNS1_11target_archE1100ELNS1_3gpuE3ELNS1_3repE0EEENS1_30default_config_static_selectorELNS0_4arch9wavefront6targetE1EEEvT1_.uses_flat_scratch, 0
	.set _ZN7rocprim17ROCPRIM_400000_NS6detail17trampoline_kernelINS0_14default_configENS1_25partition_config_selectorILNS1_17partition_subalgoE8ElNS0_10empty_typeEbEEZZNS1_14partition_implILS5_8ELb0ES3_jPKlPS6_PKS6_NS0_5tupleIJPlS6_EEENSE_IJSB_SB_EEENS0_18inequality_wrapperIN6hipcub16HIPCUB_304000_NS8EqualityEEESF_JS6_EEE10hipError_tPvRmT3_T4_T5_T6_T7_T9_mT8_P12ihipStream_tbDpT10_ENKUlT_T0_E_clISt17integral_constantIbLb0EES15_IbLb1EEEEDaS11_S12_EUlS11_E_NS1_11comp_targetILNS1_3genE9ELNS1_11target_archE1100ELNS1_3gpuE3ELNS1_3repE0EEENS1_30default_config_static_selectorELNS0_4arch9wavefront6targetE1EEEvT1_.has_dyn_sized_stack, 0
	.set _ZN7rocprim17ROCPRIM_400000_NS6detail17trampoline_kernelINS0_14default_configENS1_25partition_config_selectorILNS1_17partition_subalgoE8ElNS0_10empty_typeEbEEZZNS1_14partition_implILS5_8ELb0ES3_jPKlPS6_PKS6_NS0_5tupleIJPlS6_EEENSE_IJSB_SB_EEENS0_18inequality_wrapperIN6hipcub16HIPCUB_304000_NS8EqualityEEESF_JS6_EEE10hipError_tPvRmT3_T4_T5_T6_T7_T9_mT8_P12ihipStream_tbDpT10_ENKUlT_T0_E_clISt17integral_constantIbLb0EES15_IbLb1EEEEDaS11_S12_EUlS11_E_NS1_11comp_targetILNS1_3genE9ELNS1_11target_archE1100ELNS1_3gpuE3ELNS1_3repE0EEENS1_30default_config_static_selectorELNS0_4arch9wavefront6targetE1EEEvT1_.has_recursion, 0
	.set _ZN7rocprim17ROCPRIM_400000_NS6detail17trampoline_kernelINS0_14default_configENS1_25partition_config_selectorILNS1_17partition_subalgoE8ElNS0_10empty_typeEbEEZZNS1_14partition_implILS5_8ELb0ES3_jPKlPS6_PKS6_NS0_5tupleIJPlS6_EEENSE_IJSB_SB_EEENS0_18inequality_wrapperIN6hipcub16HIPCUB_304000_NS8EqualityEEESF_JS6_EEE10hipError_tPvRmT3_T4_T5_T6_T7_T9_mT8_P12ihipStream_tbDpT10_ENKUlT_T0_E_clISt17integral_constantIbLb0EES15_IbLb1EEEEDaS11_S12_EUlS11_E_NS1_11comp_targetILNS1_3genE9ELNS1_11target_archE1100ELNS1_3gpuE3ELNS1_3repE0EEENS1_30default_config_static_selectorELNS0_4arch9wavefront6targetE1EEEvT1_.has_indirect_call, 0
	.section	.AMDGPU.csdata,"",@progbits
; Kernel info:
; codeLenInByte = 0
; TotalNumSgprs: 6
; NumVgprs: 0
; NumAgprs: 0
; TotalNumVgprs: 0
; ScratchSize: 0
; MemoryBound: 0
; FloatMode: 240
; IeeeMode: 1
; LDSByteSize: 0 bytes/workgroup (compile time only)
; SGPRBlocks: 0
; VGPRBlocks: 0
; NumSGPRsForWavesPerEU: 6
; NumVGPRsForWavesPerEU: 1
; AccumOffset: 4
; Occupancy: 8
; WaveLimiterHint : 0
; COMPUTE_PGM_RSRC2:SCRATCH_EN: 0
; COMPUTE_PGM_RSRC2:USER_SGPR: 2
; COMPUTE_PGM_RSRC2:TRAP_HANDLER: 0
; COMPUTE_PGM_RSRC2:TGID_X_EN: 1
; COMPUTE_PGM_RSRC2:TGID_Y_EN: 0
; COMPUTE_PGM_RSRC2:TGID_Z_EN: 0
; COMPUTE_PGM_RSRC2:TIDIG_COMP_CNT: 0
; COMPUTE_PGM_RSRC3_GFX90A:ACCUM_OFFSET: 0
; COMPUTE_PGM_RSRC3_GFX90A:TG_SPLIT: 0
	.section	.text._ZN7rocprim17ROCPRIM_400000_NS6detail17trampoline_kernelINS0_14default_configENS1_25partition_config_selectorILNS1_17partition_subalgoE8ElNS0_10empty_typeEbEEZZNS1_14partition_implILS5_8ELb0ES3_jPKlPS6_PKS6_NS0_5tupleIJPlS6_EEENSE_IJSB_SB_EEENS0_18inequality_wrapperIN6hipcub16HIPCUB_304000_NS8EqualityEEESF_JS6_EEE10hipError_tPvRmT3_T4_T5_T6_T7_T9_mT8_P12ihipStream_tbDpT10_ENKUlT_T0_E_clISt17integral_constantIbLb0EES15_IbLb1EEEEDaS11_S12_EUlS11_E_NS1_11comp_targetILNS1_3genE8ELNS1_11target_archE1030ELNS1_3gpuE2ELNS1_3repE0EEENS1_30default_config_static_selectorELNS0_4arch9wavefront6targetE1EEEvT1_,"axG",@progbits,_ZN7rocprim17ROCPRIM_400000_NS6detail17trampoline_kernelINS0_14default_configENS1_25partition_config_selectorILNS1_17partition_subalgoE8ElNS0_10empty_typeEbEEZZNS1_14partition_implILS5_8ELb0ES3_jPKlPS6_PKS6_NS0_5tupleIJPlS6_EEENSE_IJSB_SB_EEENS0_18inequality_wrapperIN6hipcub16HIPCUB_304000_NS8EqualityEEESF_JS6_EEE10hipError_tPvRmT3_T4_T5_T6_T7_T9_mT8_P12ihipStream_tbDpT10_ENKUlT_T0_E_clISt17integral_constantIbLb0EES15_IbLb1EEEEDaS11_S12_EUlS11_E_NS1_11comp_targetILNS1_3genE8ELNS1_11target_archE1030ELNS1_3gpuE2ELNS1_3repE0EEENS1_30default_config_static_selectorELNS0_4arch9wavefront6targetE1EEEvT1_,comdat
	.protected	_ZN7rocprim17ROCPRIM_400000_NS6detail17trampoline_kernelINS0_14default_configENS1_25partition_config_selectorILNS1_17partition_subalgoE8ElNS0_10empty_typeEbEEZZNS1_14partition_implILS5_8ELb0ES3_jPKlPS6_PKS6_NS0_5tupleIJPlS6_EEENSE_IJSB_SB_EEENS0_18inequality_wrapperIN6hipcub16HIPCUB_304000_NS8EqualityEEESF_JS6_EEE10hipError_tPvRmT3_T4_T5_T6_T7_T9_mT8_P12ihipStream_tbDpT10_ENKUlT_T0_E_clISt17integral_constantIbLb0EES15_IbLb1EEEEDaS11_S12_EUlS11_E_NS1_11comp_targetILNS1_3genE8ELNS1_11target_archE1030ELNS1_3gpuE2ELNS1_3repE0EEENS1_30default_config_static_selectorELNS0_4arch9wavefront6targetE1EEEvT1_ ; -- Begin function _ZN7rocprim17ROCPRIM_400000_NS6detail17trampoline_kernelINS0_14default_configENS1_25partition_config_selectorILNS1_17partition_subalgoE8ElNS0_10empty_typeEbEEZZNS1_14partition_implILS5_8ELb0ES3_jPKlPS6_PKS6_NS0_5tupleIJPlS6_EEENSE_IJSB_SB_EEENS0_18inequality_wrapperIN6hipcub16HIPCUB_304000_NS8EqualityEEESF_JS6_EEE10hipError_tPvRmT3_T4_T5_T6_T7_T9_mT8_P12ihipStream_tbDpT10_ENKUlT_T0_E_clISt17integral_constantIbLb0EES15_IbLb1EEEEDaS11_S12_EUlS11_E_NS1_11comp_targetILNS1_3genE8ELNS1_11target_archE1030ELNS1_3gpuE2ELNS1_3repE0EEENS1_30default_config_static_selectorELNS0_4arch9wavefront6targetE1EEEvT1_
	.globl	_ZN7rocprim17ROCPRIM_400000_NS6detail17trampoline_kernelINS0_14default_configENS1_25partition_config_selectorILNS1_17partition_subalgoE8ElNS0_10empty_typeEbEEZZNS1_14partition_implILS5_8ELb0ES3_jPKlPS6_PKS6_NS0_5tupleIJPlS6_EEENSE_IJSB_SB_EEENS0_18inequality_wrapperIN6hipcub16HIPCUB_304000_NS8EqualityEEESF_JS6_EEE10hipError_tPvRmT3_T4_T5_T6_T7_T9_mT8_P12ihipStream_tbDpT10_ENKUlT_T0_E_clISt17integral_constantIbLb0EES15_IbLb1EEEEDaS11_S12_EUlS11_E_NS1_11comp_targetILNS1_3genE8ELNS1_11target_archE1030ELNS1_3gpuE2ELNS1_3repE0EEENS1_30default_config_static_selectorELNS0_4arch9wavefront6targetE1EEEvT1_
	.p2align	8
	.type	_ZN7rocprim17ROCPRIM_400000_NS6detail17trampoline_kernelINS0_14default_configENS1_25partition_config_selectorILNS1_17partition_subalgoE8ElNS0_10empty_typeEbEEZZNS1_14partition_implILS5_8ELb0ES3_jPKlPS6_PKS6_NS0_5tupleIJPlS6_EEENSE_IJSB_SB_EEENS0_18inequality_wrapperIN6hipcub16HIPCUB_304000_NS8EqualityEEESF_JS6_EEE10hipError_tPvRmT3_T4_T5_T6_T7_T9_mT8_P12ihipStream_tbDpT10_ENKUlT_T0_E_clISt17integral_constantIbLb0EES15_IbLb1EEEEDaS11_S12_EUlS11_E_NS1_11comp_targetILNS1_3genE8ELNS1_11target_archE1030ELNS1_3gpuE2ELNS1_3repE0EEENS1_30default_config_static_selectorELNS0_4arch9wavefront6targetE1EEEvT1_,@function
_ZN7rocprim17ROCPRIM_400000_NS6detail17trampoline_kernelINS0_14default_configENS1_25partition_config_selectorILNS1_17partition_subalgoE8ElNS0_10empty_typeEbEEZZNS1_14partition_implILS5_8ELb0ES3_jPKlPS6_PKS6_NS0_5tupleIJPlS6_EEENSE_IJSB_SB_EEENS0_18inequality_wrapperIN6hipcub16HIPCUB_304000_NS8EqualityEEESF_JS6_EEE10hipError_tPvRmT3_T4_T5_T6_T7_T9_mT8_P12ihipStream_tbDpT10_ENKUlT_T0_E_clISt17integral_constantIbLb0EES15_IbLb1EEEEDaS11_S12_EUlS11_E_NS1_11comp_targetILNS1_3genE8ELNS1_11target_archE1030ELNS1_3gpuE2ELNS1_3repE0EEENS1_30default_config_static_selectorELNS0_4arch9wavefront6targetE1EEEvT1_: ; @_ZN7rocprim17ROCPRIM_400000_NS6detail17trampoline_kernelINS0_14default_configENS1_25partition_config_selectorILNS1_17partition_subalgoE8ElNS0_10empty_typeEbEEZZNS1_14partition_implILS5_8ELb0ES3_jPKlPS6_PKS6_NS0_5tupleIJPlS6_EEENSE_IJSB_SB_EEENS0_18inequality_wrapperIN6hipcub16HIPCUB_304000_NS8EqualityEEESF_JS6_EEE10hipError_tPvRmT3_T4_T5_T6_T7_T9_mT8_P12ihipStream_tbDpT10_ENKUlT_T0_E_clISt17integral_constantIbLb0EES15_IbLb1EEEEDaS11_S12_EUlS11_E_NS1_11comp_targetILNS1_3genE8ELNS1_11target_archE1030ELNS1_3gpuE2ELNS1_3repE0EEENS1_30default_config_static_selectorELNS0_4arch9wavefront6targetE1EEEvT1_
; %bb.0:
	.section	.rodata,"a",@progbits
	.p2align	6, 0x0
	.amdhsa_kernel _ZN7rocprim17ROCPRIM_400000_NS6detail17trampoline_kernelINS0_14default_configENS1_25partition_config_selectorILNS1_17partition_subalgoE8ElNS0_10empty_typeEbEEZZNS1_14partition_implILS5_8ELb0ES3_jPKlPS6_PKS6_NS0_5tupleIJPlS6_EEENSE_IJSB_SB_EEENS0_18inequality_wrapperIN6hipcub16HIPCUB_304000_NS8EqualityEEESF_JS6_EEE10hipError_tPvRmT3_T4_T5_T6_T7_T9_mT8_P12ihipStream_tbDpT10_ENKUlT_T0_E_clISt17integral_constantIbLb0EES15_IbLb1EEEEDaS11_S12_EUlS11_E_NS1_11comp_targetILNS1_3genE8ELNS1_11target_archE1030ELNS1_3gpuE2ELNS1_3repE0EEENS1_30default_config_static_selectorELNS0_4arch9wavefront6targetE1EEEvT1_
		.amdhsa_group_segment_fixed_size 0
		.amdhsa_private_segment_fixed_size 0
		.amdhsa_kernarg_size 128
		.amdhsa_user_sgpr_count 2
		.amdhsa_user_sgpr_dispatch_ptr 0
		.amdhsa_user_sgpr_queue_ptr 0
		.amdhsa_user_sgpr_kernarg_segment_ptr 1
		.amdhsa_user_sgpr_dispatch_id 0
		.amdhsa_user_sgpr_kernarg_preload_length 0
		.amdhsa_user_sgpr_kernarg_preload_offset 0
		.amdhsa_user_sgpr_private_segment_size 0
		.amdhsa_uses_dynamic_stack 0
		.amdhsa_enable_private_segment 0
		.amdhsa_system_sgpr_workgroup_id_x 1
		.amdhsa_system_sgpr_workgroup_id_y 0
		.amdhsa_system_sgpr_workgroup_id_z 0
		.amdhsa_system_sgpr_workgroup_info 0
		.amdhsa_system_vgpr_workitem_id 0
		.amdhsa_next_free_vgpr 1
		.amdhsa_next_free_sgpr 0
		.amdhsa_accum_offset 4
		.amdhsa_reserve_vcc 0
		.amdhsa_float_round_mode_32 0
		.amdhsa_float_round_mode_16_64 0
		.amdhsa_float_denorm_mode_32 3
		.amdhsa_float_denorm_mode_16_64 3
		.amdhsa_dx10_clamp 1
		.amdhsa_ieee_mode 1
		.amdhsa_fp16_overflow 0
		.amdhsa_tg_split 0
		.amdhsa_exception_fp_ieee_invalid_op 0
		.amdhsa_exception_fp_denorm_src 0
		.amdhsa_exception_fp_ieee_div_zero 0
		.amdhsa_exception_fp_ieee_overflow 0
		.amdhsa_exception_fp_ieee_underflow 0
		.amdhsa_exception_fp_ieee_inexact 0
		.amdhsa_exception_int_div_zero 0
	.end_amdhsa_kernel
	.section	.text._ZN7rocprim17ROCPRIM_400000_NS6detail17trampoline_kernelINS0_14default_configENS1_25partition_config_selectorILNS1_17partition_subalgoE8ElNS0_10empty_typeEbEEZZNS1_14partition_implILS5_8ELb0ES3_jPKlPS6_PKS6_NS0_5tupleIJPlS6_EEENSE_IJSB_SB_EEENS0_18inequality_wrapperIN6hipcub16HIPCUB_304000_NS8EqualityEEESF_JS6_EEE10hipError_tPvRmT3_T4_T5_T6_T7_T9_mT8_P12ihipStream_tbDpT10_ENKUlT_T0_E_clISt17integral_constantIbLb0EES15_IbLb1EEEEDaS11_S12_EUlS11_E_NS1_11comp_targetILNS1_3genE8ELNS1_11target_archE1030ELNS1_3gpuE2ELNS1_3repE0EEENS1_30default_config_static_selectorELNS0_4arch9wavefront6targetE1EEEvT1_,"axG",@progbits,_ZN7rocprim17ROCPRIM_400000_NS6detail17trampoline_kernelINS0_14default_configENS1_25partition_config_selectorILNS1_17partition_subalgoE8ElNS0_10empty_typeEbEEZZNS1_14partition_implILS5_8ELb0ES3_jPKlPS6_PKS6_NS0_5tupleIJPlS6_EEENSE_IJSB_SB_EEENS0_18inequality_wrapperIN6hipcub16HIPCUB_304000_NS8EqualityEEESF_JS6_EEE10hipError_tPvRmT3_T4_T5_T6_T7_T9_mT8_P12ihipStream_tbDpT10_ENKUlT_T0_E_clISt17integral_constantIbLb0EES15_IbLb1EEEEDaS11_S12_EUlS11_E_NS1_11comp_targetILNS1_3genE8ELNS1_11target_archE1030ELNS1_3gpuE2ELNS1_3repE0EEENS1_30default_config_static_selectorELNS0_4arch9wavefront6targetE1EEEvT1_,comdat
.Lfunc_end257:
	.size	_ZN7rocprim17ROCPRIM_400000_NS6detail17trampoline_kernelINS0_14default_configENS1_25partition_config_selectorILNS1_17partition_subalgoE8ElNS0_10empty_typeEbEEZZNS1_14partition_implILS5_8ELb0ES3_jPKlPS6_PKS6_NS0_5tupleIJPlS6_EEENSE_IJSB_SB_EEENS0_18inequality_wrapperIN6hipcub16HIPCUB_304000_NS8EqualityEEESF_JS6_EEE10hipError_tPvRmT3_T4_T5_T6_T7_T9_mT8_P12ihipStream_tbDpT10_ENKUlT_T0_E_clISt17integral_constantIbLb0EES15_IbLb1EEEEDaS11_S12_EUlS11_E_NS1_11comp_targetILNS1_3genE8ELNS1_11target_archE1030ELNS1_3gpuE2ELNS1_3repE0EEENS1_30default_config_static_selectorELNS0_4arch9wavefront6targetE1EEEvT1_, .Lfunc_end257-_ZN7rocprim17ROCPRIM_400000_NS6detail17trampoline_kernelINS0_14default_configENS1_25partition_config_selectorILNS1_17partition_subalgoE8ElNS0_10empty_typeEbEEZZNS1_14partition_implILS5_8ELb0ES3_jPKlPS6_PKS6_NS0_5tupleIJPlS6_EEENSE_IJSB_SB_EEENS0_18inequality_wrapperIN6hipcub16HIPCUB_304000_NS8EqualityEEESF_JS6_EEE10hipError_tPvRmT3_T4_T5_T6_T7_T9_mT8_P12ihipStream_tbDpT10_ENKUlT_T0_E_clISt17integral_constantIbLb0EES15_IbLb1EEEEDaS11_S12_EUlS11_E_NS1_11comp_targetILNS1_3genE8ELNS1_11target_archE1030ELNS1_3gpuE2ELNS1_3repE0EEENS1_30default_config_static_selectorELNS0_4arch9wavefront6targetE1EEEvT1_
                                        ; -- End function
	.set _ZN7rocprim17ROCPRIM_400000_NS6detail17trampoline_kernelINS0_14default_configENS1_25partition_config_selectorILNS1_17partition_subalgoE8ElNS0_10empty_typeEbEEZZNS1_14partition_implILS5_8ELb0ES3_jPKlPS6_PKS6_NS0_5tupleIJPlS6_EEENSE_IJSB_SB_EEENS0_18inequality_wrapperIN6hipcub16HIPCUB_304000_NS8EqualityEEESF_JS6_EEE10hipError_tPvRmT3_T4_T5_T6_T7_T9_mT8_P12ihipStream_tbDpT10_ENKUlT_T0_E_clISt17integral_constantIbLb0EES15_IbLb1EEEEDaS11_S12_EUlS11_E_NS1_11comp_targetILNS1_3genE8ELNS1_11target_archE1030ELNS1_3gpuE2ELNS1_3repE0EEENS1_30default_config_static_selectorELNS0_4arch9wavefront6targetE1EEEvT1_.num_vgpr, 0
	.set _ZN7rocprim17ROCPRIM_400000_NS6detail17trampoline_kernelINS0_14default_configENS1_25partition_config_selectorILNS1_17partition_subalgoE8ElNS0_10empty_typeEbEEZZNS1_14partition_implILS5_8ELb0ES3_jPKlPS6_PKS6_NS0_5tupleIJPlS6_EEENSE_IJSB_SB_EEENS0_18inequality_wrapperIN6hipcub16HIPCUB_304000_NS8EqualityEEESF_JS6_EEE10hipError_tPvRmT3_T4_T5_T6_T7_T9_mT8_P12ihipStream_tbDpT10_ENKUlT_T0_E_clISt17integral_constantIbLb0EES15_IbLb1EEEEDaS11_S12_EUlS11_E_NS1_11comp_targetILNS1_3genE8ELNS1_11target_archE1030ELNS1_3gpuE2ELNS1_3repE0EEENS1_30default_config_static_selectorELNS0_4arch9wavefront6targetE1EEEvT1_.num_agpr, 0
	.set _ZN7rocprim17ROCPRIM_400000_NS6detail17trampoline_kernelINS0_14default_configENS1_25partition_config_selectorILNS1_17partition_subalgoE8ElNS0_10empty_typeEbEEZZNS1_14partition_implILS5_8ELb0ES3_jPKlPS6_PKS6_NS0_5tupleIJPlS6_EEENSE_IJSB_SB_EEENS0_18inequality_wrapperIN6hipcub16HIPCUB_304000_NS8EqualityEEESF_JS6_EEE10hipError_tPvRmT3_T4_T5_T6_T7_T9_mT8_P12ihipStream_tbDpT10_ENKUlT_T0_E_clISt17integral_constantIbLb0EES15_IbLb1EEEEDaS11_S12_EUlS11_E_NS1_11comp_targetILNS1_3genE8ELNS1_11target_archE1030ELNS1_3gpuE2ELNS1_3repE0EEENS1_30default_config_static_selectorELNS0_4arch9wavefront6targetE1EEEvT1_.numbered_sgpr, 0
	.set _ZN7rocprim17ROCPRIM_400000_NS6detail17trampoline_kernelINS0_14default_configENS1_25partition_config_selectorILNS1_17partition_subalgoE8ElNS0_10empty_typeEbEEZZNS1_14partition_implILS5_8ELb0ES3_jPKlPS6_PKS6_NS0_5tupleIJPlS6_EEENSE_IJSB_SB_EEENS0_18inequality_wrapperIN6hipcub16HIPCUB_304000_NS8EqualityEEESF_JS6_EEE10hipError_tPvRmT3_T4_T5_T6_T7_T9_mT8_P12ihipStream_tbDpT10_ENKUlT_T0_E_clISt17integral_constantIbLb0EES15_IbLb1EEEEDaS11_S12_EUlS11_E_NS1_11comp_targetILNS1_3genE8ELNS1_11target_archE1030ELNS1_3gpuE2ELNS1_3repE0EEENS1_30default_config_static_selectorELNS0_4arch9wavefront6targetE1EEEvT1_.num_named_barrier, 0
	.set _ZN7rocprim17ROCPRIM_400000_NS6detail17trampoline_kernelINS0_14default_configENS1_25partition_config_selectorILNS1_17partition_subalgoE8ElNS0_10empty_typeEbEEZZNS1_14partition_implILS5_8ELb0ES3_jPKlPS6_PKS6_NS0_5tupleIJPlS6_EEENSE_IJSB_SB_EEENS0_18inequality_wrapperIN6hipcub16HIPCUB_304000_NS8EqualityEEESF_JS6_EEE10hipError_tPvRmT3_T4_T5_T6_T7_T9_mT8_P12ihipStream_tbDpT10_ENKUlT_T0_E_clISt17integral_constantIbLb0EES15_IbLb1EEEEDaS11_S12_EUlS11_E_NS1_11comp_targetILNS1_3genE8ELNS1_11target_archE1030ELNS1_3gpuE2ELNS1_3repE0EEENS1_30default_config_static_selectorELNS0_4arch9wavefront6targetE1EEEvT1_.private_seg_size, 0
	.set _ZN7rocprim17ROCPRIM_400000_NS6detail17trampoline_kernelINS0_14default_configENS1_25partition_config_selectorILNS1_17partition_subalgoE8ElNS0_10empty_typeEbEEZZNS1_14partition_implILS5_8ELb0ES3_jPKlPS6_PKS6_NS0_5tupleIJPlS6_EEENSE_IJSB_SB_EEENS0_18inequality_wrapperIN6hipcub16HIPCUB_304000_NS8EqualityEEESF_JS6_EEE10hipError_tPvRmT3_T4_T5_T6_T7_T9_mT8_P12ihipStream_tbDpT10_ENKUlT_T0_E_clISt17integral_constantIbLb0EES15_IbLb1EEEEDaS11_S12_EUlS11_E_NS1_11comp_targetILNS1_3genE8ELNS1_11target_archE1030ELNS1_3gpuE2ELNS1_3repE0EEENS1_30default_config_static_selectorELNS0_4arch9wavefront6targetE1EEEvT1_.uses_vcc, 0
	.set _ZN7rocprim17ROCPRIM_400000_NS6detail17trampoline_kernelINS0_14default_configENS1_25partition_config_selectorILNS1_17partition_subalgoE8ElNS0_10empty_typeEbEEZZNS1_14partition_implILS5_8ELb0ES3_jPKlPS6_PKS6_NS0_5tupleIJPlS6_EEENSE_IJSB_SB_EEENS0_18inequality_wrapperIN6hipcub16HIPCUB_304000_NS8EqualityEEESF_JS6_EEE10hipError_tPvRmT3_T4_T5_T6_T7_T9_mT8_P12ihipStream_tbDpT10_ENKUlT_T0_E_clISt17integral_constantIbLb0EES15_IbLb1EEEEDaS11_S12_EUlS11_E_NS1_11comp_targetILNS1_3genE8ELNS1_11target_archE1030ELNS1_3gpuE2ELNS1_3repE0EEENS1_30default_config_static_selectorELNS0_4arch9wavefront6targetE1EEEvT1_.uses_flat_scratch, 0
	.set _ZN7rocprim17ROCPRIM_400000_NS6detail17trampoline_kernelINS0_14default_configENS1_25partition_config_selectorILNS1_17partition_subalgoE8ElNS0_10empty_typeEbEEZZNS1_14partition_implILS5_8ELb0ES3_jPKlPS6_PKS6_NS0_5tupleIJPlS6_EEENSE_IJSB_SB_EEENS0_18inequality_wrapperIN6hipcub16HIPCUB_304000_NS8EqualityEEESF_JS6_EEE10hipError_tPvRmT3_T4_T5_T6_T7_T9_mT8_P12ihipStream_tbDpT10_ENKUlT_T0_E_clISt17integral_constantIbLb0EES15_IbLb1EEEEDaS11_S12_EUlS11_E_NS1_11comp_targetILNS1_3genE8ELNS1_11target_archE1030ELNS1_3gpuE2ELNS1_3repE0EEENS1_30default_config_static_selectorELNS0_4arch9wavefront6targetE1EEEvT1_.has_dyn_sized_stack, 0
	.set _ZN7rocprim17ROCPRIM_400000_NS6detail17trampoline_kernelINS0_14default_configENS1_25partition_config_selectorILNS1_17partition_subalgoE8ElNS0_10empty_typeEbEEZZNS1_14partition_implILS5_8ELb0ES3_jPKlPS6_PKS6_NS0_5tupleIJPlS6_EEENSE_IJSB_SB_EEENS0_18inequality_wrapperIN6hipcub16HIPCUB_304000_NS8EqualityEEESF_JS6_EEE10hipError_tPvRmT3_T4_T5_T6_T7_T9_mT8_P12ihipStream_tbDpT10_ENKUlT_T0_E_clISt17integral_constantIbLb0EES15_IbLb1EEEEDaS11_S12_EUlS11_E_NS1_11comp_targetILNS1_3genE8ELNS1_11target_archE1030ELNS1_3gpuE2ELNS1_3repE0EEENS1_30default_config_static_selectorELNS0_4arch9wavefront6targetE1EEEvT1_.has_recursion, 0
	.set _ZN7rocprim17ROCPRIM_400000_NS6detail17trampoline_kernelINS0_14default_configENS1_25partition_config_selectorILNS1_17partition_subalgoE8ElNS0_10empty_typeEbEEZZNS1_14partition_implILS5_8ELb0ES3_jPKlPS6_PKS6_NS0_5tupleIJPlS6_EEENSE_IJSB_SB_EEENS0_18inequality_wrapperIN6hipcub16HIPCUB_304000_NS8EqualityEEESF_JS6_EEE10hipError_tPvRmT3_T4_T5_T6_T7_T9_mT8_P12ihipStream_tbDpT10_ENKUlT_T0_E_clISt17integral_constantIbLb0EES15_IbLb1EEEEDaS11_S12_EUlS11_E_NS1_11comp_targetILNS1_3genE8ELNS1_11target_archE1030ELNS1_3gpuE2ELNS1_3repE0EEENS1_30default_config_static_selectorELNS0_4arch9wavefront6targetE1EEEvT1_.has_indirect_call, 0
	.section	.AMDGPU.csdata,"",@progbits
; Kernel info:
; codeLenInByte = 0
; TotalNumSgprs: 6
; NumVgprs: 0
; NumAgprs: 0
; TotalNumVgprs: 0
; ScratchSize: 0
; MemoryBound: 0
; FloatMode: 240
; IeeeMode: 1
; LDSByteSize: 0 bytes/workgroup (compile time only)
; SGPRBlocks: 0
; VGPRBlocks: 0
; NumSGPRsForWavesPerEU: 6
; NumVGPRsForWavesPerEU: 1
; AccumOffset: 4
; Occupancy: 8
; WaveLimiterHint : 0
; COMPUTE_PGM_RSRC2:SCRATCH_EN: 0
; COMPUTE_PGM_RSRC2:USER_SGPR: 2
; COMPUTE_PGM_RSRC2:TRAP_HANDLER: 0
; COMPUTE_PGM_RSRC2:TGID_X_EN: 1
; COMPUTE_PGM_RSRC2:TGID_Y_EN: 0
; COMPUTE_PGM_RSRC2:TGID_Z_EN: 0
; COMPUTE_PGM_RSRC2:TIDIG_COMP_CNT: 0
; COMPUTE_PGM_RSRC3_GFX90A:ACCUM_OFFSET: 0
; COMPUTE_PGM_RSRC3_GFX90A:TG_SPLIT: 0
	.section	.text._ZN2at6native12_GLOBAL__N_113renorm_kernelIddKlEEvPT_PT1_T0_S8_llllPS3_,"axG",@progbits,_ZN2at6native12_GLOBAL__N_113renorm_kernelIddKlEEvPT_PT1_T0_S8_llllPS3_,comdat
	.globl	_ZN2at6native12_GLOBAL__N_113renorm_kernelIddKlEEvPT_PT1_T0_S8_llllPS3_ ; -- Begin function _ZN2at6native12_GLOBAL__N_113renorm_kernelIddKlEEvPT_PT1_T0_S8_llllPS3_
	.p2align	8
	.type	_ZN2at6native12_GLOBAL__N_113renorm_kernelIddKlEEvPT_PT1_T0_S8_llllPS3_,@function
_ZN2at6native12_GLOBAL__N_113renorm_kernelIddKlEEvPT_PT1_T0_S8_llllPS3_: ; @_ZN2at6native12_GLOBAL__N_113renorm_kernelIddKlEEvPT_PT1_T0_S8_llllPS3_
; %bb.0:
	s_load_dwordx2 s[4:5], s[0:1], 0x40
	s_mov_b32 s3, 0
	v_mov_b64_e32 v[2:3], s[2:3]
	s_waitcnt lgkmcnt(0)
	s_load_dwordx2 s[4:5], s[4:5], 0x0
	s_waitcnt lgkmcnt(0)
	v_cmp_le_i64_e32 vcc, s[4:5], v[2:3]
	s_cbranch_vccnz .LBB258_26
; %bb.1:
	s_load_dwordx16 s[12:27], s[0:1], 0x0
	s_lshl_b64 s[2:3], s[2:3], 3
	s_waitcnt lgkmcnt(0)
	s_add_u32 s2, s14, s2
	s_addc_u32 s3, s15, s3
	s_load_dwordx2 s[2:3], s[2:3], 0x0
	s_waitcnt lgkmcnt(0)
	v_cmp_lt_i64_e64 s[4:5], s[2:3], 0
	s_and_b64 vcc, exec, s[4:5]
	s_cbranch_vccnz .LBB258_29
; %bb.2:
	s_getpc_b64 s[4:5]
	s_add_u32 s4, s4, .str.4@rel32@lo+4
	s_addc_u32 s5, s5, .str.4@rel32@hi+12
	v_mov_b32_e32 v2, s22
	v_mov_b32_e32 v3, s23
	s_cmp_eq_u64 s[4:5], 0
	v_cmp_ge_i64_e32 vcc, s[2:3], v[2:3]
	s_cselect_b64 s[4:5], -1, 0
	s_or_b64 s[10:11], vcc, s[4:5]
	s_andn2_b64 vcc, exec, s[10:11]
	s_cbranch_vccz .LBB258_25
; %bb.3:
	s_mul_i32 s4, s2, s25
	s_mul_hi_u32 s5, s2, s24
	s_add_i32 s4, s5, s4
	s_mul_i32 s3, s3, s24
	v_mov_b32_e32 v1, 0
	s_add_i32 s15, s4, s3
	s_mul_i32 s14, s2, s24
	v_cmp_gt_i64_e64 s[2:3], s[20:21], v[0:1]
	v_mov_b64_e32 v[2:3], 0
	s_and_saveexec_b64 s[22:23], s[2:3]
	s_cbranch_execz .LBB258_13
; %bb.4:
	s_load_dword s6, s[0:1], 0x54
	s_lshl_b64 s[4:5], s[14:15], 3
	s_add_u32 s24, s12, s4
	s_addc_u32 s25, s13, s5
	s_mov_b32 s36, 0x55555555
	s_waitcnt lgkmcnt(0)
	s_and_b32 s33, s6, 0xffff
	s_mov_b32 s38, 0x4222de17
	s_mov_b32 s40, 0xfefa39ef
	;; [unrolled: 1-line block ×9, first 2 shown]
	v_cmp_neq_f64_e64 s[28:29], s[18:19], 1.0
	v_cmp_neq_f64_e64 s[30:31], s[18:19], 2.0
	v_add_u32_e32 v4, s33, v0
	v_mov_b64_e32 v[2:3], 0
	s_mov_b64 s[34:35], 0
	s_brev_b32 s62, -2
	s_mov_b32 s37, 0x3fe55555
	s_mov_b32 s39, 0x3fbdee67
	;; [unrolled: 1-line block ×6, first 2 shown]
	s_movk_i32 s63, 0x204
	s_mov_b32 s49, 0x7ff00000
	s_mov_b32 s51, 0x3ff71547
	;; [unrolled: 1-line block ×7, first 2 shown]
	v_mov_b32_e32 v46, 0x3ff00000
	v_mov_b32_e32 v6, 0x968915a9
	;; [unrolled: 1-line block ×37, first 2 shown]
	v_mov_b64_e32 v[40:41], v[0:1]
	s_branch .LBB258_7
.LBB258_5:                              ;   in Loop: Header=BB258_7 Depth=1
	s_waitcnt vmcnt(0)
	v_and_b32_e32 v41, 0x7fffffff, v41
	v_mov_b64_e32 v[42:43], v[40:41]
.LBB258_6:                              ;   in Loop: Header=BB258_7 Depth=1
	v_ashrrev_i32_e32 v5, 31, v4
	v_cmp_le_i64_e32 vcc, s[20:21], v[4:5]
	v_add_f64 v[2:3], v[2:3], v[42:43]
	s_waitcnt vmcnt(0)
	v_mov_b64_e32 v[40:41], v[4:5]
	s_or_b64 s[34:35], vcc, s[34:35]
	v_add_u32_e32 v4, s33, v4
	s_andn2_b64 exec, exec, s[34:35]
	s_cbranch_execz .LBB258_12
.LBB258_7:                              ; =>This Inner Loop Header: Depth=1
	v_mul_lo_u32 v5, v41, s26
	v_mul_lo_u32 v42, v40, s27
	v_mad_u64_u32 v[40:41], s[4:5], v40, s26, 0
	v_add3_u32 v41, v41, v42, v5
	v_lshl_add_u64 v[40:41], v[40:41], 3, s[24:25]
	global_load_dwordx2 v[40:41], v[40:41], off
	s_and_b64 vcc, exec, s[28:29]
	s_cbranch_vccz .LBB258_5
; %bb.8:                                ;   in Loop: Header=BB258_7 Depth=1
	s_and_b64 vcc, exec, s[30:31]
	s_cbranch_vccz .LBB258_10
; %bb.9:                                ;   in Loop: Header=BB258_7 Depth=1
	v_mov_b32_e32 v5, s19
	s_waitcnt vmcnt(0)
	v_cmp_neq_f64_e32 vcc, 1.0, v[40:41]
	s_mov_b32 s44, s36
	s_mov_b32 s52, s40
	v_cndmask_b32_e32 v43, v46, v5, vcc
	v_mov_b32_e32 v5, s18
	v_cndmask_b32_e32 v42, 0, v5, vcc
	v_cmp_neq_f64_e32 vcc, 0, v[42:43]
	s_mov_b32 s54, s42
	v_cmp_neq_f64_e64 s[6:7], v[42:43], |v[42:43]|
	v_cndmask_b32_e32 v45, v46, v41, vcc
	v_cndmask_b32_e32 v44, 0, v40, vcc
	v_frexp_mant_f64_e64 v[50:51], |v[44:45]|
	v_cmp_gt_f64_e32 vcc, s[36:37], v[50:51]
	v_cmp_lt_f64_e64 s[8:9], |v[44:45]|, 1.0
	s_xor_b64 s[6:7], s[6:7], s[8:9]
	v_cndmask_b32_e64 v5, 0, 1, vcc
	v_ldexp_f64 v[50:51], v[50:51], v5
	v_add_f64 v[52:53], v[50:51], 1.0
	v_rcp_f64_e32 v[54:55], v[52:53]
	v_add_f64 v[58:59], v[52:53], -1.0
	v_add_f64 v[56:57], v[50:51], -1.0
	v_add_f64 v[50:51], v[50:51], -v[58:59]
	v_fma_f64 v[58:59], -v[52:53], v[54:55], 1.0
	v_fmac_f64_e32 v[54:55], v[58:59], v[54:55]
	v_fma_f64 v[58:59], -v[52:53], v[54:55], 1.0
	v_fmac_f64_e32 v[54:55], v[58:59], v[54:55]
	v_mul_f64 v[58:59], v[56:57], v[54:55]
	v_mul_f64 v[60:61], v[52:53], v[58:59]
	v_fma_f64 v[52:53], v[58:59], v[52:53], -v[60:61]
	v_fmac_f64_e32 v[52:53], v[58:59], v[50:51]
	v_add_f64 v[50:51], v[60:61], v[52:53]
	v_add_f64 v[62:63], v[56:57], -v[50:51]
	v_add_f64 v[60:61], v[50:51], -v[60:61]
	v_add_f64 v[56:57], v[56:57], -v[62:63]
	v_add_f64 v[50:51], v[56:57], -v[50:51]
	v_add_f64 v[52:53], v[60:61], -v[52:53]
	v_add_f64 v[50:51], v[52:53], v[50:51]
	v_add_f64 v[50:51], v[62:63], v[50:51]
	v_mul_f64 v[50:51], v[54:55], v[50:51]
	v_add_f64 v[52:53], v[58:59], v[50:51]
	v_add_f64 v[54:55], v[52:53], -v[58:59]
	v_add_f64 v[50:51], v[50:51], -v[54:55]
	v_mul_f64 v[54:55], v[52:53], v[52:53]
	v_fma_f64 v[56:57], v[52:53], v[52:53], -v[54:55]
	v_add_f64 v[58:59], v[50:51], v[50:51]
	v_fmac_f64_e32 v[56:57], v[52:53], v[58:59]
	v_add_f64 v[58:59], v[54:55], v[56:57]
	v_add_f64 v[54:55], v[58:59], -v[54:55]
	v_add_f64 v[54:55], v[56:57], -v[54:55]
	v_mov_b64_e32 v[56:57], v[6:7]
	v_fmac_f64_e32 v[56:57], s[38:39], v[58:59]
	v_mov_b64_e32 v[60:61], v[8:9]
	v_fmac_f64_e32 v[60:61], v[58:59], v[56:57]
	;; [unrolled: 2-line block ×8, first 2 shown]
	v_mul_f64 v[56:57], v[52:53], v[58:59]
	v_fma_f64 v[62:63], v[58:59], v[52:53], -v[56:57]
	v_mul_f64 v[64:65], v[58:59], v[60:61]
	v_fmac_f64_e32 v[62:63], v[58:59], v[50:51]
	v_fma_f64 v[58:59], v[58:59], v[60:61], -v[64:65]
	v_fmac_f64_e32 v[58:59], v[54:55], v[60:61]
	v_fmac_f64_e32 v[62:63], v[54:55], v[52:53]
	v_add_f64 v[54:55], v[64:65], v[58:59]
	v_add_f64 v[60:61], v[54:55], -v[64:65]
	v_add_f64 v[58:59], v[58:59], -v[60:61]
	v_add_f64 v[60:61], v[54:55], s[36:37]
	v_add_f64 v[64:65], v[60:61], s[44:45]
	v_add_f64 v[54:55], v[54:55], -v[64:65]
	v_add_f64 v[58:59], v[58:59], s[46:47]
	v_add_f64 v[54:55], v[58:59], v[54:55]
	;; [unrolled: 1-line block ×3, first 2 shown]
	v_add_f64 v[60:61], v[60:61], -v[58:59]
	v_add_f64 v[54:55], v[54:55], v[60:61]
	v_add_f64 v[60:61], v[56:57], v[62:63]
	v_mul_f64 v[64:65], v[60:61], v[58:59]
	v_fma_f64 v[66:67], v[60:61], v[58:59], -v[64:65]
	v_fmac_f64_e32 v[66:67], v[60:61], v[54:55]
	v_add_f64 v[54:55], v[60:61], -v[56:57]
	v_frexp_exp_i32_f64_e32 v5, v[44:45]
	v_add_f64 v[54:55], v[62:63], -v[54:55]
	v_subbrev_co_u32_e32 v5, vcc, 0, v5, vcc
	v_fmac_f64_e32 v[66:67], v[54:55], v[58:59]
	v_cvt_f64_i32_e32 v[54:55], v5
	v_mul_f64 v[56:57], v[54:55], s[40:41]
	v_fma_f64 v[58:59], v[54:55], s[40:41], -v[56:57]
	v_fmac_f64_e32 v[58:59], s[42:43], v[54:55]
	v_add_f64 v[54:55], v[56:57], v[58:59]
	v_add_f64 v[56:57], v[54:55], -v[56:57]
	v_add_f64 v[56:57], v[58:59], -v[56:57]
	v_add_f64 v[58:59], v[64:65], v[66:67]
	v_ldexp_f64 v[52:53], v[52:53], 1
	v_add_f64 v[60:61], v[58:59], -v[64:65]
	v_add_f64 v[62:63], v[52:53], v[58:59]
	v_add_f64 v[60:61], v[66:67], -v[60:61]
	v_add_f64 v[52:53], v[62:63], -v[52:53]
	v_ldexp_f64 v[50:51], v[50:51], 1
	v_add_f64 v[52:53], v[58:59], -v[52:53]
	v_add_f64 v[50:51], v[50:51], v[60:61]
	v_add_f64 v[50:51], v[50:51], v[52:53]
	;; [unrolled: 1-line block ×3, first 2 shown]
	v_add_f64 v[58:59], v[52:53], -v[62:63]
	v_add_f64 v[50:51], v[50:51], -v[58:59]
	v_add_f64 v[58:59], v[54:55], v[52:53]
	v_add_f64 v[60:61], v[58:59], -v[54:55]
	v_add_f64 v[62:63], v[58:59], -v[60:61]
	;; [unrolled: 1-line block ×4, first 2 shown]
	v_add_f64 v[52:53], v[52:53], v[54:55]
	v_add_f64 v[54:55], v[56:57], v[50:51]
	v_add_f64 v[60:61], v[54:55], -v[56:57]
	v_add_f64 v[62:63], v[54:55], -v[60:61]
	v_add_f64 v[52:53], v[54:55], v[52:53]
	v_add_f64 v[56:57], v[56:57], -v[62:63]
	v_add_f64 v[50:51], v[50:51], -v[60:61]
	v_add_f64 v[54:55], v[58:59], v[52:53]
	v_add_f64 v[50:51], v[50:51], v[56:57]
	v_add_f64 v[56:57], v[54:55], -v[58:59]
	v_add_f64 v[52:53], v[52:53], -v[56:57]
	v_add_f64 v[50:51], v[50:51], v[52:53]
	v_add_f64 v[52:53], v[54:55], v[50:51]
	v_add_f64 v[54:55], v[52:53], -v[54:55]
	v_add_f64 v[50:51], v[50:51], -v[54:55]
	v_mul_f64 v[54:55], v[42:43], v[52:53]
	v_fma_f64 v[52:53], v[42:43], v[52:53], -v[54:55]
	v_fmac_f64_e32 v[52:53], v[42:43], v[50:51]
	v_add_f64 v[50:51], v[54:55], v[52:53]
	v_cmp_class_f64_e64 vcc, v[54:55], s63
	v_add_f64 v[56:57], v[50:51], -v[54:55]
	v_add_f64 v[52:53], v[52:53], -v[56:57]
	v_cndmask_b32_e32 v51, v51, v55, vcc
	v_cndmask_b32_e32 v50, v50, v54, vcc
	v_mul_f64 v[54:55], v[50:51], s[50:51]
	v_rndne_f64_e32 v[54:55], v[54:55]
	v_fma_f64 v[56:57], s[52:53], v[54:55], v[50:51]
	v_fmac_f64_e32 v[56:57], s[54:55], v[54:55]
	v_mov_b64_e32 v[58:59], v[22:23]
	v_fmac_f64_e32 v[58:59], s[56:57], v[56:57]
	v_mov_b64_e32 v[60:61], v[24:25]
	;; [unrolled: 2-line block ×9, first 2 shown]
	v_fmac_f64_e32 v[58:59], v[56:57], v[60:61]
	v_fma_f64 v[58:59], v[56:57], v[58:59], 1.0
	v_cmp_neq_f64_e64 vcc, |v[50:51]|, s[48:49]
	v_fma_f64 v[56:57], v[56:57], v[58:59], 1.0
	v_cvt_i32_f64_e32 v5, v[54:55]
	v_cndmask_b32_e32 v53, 0, v53, vcc
	v_cndmask_b32_e32 v52, 0, v52, vcc
	v_ldexp_f64 v[54:55], v[56:57], v5
	v_cmp_nlt_f64_e32 vcc, s[58:59], v[50:51]
	v_cmp_ngt_f64_e64 s[4:5], s[60:61], v[50:51]
	v_cmp_gt_f64_e64 s[8:9], 0, v[42:43]
	v_cndmask_b32_e32 v5, v47, v55, vcc
	s_and_b64 vcc, s[4:5], vcc
	v_cndmask_b32_e64 v51, 0, v5, s[4:5]
	v_cndmask_b32_e32 v50, 0, v54, vcc
	v_mov_b64_e32 v[54:55], v[50:51]
	v_fmac_f64_e32 v[54:55], v[54:55], v[52:53]
	v_cmp_class_f64_e64 vcc, v[50:51], s63
	v_cmp_class_f64_e64 s[64:65], v[44:45], s63
	s_nop 0
	v_cndmask_b32_e32 v5, v54, v50, vcc
	v_cndmask_b32_e32 v49, v55, v51, vcc
	v_trunc_f64_e32 v[50:51], v[42:43]
	v_cmp_eq_f64_e32 vcc, v[50:51], v[42:43]
	v_mul_f64 v[50:51], v[42:43], 0.5
	v_trunc_f64_e32 v[52:53], v[50:51]
	v_cmp_neq_f64_e64 s[4:5], v[52:53], v[50:51]
	s_and_b64 s[4:5], vcc, s[4:5]
	v_cndmask_b32_e32 v51, 0, v5, vcc
	v_cndmask_b32_e64 v50, v46, v45, s[4:5]
	v_bfi_b32 v49, s62, v49, v50
	v_cndmask_b32_e32 v50, v48, v49, vcc
	v_cmp_gt_f64_e32 vcc, 0, v[44:45]
	s_nop 1
	v_cndmask_b32_e32 v5, v5, v51, vcc
	v_cndmask_b32_e32 v49, v49, v50, vcc
	v_cndmask_b32_e64 v50, v47, 0, s[6:7]
	v_cmp_neq_f64_e64 vcc, |v[44:45]|, 1.0
	v_cmp_eq_f64_e64 s[6:7], 0, v[44:45]
	s_xor_b64 s[8:9], s[8:9], s[6:7]
	v_cndmask_b32_e32 v50, v46, v50, vcc
	v_cmp_class_f64_e64 vcc, v[42:43], s63
	v_cndmask_b32_e64 v51, 0, v45, s[4:5]
	s_or_b64 s[4:5], s[6:7], s[64:65]
	v_cndmask_b32_e32 v49, v49, v50, vcc
	v_cndmask_b32_e64 v50, v47, 0, s[8:9]
	v_bfi_b32 v50, s62, v50, v51
	v_cndmask_b32_e64 v49, v49, v50, s[4:5]
	s_or_b64 s[4:5], s[4:5], vcc
	v_cndmask_b32_e64 v5, v5, 0, s[4:5]
	v_cmp_o_f64_e32 vcc, v[44:45], v[42:43]
	s_nop 1
	v_cndmask_b32_e32 v42, 0, v5, vcc
	v_cndmask_b32_e32 v43, v48, v49, vcc
	s_cbranch_execnz .LBB258_6
	s_branch .LBB258_11
.LBB258_10:                             ;   in Loop: Header=BB258_7 Depth=1
                                        ; implicit-def: $vgpr42_vgpr43
.LBB258_11:                             ;   in Loop: Header=BB258_7 Depth=1
	s_waitcnt vmcnt(0)
	v_mul_f64 v[42:43], v[40:41], v[40:41]
	s_branch .LBB258_6
.LBB258_12:
	s_or_b64 exec, exec, s[34:35]
.LBB258_13:
	s_or_b64 exec, exec, s[22:23]
; %bb.14:
	v_mbcnt_lo_u32_b32 v4, -1, 0
	v_mbcnt_hi_u32_b32 v11, -1, v4
	v_mov_b32_e32 v4, 0x80
	v_lshl_or_b32 v6, v11, 2, v4
	ds_bpermute_b32 v4, v6, v2
	ds_bpermute_b32 v5, v6, v3
	v_and_b32_e32 v13, 63, v11
	v_cmp_gt_u32_e32 vcc, 48, v13
	v_and_b32_e32 v12, 63, v0
	s_waitcnt lgkmcnt(0)
	v_add_f64 v[2:3], v[2:3], v[4:5]
	v_cndmask_b32_e64 v4, 0, 16, vcc
	v_add_lshl_u32 v7, v4, v11, 2
	ds_bpermute_b32 v4, v7, v2
	ds_bpermute_b32 v5, v7, v3
	v_cmp_gt_u32_e32 vcc, 56, v13
	s_barrier
	s_waitcnt lgkmcnt(0)
	v_add_f64 v[2:3], v[2:3], v[4:5]
	v_cndmask_b32_e64 v4, 0, 8, vcc
	v_add_lshl_u32 v8, v4, v11, 2
	ds_bpermute_b32 v4, v8, v2
	ds_bpermute_b32 v5, v8, v3
	v_cmp_gt_u32_e32 vcc, 60, v13
	s_waitcnt lgkmcnt(0)
	v_add_f64 v[2:3], v[2:3], v[4:5]
	v_cndmask_b32_e64 v4, 0, 4, vcc
	v_add_lshl_u32 v9, v4, v11, 2
	ds_bpermute_b32 v4, v9, v2
	ds_bpermute_b32 v5, v9, v3
	v_cmp_gt_u32_e32 vcc, 62, v13
	s_waitcnt lgkmcnt(0)
	v_add_f64 v[2:3], v[2:3], v[4:5]
	v_cndmask_b32_e64 v4, 0, 2, vcc
	v_add_lshl_u32 v10, v4, v11, 2
	ds_bpermute_b32 v4, v10, v2
	ds_bpermute_b32 v5, v10, v3
	v_cmp_ne_u32_e32 vcc, 63, v13
	s_waitcnt lgkmcnt(0)
	v_add_f64 v[2:3], v[2:3], v[4:5]
	v_addc_co_u32_e32 v4, vcc, 0, v11, vcc
	v_lshlrev_b32_e32 v11, 2, v4
	ds_bpermute_b32 v4, v11, v2
	ds_bpermute_b32 v5, v11, v3
	v_cmp_eq_u32_e32 vcc, 0, v12
	s_and_saveexec_b64 s[4:5], vcc
	s_cbranch_execz .LBB258_16
; %bb.15:
	v_lshrrev_b32_e32 v13, 3, v0
	v_add_u32_e32 v13, 0, v13
	s_waitcnt lgkmcnt(0)
	v_add_f64 v[2:3], v[2:3], v[4:5]
	ds_write_b64 v13, v[2:3]
.LBB258_16:
	s_or_b64 exec, exec, s[4:5]
	s_waitcnt lgkmcnt(0)
	s_barrier
	s_load_dword s22, s[0:1], 0x54
	v_mov_b64_e32 v[4:5], 0
	s_waitcnt lgkmcnt(0)
	s_bfe_u32 s0, s22, 0xa0006
	v_cmp_gt_u32_e32 vcc, s0, v0
	s_and_saveexec_b64 s[0:1], vcc
	s_cbranch_execnz .LBB258_27
; %bb.17:
	s_or_b64 exec, exec, s[0:1]
	v_cmp_gt_u32_e32 vcc, 64, v0
	s_and_saveexec_b64 s[0:1], vcc
	s_cbranch_execnz .LBB258_28
.LBB258_18:
	s_or_b64 exec, exec, s[0:1]
	v_cmp_eq_u32_e32 vcc, 0, v0
	s_and_saveexec_b64 s[8:9], vcc
	s_cbranch_execz .LBB258_20
.LBB258_19:
	v_div_scale_f64 v[2:3], s[0:1], s[18:19], s[18:19], 1.0
	v_rcp_f64_e32 v[6:7], v[2:3]
	v_div_scale_f64 v[8:9], vcc, 1.0, s[18:19], 1.0
	s_mov_b32 s1, 0x3fe55555
	v_fma_f64 v[10:11], -v[2:3], v[6:7], 1.0
	v_fmac_f64_e32 v[6:7], v[6:7], v[10:11]
	v_fma_f64 v[10:11], -v[2:3], v[6:7], 1.0
	v_fmac_f64_e32 v[6:7], v[6:7], v[10:11]
	v_mul_f64 v[10:11], v[8:9], v[6:7]
	v_fma_f64 v[2:3], -v[2:3], v[10:11], v[8:9]
	v_div_fmas_f64 v[2:3], v[2:3], v[6:7], v[10:11]
	v_div_fixup_f64 v[2:3], v[2:3], s[18:19], 1.0
	v_mov_b32_e32 v6, 0x3ff00000
	s_waitcnt lgkmcnt(0)
	v_cmp_neq_f64_e32 vcc, 1.0, v[4:5]
	s_mov_b32 s0, 0x55555555
	s_mov_b32 s4, 0x4222de17
	v_cndmask_b32_e32 v3, v6, v3, vcc
	v_cndmask_b32_e32 v2, 0, v2, vcc
	v_cmp_neq_f64_e32 vcc, 0, v[2:3]
	s_mov_b32 s5, 0x3fbdee67
	s_mov_b32 s7, 0x3c7abc9e
	v_cndmask_b32_e32 v5, v6, v5, vcc
	v_cndmask_b32_e32 v4, 0, v4, vcc
	v_frexp_mant_f64_e64 v[8:9], |v[4:5]|
	v_cmp_gt_f64_e32 vcc, s[0:1], v[8:9]
	v_frexp_exp_i32_f64_e32 v7, v[4:5]
	s_mov_b32 s6, 0x3b39803f
	v_cndmask_b32_e64 v10, 0, 1, vcc
	v_ldexp_f64 v[8:9], v[8:9], v10
	v_add_f64 v[10:11], v[8:9], 1.0
	v_rcp_f64_e32 v[12:13], v[10:11]
	v_add_f64 v[16:17], v[10:11], -1.0
	v_add_f64 v[14:15], v[8:9], -1.0
	v_add_f64 v[8:9], v[8:9], -v[16:17]
	v_fma_f64 v[16:17], -v[10:11], v[12:13], 1.0
	v_fmac_f64_e32 v[12:13], v[16:17], v[12:13]
	v_fma_f64 v[16:17], -v[10:11], v[12:13], 1.0
	v_fmac_f64_e32 v[12:13], v[16:17], v[12:13]
	v_mul_f64 v[16:17], v[14:15], v[12:13]
	v_mul_f64 v[18:19], v[10:11], v[16:17]
	v_fma_f64 v[10:11], v[16:17], v[10:11], -v[18:19]
	v_fmac_f64_e32 v[10:11], v[16:17], v[8:9]
	v_add_f64 v[8:9], v[18:19], v[10:11]
	v_add_f64 v[20:21], v[14:15], -v[8:9]
	v_add_f64 v[18:19], v[8:9], -v[18:19]
	;; [unrolled: 1-line block ×5, first 2 shown]
	v_add_f64 v[8:9], v[10:11], v[8:9]
	v_add_f64 v[8:9], v[20:21], v[8:9]
	v_mul_f64 v[8:9], v[12:13], v[8:9]
	v_add_f64 v[10:11], v[16:17], v[8:9]
	v_add_f64 v[12:13], v[10:11], -v[16:17]
	v_add_f64 v[8:9], v[8:9], -v[12:13]
	v_mul_f64 v[12:13], v[10:11], v[10:11]
	v_fma_f64 v[14:15], v[10:11], v[10:11], -v[12:13]
	v_add_f64 v[16:17], v[8:9], v[8:9]
	v_fmac_f64_e32 v[14:15], v[10:11], v[16:17]
	v_add_f64 v[16:17], v[12:13], v[14:15]
	v_add_f64 v[12:13], v[16:17], -v[12:13]
	v_add_f64 v[12:13], v[14:15], -v[12:13]
	v_mov_b32_e32 v14, 0x968915a9
	v_mov_b32_e32 v15, 0x3fba6564
	v_fmac_f64_e32 v[14:15], s[4:5], v[16:17]
	v_mov_b32_e32 v18, 0x3abe935a
	v_mov_b32_e32 v19, 0x3fbe25e4
	v_fmac_f64_e32 v[18:19], v[16:17], v[14:15]
	;; [unrolled: 3-line block ×6, first 2 shown]
	v_mov_b32_e32 v14, 0x924920da
	v_mov_b32_e32 v15, 0x3fd24924
	v_subbrev_co_u32_e32 v7, vcc, 0, v7, vcc
	v_fmac_f64_e32 v[14:15], v[16:17], v[18:19]
	v_mov_b32_e32 v18, 0x9999999c
	v_mov_b32_e32 v19, 0x3fd99999
	v_fmac_f64_e32 v[18:19], v[16:17], v[14:15]
	v_cvt_f64_i32_e32 v[14:15], v7
	s_mov_b32 s5, 0x3fe62e42
	s_mov_b32 s4, 0xfefa39ef
	v_mul_f64 v[20:21], v[14:15], s[4:5]
	v_mul_f64 v[26:27], v[10:11], v[16:17]
	v_fma_f64 v[22:23], v[14:15], s[4:5], -v[20:21]
	v_fma_f64 v[28:29], v[16:17], v[10:11], -v[26:27]
	v_fmac_f64_e32 v[22:23], s[6:7], v[14:15]
	v_fmac_f64_e32 v[28:29], v[16:17], v[8:9]
	v_add_f64 v[14:15], v[20:21], v[22:23]
	v_fmac_f64_e32 v[28:29], v[12:13], v[10:11]
	v_add_f64 v[20:21], v[14:15], -v[20:21]
	v_ldexp_f64 v[24:25], v[8:9], 1
	v_add_f64 v[8:9], v[26:27], v[28:29]
	v_add_f64 v[20:21], v[22:23], -v[20:21]
	v_ldexp_f64 v[22:23], v[10:11], 1
	v_add_f64 v[10:11], v[8:9], -v[26:27]
	v_mul_f64 v[26:27], v[16:17], v[18:19]
	v_fma_f64 v[16:17], v[16:17], v[18:19], -v[26:27]
	v_fmac_f64_e32 v[16:17], v[12:13], v[18:19]
	v_add_f64 v[12:13], v[26:27], v[16:17]
	v_add_f64 v[18:19], v[12:13], -v[26:27]
	v_add_f64 v[16:17], v[16:17], -v[18:19]
	v_add_f64 v[18:19], v[12:13], s[0:1]
	s_mov_b32 s1, 0xbfe55555
	v_add_f64 v[26:27], v[18:19], s[0:1]
	s_mov_b32 s0, 0xd5df274d
	s_mov_b32 s1, 0x3c8543b0
	v_add_f64 v[12:13], v[12:13], -v[26:27]
	v_add_f64 v[16:17], v[16:17], s[0:1]
	v_add_f64 v[12:13], v[16:17], v[12:13]
	;; [unrolled: 1-line block ×3, first 2 shown]
	v_add_f64 v[18:19], v[18:19], -v[16:17]
	v_add_f64 v[12:13], v[12:13], v[18:19]
	v_mul_f64 v[18:19], v[8:9], v[16:17]
	v_fma_f64 v[26:27], v[8:9], v[16:17], -v[18:19]
	v_add_f64 v[10:11], v[28:29], -v[10:11]
	v_fmac_f64_e32 v[26:27], v[8:9], v[12:13]
	v_fmac_f64_e32 v[26:27], v[10:11], v[16:17]
	v_add_f64 v[8:9], v[18:19], v[26:27]
	v_add_f64 v[10:11], v[8:9], -v[18:19]
	v_add_f64 v[12:13], v[22:23], v[8:9]
	v_add_f64 v[10:11], v[26:27], -v[10:11]
	v_add_f64 v[16:17], v[12:13], -v[22:23]
	;; [unrolled: 1-line block ×3, first 2 shown]
	v_add_f64 v[10:11], v[24:25], v[10:11]
	v_add_f64 v[8:9], v[10:11], v[8:9]
	;; [unrolled: 1-line block ×3, first 2 shown]
	v_add_f64 v[12:13], v[10:11], -v[12:13]
	v_add_f64 v[8:9], v[8:9], -v[12:13]
	v_add_f64 v[12:13], v[14:15], v[10:11]
	v_add_f64 v[16:17], v[12:13], -v[14:15]
	v_add_f64 v[18:19], v[12:13], -v[16:17]
	;; [unrolled: 1-line block ×4, first 2 shown]
	v_add_f64 v[10:11], v[10:11], v[14:15]
	v_add_f64 v[14:15], v[20:21], v[8:9]
	v_add_f64 v[16:17], v[14:15], -v[20:21]
	v_add_f64 v[10:11], v[14:15], v[10:11]
	v_add_f64 v[18:19], v[14:15], -v[16:17]
	;; [unrolled: 2-line block ×3, first 2 shown]
	v_add_f64 v[8:9], v[8:9], -v[16:17]
	v_add_f64 v[12:13], v[14:15], -v[12:13]
	v_add_f64 v[8:9], v[8:9], v[18:19]
	v_add_f64 v[10:11], v[10:11], -v[12:13]
	v_add_f64 v[8:9], v[8:9], v[10:11]
	v_add_f64 v[10:11], v[14:15], v[8:9]
	v_add_f64 v[12:13], v[10:11], -v[14:15]
	v_add_f64 v[8:9], v[8:9], -v[12:13]
	v_mul_f64 v[12:13], v[2:3], v[10:11]
	v_fma_f64 v[10:11], v[2:3], v[10:11], -v[12:13]
	v_fmac_f64_e32 v[10:11], v[2:3], v[8:9]
	s_movk_i32 s18, 0x204
	v_add_f64 v[8:9], v[12:13], v[10:11]
	v_cmp_class_f64_e64 vcc, v[12:13], s18
	s_mov_b32 s0, 0
	v_add_f64 v[14:15], v[8:9], -v[12:13]
	v_cndmask_b32_e32 v9, v9, v13, vcc
	v_cndmask_b32_e32 v8, v8, v12, vcc
	s_mov_b32 s1, 0x7ff00000
	v_cmp_neq_f64_e64 vcc, |v[8:9]|, s[0:1]
	s_mov_b32 s0, 0x652b82fe
	s_mov_b32 s1, 0x3ff71547
	v_mul_f64 v[12:13], v[8:9], s[0:1]
	v_rndne_f64_e32 v[12:13], v[12:13]
	s_mov_b32 s5, 0xbfe62e42
	v_add_f64 v[10:11], v[10:11], -v[14:15]
	v_fma_f64 v[14:15], s[4:5], v[12:13], v[8:9]
	s_mov_b32 s7, 0xbc7abc9e
	s_mov_b32 s0, 0x6a5dcb37
	v_fmac_f64_e32 v[14:15], s[6:7], v[12:13]
	v_mov_b32_e32 v16, 0xfca7ab0c
	v_mov_b32_e32 v17, 0x3e928af3
	s_mov_b32 s1, 0x3e5ade15
	v_fmac_f64_e32 v[16:17], s[0:1], v[14:15]
	v_mov_b32_e32 v18, 0x623fde64
	v_mov_b32_e32 v19, 0x3ec71dee
	v_fmac_f64_e32 v[18:19], v[14:15], v[16:17]
	v_mov_b32_e32 v16, 0x7c89e6b0
	v_mov_b32_e32 v17, 0x3efa0199
	;; [unrolled: 3-line block ×8, first 2 shown]
	s_mov_b32 s0, 0
	v_fmac_f64_e32 v[16:17], v[14:15], v[18:19]
	s_mov_b32 s1, 0x40900000
	v_cndmask_b32_e32 v11, 0, v11, vcc
	v_cndmask_b32_e32 v10, 0, v10, vcc
	v_fma_f64 v[16:17], v[14:15], v[16:17], 1.0
	v_cmp_nlt_f64_e32 vcc, s[0:1], v[8:9]
	s_mov_b32 s0, 0
	v_fma_f64 v[14:15], v[14:15], v[16:17], 1.0
	v_cvt_i32_f64_e32 v7, v[12:13]
	s_mov_b32 s1, 0xc090cc00
	v_ldexp_f64 v[12:13], v[14:15], v7
	v_mov_b32_e32 v7, 0x7ff00000
	v_cmp_ngt_f64_e64 s[0:1], s[0:1], v[8:9]
	v_cndmask_b32_e32 v13, v7, v13, vcc
	s_and_b64 vcc, s[0:1], vcc
	v_cndmask_b32_e64 v9, 0, v13, s[0:1]
	v_cndmask_b32_e32 v8, 0, v12, vcc
	v_mov_b64_e32 v[12:13], v[8:9]
	v_fmac_f64_e32 v[12:13], v[12:13], v[10:11]
	v_cmp_class_f64_e64 vcc, v[8:9], s18
	s_brev_b32 s23, -2
	v_mov_b32_e32 v14, 0x7ff80000
	v_cndmask_b32_e32 v12, v12, v8, vcc
	v_cndmask_b32_e32 v13, v13, v9, vcc
	v_trunc_f64_e32 v[8:9], v[2:3]
	v_cmp_eq_f64_e32 vcc, v[8:9], v[2:3]
	v_mul_f64 v[8:9], v[2:3], 0.5
	v_trunc_f64_e32 v[10:11], v[8:9]
	v_cmp_neq_f64_e64 s[0:1], v[10:11], v[8:9]
	s_and_b64 s[0:1], vcc, s[0:1]
	v_cmp_neq_f64_e64 s[4:5], v[2:3], |v[2:3]|
	v_cndmask_b32_e64 v8, v6, v5, s[0:1]
	v_bfi_b32 v8, s23, v13, v8
	v_cmp_lt_f64_e64 s[6:7], |v[4:5]|, 1.0
	v_cndmask_b32_e32 v9, v14, v8, vcc
	v_cndmask_b32_e32 v10, 0, v12, vcc
	v_cmp_gt_f64_e32 vcc, 0, v[4:5]
	s_xor_b64 s[4:5], s[4:5], s[6:7]
	v_cmp_gt_f64_e64 s[6:7], 0, v[2:3]
	v_cndmask_b32_e32 v10, v12, v10, vcc
	v_cndmask_b32_e32 v8, v8, v9, vcc
	v_cndmask_b32_e64 v9, v7, 0, s[4:5]
	v_cmp_neq_f64_e64 vcc, |v[4:5]|, 1.0
	v_cmp_eq_f64_e64 s[4:5], 0, v[4:5]
	s_xor_b64 s[6:7], s[6:7], s[4:5]
	v_cndmask_b32_e32 v6, v6, v9, vcc
	v_cmp_class_f64_e64 vcc, v[2:3], s18
	v_cmp_class_f64_e64 s[18:19], v[4:5], s18
	v_cndmask_b32_e64 v7, v7, 0, s[6:7]
	v_cndmask_b32_e32 v6, v8, v6, vcc
	v_cndmask_b32_e64 v8, 0, v5, s[0:1]
	v_bfi_b32 v7, s23, v7, v8
	s_or_b64 s[0:1], s[4:5], s[18:19]
	v_cndmask_b32_e64 v6, v6, v7, s[0:1]
	s_or_b64 s[0:1], s[0:1], vcc
	v_cndmask_b32_e64 v7, v10, 0, s[0:1]
	v_cmp_o_f64_e32 vcc, v[4:5], v[2:3]
	v_mov_b32_e32 v4, 0
	s_nop 0
	v_cndmask_b32_e32 v2, 0, v7, vcc
	v_cndmask_b32_e32 v3, v14, v6, vcc
	ds_write_b64 v4, v[2:3]
.LBB258_20:
	s_or_b64 exec, exec, s[8:9]
	v_mov_b32_e32 v2, 0
	s_waitcnt lgkmcnt(0)
	s_barrier
	ds_read_b64 v[2:3], v2
	s_waitcnt lgkmcnt(0)
	v_cmp_nlt_f64_e32 vcc, s[16:17], v[2:3]
	s_cbranch_vccnz .LBB258_25
; %bb.21:
	s_and_saveexec_b64 s[0:1], s[2:3]
	s_cbranch_execz .LBB258_24
; %bb.22:
	s_mov_b32 s2, 0x9abcaf48
	s_mov_b32 s3, 0x3e7ad7f2
	v_add_f64 v[2:3], v[2:3], s[2:3]
	v_div_scale_f64 v[4:5], s[2:3], v[2:3], v[2:3], s[16:17]
	v_rcp_f64_e32 v[6:7], v[4:5]
	s_and_b32 s6, 0xffff, s22
	s_lshl_b64 s[2:3], s[14:15], 3
	s_add_u32 s2, s12, s2
	v_fma_f64 v[8:9], -v[4:5], v[6:7], 1.0
	v_fmac_f64_e32 v[6:7], v[6:7], v[8:9]
	v_fma_f64 v[8:9], -v[4:5], v[6:7], 1.0
	v_fmac_f64_e32 v[6:7], v[6:7], v[8:9]
	v_div_scale_f64 v[8:9], vcc, s[16:17], v[2:3], s[16:17]
	v_mul_f64 v[10:11], v[8:9], v[6:7]
	v_fma_f64 v[4:5], -v[4:5], v[10:11], v[8:9]
	s_addc_u32 s3, s13, s3
	s_nop 0
	v_div_fmas_f64 v[4:5], v[4:5], v[6:7], v[10:11]
	v_div_fixup_f64 v[2:3], v[4:5], v[2:3], s[16:17]
	v_add_u32_e32 v4, s6, v0
	s_mov_b64 s[4:5], 0
.LBB258_23:                             ; =>This Inner Loop Header: Depth=1
	v_mul_lo_u32 v5, v1, s26
	v_mul_lo_u32 v6, v0, s27
	v_mad_u64_u32 v[0:1], s[8:9], v0, s26, 0
	v_add3_u32 v1, v1, v6, v5
	v_lshl_add_u64 v[6:7], v[0:1], 3, s[2:3]
	global_load_dwordx2 v[8:9], v[6:7], off
	v_ashrrev_i32_e32 v5, 31, v4
	v_cmp_le_i64_e32 vcc, s[20:21], v[4:5]
	v_mov_b64_e32 v[0:1], v[4:5]
	v_add_u32_e32 v4, s6, v4
	s_or_b64 s[4:5], vcc, s[4:5]
	s_waitcnt vmcnt(0)
	v_mul_f64 v[8:9], v[2:3], v[8:9]
	global_store_dwordx2 v[6:7], v[8:9], off
	s_andn2_b64 exec, exec, s[4:5]
	s_cbranch_execnz .LBB258_23
.LBB258_24:
	s_or_b64 exec, exec, s[0:1]
.LBB258_25:
	s_and_b64 vcc, exec, s[10:11]
	s_cbranch_vccnz .LBB258_30
.LBB258_26:
	s_endpgm
.LBB258_27:
	v_lshl_add_u32 v2, v12, 3, 0
	ds_read_b64 v[4:5], v2
	s_or_b64 exec, exec, s[0:1]
	v_cmp_gt_u32_e32 vcc, 64, v0
	s_and_saveexec_b64 s[0:1], vcc
	s_cbranch_execz .LBB258_18
.LBB258_28:
	s_waitcnt lgkmcnt(0)
	ds_bpermute_b32 v2, v6, v4
	ds_bpermute_b32 v3, v6, v5
	s_waitcnt lgkmcnt(0)
	v_add_f64 v[2:3], v[4:5], v[2:3]
	ds_bpermute_b32 v4, v7, v2
	ds_bpermute_b32 v5, v7, v3
	s_waitcnt lgkmcnt(0)
	v_add_f64 v[2:3], v[2:3], v[4:5]
	;; [unrolled: 4-line block ×6, first 2 shown]
	s_or_b64 exec, exec, s[0:1]
	v_cmp_eq_u32_e32 vcc, 0, v0
	s_and_saveexec_b64 s[8:9], vcc
	s_cbranch_execnz .LBB258_19
	s_branch .LBB258_20
.LBB258_29:
	s_cbranch_execz .LBB258_26
.LBB258_30:
	s_trap 2
	; divergent unreachable
	s_endpgm
	.section	.rodata,"a",@progbits
	.p2align	6, 0x0
	.amdhsa_kernel _ZN2at6native12_GLOBAL__N_113renorm_kernelIddKlEEvPT_PT1_T0_S8_llllPS3_
		.amdhsa_group_segment_fixed_size 0
		.amdhsa_private_segment_fixed_size 0
		.amdhsa_kernarg_size 328
		.amdhsa_user_sgpr_count 2
		.amdhsa_user_sgpr_dispatch_ptr 0
		.amdhsa_user_sgpr_queue_ptr 0
		.amdhsa_user_sgpr_kernarg_segment_ptr 1
		.amdhsa_user_sgpr_dispatch_id 0
		.amdhsa_user_sgpr_kernarg_preload_length 0
		.amdhsa_user_sgpr_kernarg_preload_offset 0
		.amdhsa_user_sgpr_private_segment_size 0
		.amdhsa_uses_dynamic_stack 0
		.amdhsa_enable_private_segment 0
		.amdhsa_system_sgpr_workgroup_id_x 1
		.amdhsa_system_sgpr_workgroup_id_y 0
		.amdhsa_system_sgpr_workgroup_id_z 0
		.amdhsa_system_sgpr_workgroup_info 0
		.amdhsa_system_vgpr_workitem_id 0
		.amdhsa_next_free_vgpr 68
		.amdhsa_next_free_sgpr 66
		.amdhsa_accum_offset 68
		.amdhsa_reserve_vcc 1
		.amdhsa_float_round_mode_32 0
		.amdhsa_float_round_mode_16_64 0
		.amdhsa_float_denorm_mode_32 3
		.amdhsa_float_denorm_mode_16_64 3
		.amdhsa_dx10_clamp 1
		.amdhsa_ieee_mode 1
		.amdhsa_fp16_overflow 0
		.amdhsa_tg_split 0
		.amdhsa_exception_fp_ieee_invalid_op 0
		.amdhsa_exception_fp_denorm_src 0
		.amdhsa_exception_fp_ieee_div_zero 0
		.amdhsa_exception_fp_ieee_overflow 0
		.amdhsa_exception_fp_ieee_underflow 0
		.amdhsa_exception_fp_ieee_inexact 0
		.amdhsa_exception_int_div_zero 0
	.end_amdhsa_kernel
	.section	.text._ZN2at6native12_GLOBAL__N_113renorm_kernelIddKlEEvPT_PT1_T0_S8_llllPS3_,"axG",@progbits,_ZN2at6native12_GLOBAL__N_113renorm_kernelIddKlEEvPT_PT1_T0_S8_llllPS3_,comdat
.Lfunc_end258:
	.size	_ZN2at6native12_GLOBAL__N_113renorm_kernelIddKlEEvPT_PT1_T0_S8_llllPS3_, .Lfunc_end258-_ZN2at6native12_GLOBAL__N_113renorm_kernelIddKlEEvPT_PT1_T0_S8_llllPS3_
                                        ; -- End function
	.set _ZN2at6native12_GLOBAL__N_113renorm_kernelIddKlEEvPT_PT1_T0_S8_llllPS3_.num_vgpr, 68
	.set _ZN2at6native12_GLOBAL__N_113renorm_kernelIddKlEEvPT_PT1_T0_S8_llllPS3_.num_agpr, 0
	.set _ZN2at6native12_GLOBAL__N_113renorm_kernelIddKlEEvPT_PT1_T0_S8_llllPS3_.numbered_sgpr, 66
	.set _ZN2at6native12_GLOBAL__N_113renorm_kernelIddKlEEvPT_PT1_T0_S8_llllPS3_.num_named_barrier, 0
	.set _ZN2at6native12_GLOBAL__N_113renorm_kernelIddKlEEvPT_PT1_T0_S8_llllPS3_.private_seg_size, 0
	.set _ZN2at6native12_GLOBAL__N_113renorm_kernelIddKlEEvPT_PT1_T0_S8_llllPS3_.uses_vcc, 1
	.set _ZN2at6native12_GLOBAL__N_113renorm_kernelIddKlEEvPT_PT1_T0_S8_llllPS3_.uses_flat_scratch, 0
	.set _ZN2at6native12_GLOBAL__N_113renorm_kernelIddKlEEvPT_PT1_T0_S8_llllPS3_.has_dyn_sized_stack, 0
	.set _ZN2at6native12_GLOBAL__N_113renorm_kernelIddKlEEvPT_PT1_T0_S8_llllPS3_.has_recursion, 0
	.set _ZN2at6native12_GLOBAL__N_113renorm_kernelIddKlEEvPT_PT1_T0_S8_llllPS3_.has_indirect_call, 0
	.section	.AMDGPU.csdata,"",@progbits
; Kernel info:
; codeLenInByte = 4988
; TotalNumSgprs: 72
; NumVgprs: 68
; NumAgprs: 0
; TotalNumVgprs: 68
; ScratchSize: 0
; MemoryBound: 0
; FloatMode: 240
; IeeeMode: 1
; LDSByteSize: 0 bytes/workgroup (compile time only)
; SGPRBlocks: 8
; VGPRBlocks: 8
; NumSGPRsForWavesPerEU: 72
; NumVGPRsForWavesPerEU: 68
; AccumOffset: 68
; Occupancy: 7
; WaveLimiterHint : 1
; COMPUTE_PGM_RSRC2:SCRATCH_EN: 0
; COMPUTE_PGM_RSRC2:USER_SGPR: 2
; COMPUTE_PGM_RSRC2:TRAP_HANDLER: 0
; COMPUTE_PGM_RSRC2:TGID_X_EN: 1
; COMPUTE_PGM_RSRC2:TGID_Y_EN: 0
; COMPUTE_PGM_RSRC2:TGID_Z_EN: 0
; COMPUTE_PGM_RSRC2:TIDIG_COMP_CNT: 0
; COMPUTE_PGM_RSRC3_GFX90A:ACCUM_OFFSET: 16
; COMPUTE_PGM_RSRC3_GFX90A:TG_SPLIT: 0
	.section	.text._ZN2at6native12_GLOBAL__N_113renorm_kernelIffKlEEvPT_PT1_T0_S8_llllPS3_,"axG",@progbits,_ZN2at6native12_GLOBAL__N_113renorm_kernelIffKlEEvPT_PT1_T0_S8_llllPS3_,comdat
	.globl	_ZN2at6native12_GLOBAL__N_113renorm_kernelIffKlEEvPT_PT1_T0_S8_llllPS3_ ; -- Begin function _ZN2at6native12_GLOBAL__N_113renorm_kernelIffKlEEvPT_PT1_T0_S8_llllPS3_
	.p2align	8
	.type	_ZN2at6native12_GLOBAL__N_113renorm_kernelIffKlEEvPT_PT1_T0_S8_llllPS3_,@function
_ZN2at6native12_GLOBAL__N_113renorm_kernelIffKlEEvPT_PT1_T0_S8_llllPS3_: ; @_ZN2at6native12_GLOBAL__N_113renorm_kernelIffKlEEvPT_PT1_T0_S8_llllPS3_
; %bb.0:
	s_load_dwordx2 s[4:5], s[0:1], 0x38
	s_mov_b32 s3, 0
	v_mov_b64_e32 v[2:3], s[2:3]
	s_waitcnt lgkmcnt(0)
	s_load_dwordx2 s[4:5], s[4:5], 0x0
	s_waitcnt lgkmcnt(0)
	v_cmp_le_i64_e32 vcc, s[4:5], v[2:3]
	s_cbranch_vccnz .LBB259_26
; %bb.1:
	s_load_dwordx4 s[16:19], s[0:1], 0x0
	s_lshl_b64 s[2:3], s[2:3], 3
	s_waitcnt lgkmcnt(0)
	s_add_u32 s2, s18, s2
	s_addc_u32 s3, s19, s3
	s_load_dwordx2 s[2:3], s[2:3], 0x0
	s_waitcnt lgkmcnt(0)
	v_cmp_lt_i64_e64 s[4:5], s[2:3], 0
	s_and_b64 vcc, exec, s[4:5]
	s_cbranch_vccnz .LBB259_29
; %bb.2:
	s_load_dwordx8 s[8:15], s[0:1], 0x18
	s_getpc_b64 s[4:5]
	s_add_u32 s4, s4, .str.4@rel32@lo+4
	s_addc_u32 s5, s5, .str.4@rel32@hi+12
	s_cmp_eq_u64 s[4:5], 0
	s_cselect_b64 s[4:5], -1, 0
	s_waitcnt lgkmcnt(0)
	v_mov_b32_e32 v2, s10
	v_mov_b32_e32 v3, s11
	v_cmp_ge_i64_e32 vcc, s[2:3], v[2:3]
	s_or_b64 s[10:11], vcc, s[4:5]
	s_andn2_b64 vcc, exec, s[10:11]
	s_cbranch_vccz .LBB259_25
; %bb.3:
	s_load_dwordx2 s[18:19], s[0:1], 0x10
	s_mul_i32 s4, s2, s13
	s_mul_hi_u32 s5, s2, s12
	s_add_i32 s4, s5, s4
	s_mul_i32 s3, s3, s12
	v_mov_b32_e32 v1, 0
	s_add_i32 s13, s4, s3
	s_mul_i32 s12, s2, s12
	v_cmp_gt_i64_e64 s[2:3], s[8:9], v[0:1]
	v_mov_b32_e32 v6, v1
	s_and_saveexec_b64 s[20:21], s[2:3]
	s_cbranch_execz .LBB259_13
; %bb.4:
	s_load_dword s6, s[0:1], 0x4c
	s_lshl_b64 s[4:5], s[12:13], 2
	s_add_u32 s22, s16, s4
	s_addc_u32 s23, s17, s5
	s_waitcnt lgkmcnt(0)
	v_cmp_neq_f32_e64 s[24:25], s19, 1.0
	s_and_b32 s30, s6, 0xffff
	v_cmp_neq_f32_e64 s[26:27], s19, 2.0
	v_add_u32_e32 v2, s30, v0
	v_mov_b32_e32 v6, 0
	s_mov_b64 s[28:29], 0
	s_brev_b32 s31, -2
	s_mov_b32 s33, 0x3f2aaaab
	v_mov_b32_e32 v7, 0x3e91f4c4
	s_mov_b32 s34, 0x3f317218
	s_movk_i32 s35, 0x204
	s_mov_b32 s36, 0x7f800000
	s_mov_b32 s37, 0x42b17218
	;; [unrolled: 1-line block ×4, first 2 shown]
	v_mov_b32_e32 v8, 0x37000000
	v_mov_b32_e32 v9, 0x7f800000
	;; [unrolled: 1-line block ×3, first 2 shown]
	v_mov_b64_e32 v[4:5], v[0:1]
                                        ; implicit-def: $vgpr3
	s_branch .LBB259_7
.LBB259_5:                              ;   in Loop: Header=BB259_7 Depth=1
	s_waitcnt vmcnt(0)
	v_and_b32_e32 v4, 0x7fffffff, v3
.LBB259_6:                              ;   in Loop: Header=BB259_7 Depth=1
	s_waitcnt vmcnt(0)
	v_ashrrev_i32_e32 v3, 31, v2
	v_cmp_le_i64_e32 vcc, s[8:9], v[2:3]
	v_add_f32_e32 v6, v6, v4
	v_mov_b64_e32 v[4:5], v[2:3]
	s_or_b64 s[28:29], vcc, s[28:29]
	v_add_u32_e32 v2, s30, v2
	s_andn2_b64 exec, exec, s[28:29]
	s_cbranch_execz .LBB259_12
.LBB259_7:                              ; =>This Inner Loop Header: Depth=1
	v_mul_lo_u32 v3, v5, s14
	v_mul_lo_u32 v11, v4, s15
	v_mad_u64_u32 v[4:5], s[4:5], v4, s14, 0
	v_add3_u32 v5, v5, v11, v3
	v_lshl_add_u64 v[4:5], v[4:5], 2, s[22:23]
	global_load_dword v3, v[4:5], off
	s_and_b64 vcc, exec, s[24:25]
	s_cbranch_vccz .LBB259_5
; %bb.8:                                ;   in Loop: Header=BB259_7 Depth=1
	s_and_b64 vcc, exec, s[26:27]
	s_cbranch_vccz .LBB259_10
; %bb.9:                                ;   in Loop: Header=BB259_7 Depth=1
	v_mov_b32_e32 v4, s19
	s_waitcnt vmcnt(0)
	v_cmp_neq_f32_e32 vcc, 1.0, v3
	s_nop 1
	v_cndmask_b32_e32 v11, 1.0, v4, vcc
	v_cmp_neq_f32_e32 vcc, 0, v11
	v_cmp_neq_f32_e64 s[6:7], v11, |v11|
	s_nop 0
	v_cndmask_b32_e32 v24, 1.0, v3, vcc
	v_frexp_mant_f32_e64 v4, |v24|
	v_cmp_gt_f32_e32 vcc, s33, v4
	v_cmp_lt_f32_e64 s[40:41], |v24|, 1.0
	s_xor_b64 s[6:7], s[6:7], s[40:41]
	v_cndmask_b32_e64 v5, 1.0, 2.0, vcc
	v_mul_f32_e32 v4, v4, v5
	v_add_f32_e32 v13, 1.0, v4
	v_rcp_f32_e32 v18, v13
	v_add_f32_e32 v5, -1.0, v13
	v_sub_f32_e32 v15, v4, v5
	v_add_f32_e32 v5, -1.0, v4
	v_mul_f32_e32 v19, v5, v18
	v_mul_f32_e32 v12, v13, v19
	v_fma_f32 v14, v19, v13, -v12
	v_fmac_f32_e32 v14, v19, v15
	v_add_f32_e32 v4, v12, v14
	v_sub_f32_e32 v13, v5, v4
	v_pk_add_f32 v[16:17], v[4:5], v[12:13] neg_lo:[0,1] neg_hi:[0,1]
	v_mov_b32_e32 v15, v4
	v_pk_add_f32 v[4:5], v[16:17], v[14:15] neg_lo:[0,1] neg_hi:[0,1]
	v_cmp_class_f32_e64 s[40:41], v24, s35
	v_add_f32_e32 v4, v4, v5
	v_add_f32_e32 v4, v13, v4
	v_mul_f32_e32 v5, v18, v4
	v_add_f32_e32 v4, v19, v5
	v_sub_f32_e32 v12, v4, v19
	v_sub_f32_e32 v20, v5, v12
	v_mul_f32_e32 v5, v4, v4
	v_fma_f32 v13, v4, v4, -v5
	v_add_f32_e32 v12, v20, v20
	v_fmac_f32_e32 v13, v4, v12
	v_add_f32_e32 v12, v5, v13
	v_fmamk_f32 v14, v12, 0x3e76c4e1, v7
	v_fmaak_f32 v14, v12, v14, 0x3ecccdef
	v_sub_f32_e32 v5, v12, v5
	v_sub_f32_e32 v21, v13, v5
	v_mul_f32_e32 v5, v12, v14
	v_fma_f32 v13, v12, v14, -v5
	v_fmac_f32_e32 v13, v21, v14
	v_add_f32_e32 v14, v5, v13
	v_add_f32_e32 v15, 0x3f2aaaaa, v14
	v_sub_f32_e32 v5, v14, v5
	v_sub_f32_e32 v5, v13, v5
	v_add_f32_e32 v13, 0xbf2aaaaa, v15
	v_add_f32_e32 v5, 0x31739010, v5
	v_sub_f32_e32 v13, v14, v13
	v_pk_mul_f32 v[16:17], v[4:5], v[12:13]
	v_pk_add_f32 v[18:19], v[4:5], v[12:13]
	v_fma_f32 v14, v12, v4, -v16
	v_fmac_f32_e32 v14, v12, v20
	v_mov_b32_e32 v17, v19
	v_fmac_f32_e32 v14, v21, v4
	v_pk_add_f32 v[12:13], v[16:17], v[14:15]
	v_ldexp_f32 v22, v20, 1
	v_sub_f32_e32 v5, v12, v16
	v_sub_f32_e32 v5, v14, v5
	;; [unrolled: 1-line block ×3, first 2 shown]
	v_add_f32_e32 v18, v19, v14
	v_pk_mul_f32 v[14:15], v[12:13], v[12:13] op_sel:[0,1] op_sel_hi:[1,0]
	v_cvt_f64_f32_e64 v[16:17], |v24|
	v_frexp_exp_i32_f64_e32 v15, v[16:17]
	v_subbrev_co_u32_e32 v15, vcc, 0, v15, vcc
	v_cvt_f32_i32_e32 v15, v15
	v_fma_f32 v16, v12, v13, -v14
	v_fmac_f32_e32 v16, v12, v18
	v_fmac_f32_e32 v16, v5, v13
	v_mul_f32_e32 v12, 0x3f317218, v15
	v_fma_f32 v18, v15, s34, -v12
	v_fmac_f32_e32 v18, 0xb102e308, v15
	v_ldexp_f32 v19, v4, 1
	v_add_f32_e32 v13, v14, v16
	v_pk_add_f32 v[4:5], v[12:13], v[18:19]
	v_mov_b32_e32 v20, v13
	v_mov_b32_e32 v21, v5
	;; [unrolled: 1-line block ×3, first 2 shown]
	v_pk_add_f32 v[14:15], v[20:21], v[14:15] neg_lo:[0,1] neg_hi:[0,1]
	v_mov_b32_e32 v17, v13
	v_pk_add_f32 v[14:15], v[16:17], v[14:15] neg_lo:[0,1] neg_hi:[0,1]
	v_mov_b32_e32 v19, v4
	v_add_f32_e32 v13, v22, v14
	v_add_f32_e32 v13, v13, v15
	v_pk_add_f32 v[14:15], v[4:5], v[12:13] neg_lo:[0,1] neg_hi:[0,1]
	v_pk_add_f32 v[16:17], v[4:5], v[12:13]
	v_mov_b32_e32 v12, v13
	v_mov_b32_e32 v15, v17
	v_pk_add_f32 v[20:21], v[18:19], v[14:15] neg_lo:[0,1] neg_hi:[0,1]
	v_pk_add_f32 v[14:15], v[18:19], v[14:15]
	v_mov_b32_e32 v13, v4
	v_pk_add_f32 v[18:19], v[14:15], v[4:5] op_sel:[1,0] op_sel_hi:[0,1] neg_lo:[0,1] neg_hi:[0,1]
	v_pk_add_f32 v[22:23], v[16:17], v[18:19] op_sel_hi:[1,0] neg_lo:[0,1] neg_hi:[0,1]
	v_mov_b32_e32 v16, v17
	v_mov_b32_e32 v17, v15
	v_pk_mov_b32 v[18:19], v[4:5], v[18:19] op_sel:[1,0]
	v_mov_b32_e32 v22, v20
	v_pk_add_f32 v[16:17], v[16:17], v[18:19] neg_lo:[0,1] neg_hi:[0,1]
	v_mov_b32_e32 v21, v15
	v_pk_add_f32 v[4:5], v[12:13], v[16:17] neg_lo:[0,1] neg_hi:[0,1]
	s_nop 0
	v_pk_add_f32 v[12:13], v[22:23], v[4:5]
	s_nop 0
	v_pk_add_f32 v[16:17], v[12:13], v[12:13] op_sel:[0,1] op_sel_hi:[1,0]
	s_nop 0
	v_pk_add_f32 v[14:15], v[14:15], v[16:17] op_sel:[1,0] op_sel_hi:[0,1]
	v_mov_b32_e32 v13, v14
	v_pk_add_f32 v[18:19], v[12:13], v[20:21] neg_lo:[0,1] neg_hi:[0,1]
	v_mov_b32_e32 v5, v16
	v_sub_f32_e32 v12, v12, v18
	v_pk_add_f32 v[4:5], v[4:5], v[18:19] neg_lo:[0,1] neg_hi:[0,1]
	v_sub_f32_e32 v12, v20, v12
	v_add_f32_e32 v4, v4, v12
	v_add_f32_e32 v4, v4, v5
	v_add_f32_e32 v5, v14, v4
	v_sub_f32_e32 v12, v5, v14
	v_sub_f32_e32 v4, v4, v12
	v_mul_f32_e32 v12, v11, v5
	v_fma_f32 v5, v11, v5, -v12
	v_fmac_f32_e32 v5, v11, v4
	v_add_f32_e32 v4, v12, v5
	v_cmp_class_f32_e64 vcc, v12, s35
	v_sub_f32_e32 v13, v4, v12
	v_sub_f32_e32 v5, v5, v13
	v_cndmask_b32_e32 v4, v4, v12, vcc
	v_cmp_eq_f32_e32 vcc, s37, v4
	s_nop 1
	v_cndmask_b32_e32 v12, 0, v8, vcc
	v_sub_f32_e32 v13, v4, v12
	v_mul_f32_e32 v14, 0x3fb8aa3b, v13
	v_fma_f32 v15, v13, s38, -v14
	v_rndne_f32_e32 v16, v14
	v_fmac_f32_e32 v15, 0x32a5705f, v13
	v_sub_f32_e32 v14, v14, v16
	v_add_f32_e32 v14, v14, v15
	v_exp_f32_e32 v14, v14
	v_cvt_i32_f32_e32 v15, v16
	v_cmp_neq_f32_e64 vcc, |v4|, s36
	s_nop 1
	v_cndmask_b32_e32 v4, 0, v5, vcc
	v_ldexp_f32 v5, v14, v15
	v_cmp_ngt_f32_e32 vcc, s39, v13
	v_add_f32_e32 v4, v12, v4
	s_nop 0
	v_cndmask_b32_e32 v5, 0, v5, vcc
	v_cmp_nlt_f32_e32 vcc, s37, v13
	s_nop 1
	v_cndmask_b32_e32 v5, v9, v5, vcc
	v_fma_f32 v4, v5, v4, v5
	v_cmp_class_f32_e64 vcc, v5, s35
	s_nop 1
	v_cndmask_b32_e32 v4, v4, v5, vcc
	v_trunc_f32_e32 v5, v11
	v_cmp_eq_f32_e32 vcc, v5, v11
	v_mul_f32_e32 v5, 0.5, v11
	v_trunc_f32_e32 v12, v5
	v_cmp_neq_f32_e64 s[4:5], v12, v5
	s_and_b64 s[4:5], vcc, s[4:5]
	s_nop 0
	v_cndmask_b32_e64 v5, 1.0, v24, s[4:5]
	v_bfi_b32 v4, s31, v4, v5
	v_cndmask_b32_e32 v5, v10, v4, vcc
	v_cmp_gt_f32_e32 vcc, 0, v24
	v_cndmask_b32_e64 v12, 0, v24, s[4:5]
	s_nop 0
	v_cndmask_b32_e32 v4, v4, v5, vcc
	v_cndmask_b32_e64 v5, v9, 0, s[6:7]
	v_cmp_neq_f32_e64 vcc, |v24|, 1.0
	v_cmp_gt_f32_e64 s[6:7], 0, v11
	s_nop 0
	v_cndmask_b32_e32 v5, 1.0, v5, vcc
	v_cmp_class_f32_e64 vcc, v11, s35
	s_nop 1
	v_cndmask_b32_e32 v4, v4, v5, vcc
	v_cmp_eq_f32_e32 vcc, 0, v24
	s_xor_b64 s[6:7], s[6:7], vcc
	v_cndmask_b32_e64 v5, v9, 0, s[6:7]
	v_bfi_b32 v5, s31, v5, v12
	s_or_b64 vcc, vcc, s[40:41]
	v_cndmask_b32_e32 v4, v4, v5, vcc
	v_cmp_o_f32_e32 vcc, v24, v11
	s_nop 1
	v_cndmask_b32_e32 v4, v10, v4, vcc
	s_cbranch_execnz .LBB259_6
	s_branch .LBB259_11
.LBB259_10:                             ;   in Loop: Header=BB259_7 Depth=1
                                        ; implicit-def: $vgpr4
.LBB259_11:                             ;   in Loop: Header=BB259_7 Depth=1
	s_waitcnt vmcnt(0)
	v_mul_f32_e32 v4, v3, v3
	s_branch .LBB259_6
.LBB259_12:
	s_or_b64 exec, exec, s[28:29]
.LBB259_13:
	s_or_b64 exec, exec, s[20:21]
; %bb.14:
	v_mbcnt_lo_u32_b32 v2, -1, 0
	v_mbcnt_hi_u32_b32 v7, -1, v2
	v_mov_b32_e32 v2, 0x80
	v_lshl_or_b32 v2, v7, 2, v2
	ds_bpermute_b32 v3, v2, v6
	v_and_b32_e32 v8, 63, v7
	v_cmp_gt_u32_e32 vcc, 48, v8
	s_waitcnt lgkmcnt(0)
	s_barrier
	v_cndmask_b32_e64 v4, 0, 16, vcc
	v_add_f32_e32 v5, v6, v3
	v_add_lshl_u32 v3, v4, v7, 2
	ds_bpermute_b32 v6, v3, v5
	v_cmp_gt_u32_e32 vcc, 56, v8
	s_waitcnt lgkmcnt(0)
	v_add_f32_e32 v6, v5, v6
	v_cndmask_b32_e64 v4, 0, 8, vcc
	v_add_lshl_u32 v4, v4, v7, 2
	ds_bpermute_b32 v9, v4, v6
	v_cmp_gt_u32_e32 vcc, 60, v8
	s_waitcnt lgkmcnt(0)
	v_add_f32_e32 v9, v6, v9
	v_cndmask_b32_e64 v5, 0, 4, vcc
	;; [unrolled: 6-line block ×3, first 2 shown]
	v_add_lshl_u32 v6, v6, v7, 2
	ds_bpermute_b32 v11, v6, v10
	v_cmp_ne_u32_e32 vcc, 63, v8
	v_and_b32_e32 v9, 63, v0
	s_waitcnt lgkmcnt(0)
	v_add_f32_e32 v8, v10, v11
	v_addc_co_u32_e32 v7, vcc, 0, v7, vcc
	v_lshlrev_b32_e32 v7, 2, v7
	ds_bpermute_b32 v10, v7, v8
	v_cmp_eq_u32_e32 vcc, 0, v9
	s_and_saveexec_b64 s[4:5], vcc
	s_cbranch_execz .LBB259_16
; %bb.15:
	s_waitcnt lgkmcnt(0)
	v_add_f32_e32 v8, v8, v10
	v_lshrrev_b32_e32 v10, 4, v0
	v_add_u32_e32 v10, 0, v10
	ds_write_b32 v10, v8
.LBB259_16:
	s_or_b64 exec, exec, s[4:5]
	s_waitcnt lgkmcnt(0)
	s_barrier
	s_load_dword s20, s[0:1], 0x4c
	v_mov_b32_e32 v8, 0
	s_waitcnt lgkmcnt(0)
	s_bfe_u32 s0, s20, 0xa0006
	v_cmp_gt_u32_e32 vcc, s0, v0
	s_and_saveexec_b64 s[0:1], vcc
	s_cbranch_execnz .LBB259_27
; %bb.17:
	s_or_b64 exec, exec, s[0:1]
	v_cmp_gt_u32_e32 vcc, 64, v0
	s_and_saveexec_b64 s[0:1], vcc
	s_cbranch_execnz .LBB259_28
.LBB259_18:
	s_or_b64 exec, exec, s[0:1]
	v_cmp_eq_u32_e32 vcc, 0, v0
	s_and_saveexec_b64 s[6:7], vcc
	s_cbranch_execz .LBB259_20
.LBB259_19:
	v_div_scale_f32 v2, s[0:1], s19, s19, 1.0
	v_rcp_f32_e32 v3, v2
	v_div_scale_f32 v4, vcc, 1.0, s19, 1.0
	s_mov_b32 s0, 0x3f2aaaab
	v_fma_f32 v5, -v2, v3, 1.0
	v_fmac_f32_e32 v3, v5, v3
	v_mul_f32_e32 v5, v4, v3
	v_fma_f32 v6, -v2, v5, v4
	v_fmac_f32_e32 v5, v6, v3
	v_fma_f32 v2, -v2, v5, v4
	v_div_fmas_f32 v2, v2, v3, v5
	v_div_fixup_f32 v2, v2, s19, 1.0
	s_waitcnt lgkmcnt(0)
	v_cmp_neq_f32_e32 vcc, 1.0, v8
	s_movk_i32 s19, 0x204
	s_mov_b32 s1, 0x42b17218
	v_cndmask_b32_e32 v16, 1.0, v2, vcc
	v_cmp_neq_f32_e32 vcc, 0, v16
	s_mov_b32 s4, 0x3fb8aa3b
	s_brev_b32 s21, -2
	v_cndmask_b32_e32 v17, 1.0, v8, vcc
	v_frexp_mant_f32_e64 v2, |v17|
	v_cmp_gt_f32_e32 vcc, s0, v2
	s_mov_b32 s0, 0x3f317218
	v_cmp_lt_f32_e64 s[22:23], |v17|, 1.0
	v_cndmask_b32_e64 v3, 1.0, 2.0, vcc
	v_mul_f32_e32 v2, v2, v3
	v_add_f32_e32 v5, 1.0, v2
	v_rcp_f32_e32 v10, v5
	v_add_f32_e32 v3, -1.0, v5
	v_sub_f32_e32 v7, v2, v3
	v_add_f32_e32 v3, -1.0, v2
	v_mul_f32_e32 v11, v3, v10
	v_mul_f32_e32 v4, v5, v11
	v_fma_f32 v6, v11, v5, -v4
	v_fmac_f32_e32 v6, v11, v7
	v_add_f32_e32 v2, v4, v6
	v_sub_f32_e32 v5, v3, v2
	v_pk_add_f32 v[8:9], v[2:3], v[4:5] neg_lo:[0,1] neg_hi:[0,1]
	v_mov_b32_e32 v7, v2
	v_pk_add_f32 v[2:3], v[8:9], v[6:7] neg_lo:[0,1] neg_hi:[0,1]
	v_mov_b32_e32 v6, 0x3e91f4c4
	v_add_f32_e32 v2, v2, v3
	v_add_f32_e32 v2, v5, v2
	v_mul_f32_e32 v3, v10, v2
	v_add_f32_e32 v2, v11, v3
	v_sub_f32_e32 v4, v2, v11
	v_sub_f32_e32 v12, v3, v4
	v_mul_f32_e32 v3, v2, v2
	v_fma_f32 v5, v2, v2, -v3
	v_add_f32_e32 v4, v12, v12
	v_fmac_f32_e32 v5, v2, v4
	v_add_f32_e32 v4, v3, v5
	v_fmac_f32_e32 v6, 0x3e76c4e1, v4
	v_fmaak_f32 v6, v4, v6, 0x3ecccdef
	v_sub_f32_e32 v3, v4, v3
	v_sub_f32_e32 v13, v5, v3
	v_mul_f32_e32 v3, v4, v6
	v_fma_f32 v5, v4, v6, -v3
	v_fmac_f32_e32 v5, v13, v6
	v_add_f32_e32 v6, v3, v5
	v_add_f32_e32 v7, 0x3f2aaaaa, v6
	v_sub_f32_e32 v3, v6, v3
	v_sub_f32_e32 v3, v5, v3
	v_add_f32_e32 v5, 0xbf2aaaaa, v7
	v_add_f32_e32 v3, 0x31739010, v3
	v_sub_f32_e32 v5, v6, v5
	v_pk_mul_f32 v[8:9], v[2:3], v[4:5]
	v_pk_add_f32 v[10:11], v[2:3], v[4:5]
	v_fma_f32 v6, v4, v2, -v8
	v_fmac_f32_e32 v6, v4, v12
	v_mov_b32_e32 v9, v11
	v_fmac_f32_e32 v6, v13, v2
	v_pk_add_f32 v[4:5], v[8:9], v[6:7]
	v_ldexp_f32 v14, v12, 1
	v_sub_f32_e32 v3, v4, v8
	v_sub_f32_e32 v3, v6, v3
	;; [unrolled: 1-line block ×3, first 2 shown]
	v_add_f32_e32 v9, v11, v6
	v_pk_mul_f32 v[6:7], v[4:5], v[4:5] op_sel:[0,1] op_sel_hi:[1,0]
	v_cvt_f64_f32_e64 v[10:11], |v17|
	v_frexp_exp_i32_f64_e32 v7, v[10:11]
	v_subbrev_co_u32_e32 v7, vcc, 0, v7, vcc
	v_cvt_f32_i32_e32 v7, v7
	v_fma_f32 v8, v4, v5, -v6
	v_fmac_f32_e32 v8, v4, v9
	v_fmac_f32_e32 v8, v3, v5
	v_mul_f32_e32 v4, 0x3f317218, v7
	v_fma_f32 v3, v7, s0, -v4
	v_fmamk_f32 v10, v7, 0xb102e308, v3
	v_ldexp_f32 v11, v2, 1
	v_add_f32_e32 v5, v6, v8
	v_pk_add_f32 v[2:3], v[4:5], v[10:11]
	v_mov_b32_e32 v12, v5
	v_mov_b32_e32 v13, v3
	;; [unrolled: 1-line block ×3, first 2 shown]
	v_pk_add_f32 v[6:7], v[12:13], v[6:7] neg_lo:[0,1] neg_hi:[0,1]
	v_mov_b32_e32 v9, v5
	v_pk_add_f32 v[6:7], v[8:9], v[6:7] neg_lo:[0,1] neg_hi:[0,1]
	v_mov_b32_e32 v11, v2
	v_add_f32_e32 v5, v14, v6
	v_add_f32_e32 v5, v5, v7
	v_pk_add_f32 v[6:7], v[2:3], v[4:5] neg_lo:[0,1] neg_hi:[0,1]
	v_pk_add_f32 v[8:9], v[2:3], v[4:5]
	v_mov_b32_e32 v4, v5
	v_mov_b32_e32 v7, v9
	v_pk_add_f32 v[12:13], v[10:11], v[6:7] neg_lo:[0,1] neg_hi:[0,1]
	v_pk_add_f32 v[6:7], v[10:11], v[6:7]
	v_mov_b32_e32 v5, v2
	v_pk_add_f32 v[10:11], v[6:7], v[2:3] op_sel:[1,0] op_sel_hi:[0,1] neg_lo:[0,1] neg_hi:[0,1]
	v_pk_add_f32 v[14:15], v[8:9], v[10:11] op_sel_hi:[1,0] neg_lo:[0,1] neg_hi:[0,1]
	v_mov_b32_e32 v8, v9
	v_mov_b32_e32 v9, v7
	v_pk_mov_b32 v[10:11], v[2:3], v[10:11] op_sel:[1,0]
	v_mov_b32_e32 v14, v12
	v_pk_add_f32 v[8:9], v[8:9], v[10:11] neg_lo:[0,1] neg_hi:[0,1]
	v_mov_b32_e32 v13, v7
	v_pk_add_f32 v[2:3], v[4:5], v[8:9] neg_lo:[0,1] neg_hi:[0,1]
	s_mov_b32 s0, 0x7f800000
	v_pk_add_f32 v[4:5], v[14:15], v[2:3]
	s_nop 0
	v_pk_add_f32 v[8:9], v[4:5], v[4:5] op_sel:[0,1] op_sel_hi:[1,0]
	s_nop 0
	v_pk_add_f32 v[6:7], v[6:7], v[8:9] op_sel:[1,0] op_sel_hi:[0,1]
	v_mov_b32_e32 v5, v6
	v_pk_add_f32 v[10:11], v[4:5], v[12:13] neg_lo:[0,1] neg_hi:[0,1]
	v_mov_b32_e32 v3, v8
	v_sub_f32_e32 v4, v4, v10
	v_pk_add_f32 v[2:3], v[2:3], v[10:11] neg_lo:[0,1] neg_hi:[0,1]
	v_sub_f32_e32 v4, v12, v4
	v_add_f32_e32 v2, v2, v4
	v_add_f32_e32 v2, v2, v3
	;; [unrolled: 1-line block ×3, first 2 shown]
	v_sub_f32_e32 v4, v3, v6
	v_sub_f32_e32 v2, v2, v4
	v_mul_f32_e32 v4, v16, v3
	v_fma_f32 v3, v16, v3, -v4
	v_fmac_f32_e32 v3, v16, v2
	v_add_f32_e32 v2, v4, v3
	v_cmp_class_f32_e64 vcc, v4, s19
	v_sub_f32_e32 v5, v2, v4
	v_sub_f32_e32 v3, v3, v5
	v_cndmask_b32_e32 v2, v2, v4, vcc
	v_mov_b32_e32 v4, 0x37000000
	v_cmp_eq_f32_e32 vcc, s1, v2
	s_nop 1
	v_cndmask_b32_e32 v4, 0, v4, vcc
	v_sub_f32_e32 v5, v2, v4
	v_mul_f32_e32 v6, 0x3fb8aa3b, v5
	v_fma_f32 v7, v5, s4, -v6
	v_rndne_f32_e32 v8, v6
	v_fmamk_f32 v7, v5, 0x32a5705f, v7
	v_sub_f32_e32 v6, v6, v8
	v_add_f32_e32 v6, v6, v7
	v_exp_f32_e32 v6, v6
	v_cvt_i32_f32_e32 v7, v8
	v_cmp_neq_f32_e64 vcc, |v2|, s0
	s_mov_b32 s0, 0xc2ce8ed0
	v_cmp_neq_f32_e64 s[4:5], v16, |v16|
	v_cndmask_b32_e32 v2, 0, v3, vcc
	v_ldexp_f32 v3, v6, v7
	v_cmp_ngt_f32_e32 vcc, s0, v5
	v_add_f32_e32 v2, v4, v2
	v_mov_b32_e32 v4, 0x7f800000
	v_cndmask_b32_e32 v3, 0, v3, vcc
	v_cmp_nlt_f32_e32 vcc, s1, v5
	v_mov_b32_e32 v5, 0x7fc00000
	s_xor_b64 s[4:5], s[4:5], s[22:23]
	v_cndmask_b32_e32 v3, v4, v3, vcc
	v_fma_f32 v2, v3, v2, v3
	v_cmp_class_f32_e64 vcc, v3, s19
	v_cmp_class_f32_e64 s[22:23], v17, s19
	s_nop 0
	v_cndmask_b32_e32 v2, v2, v3, vcc
	v_trunc_f32_e32 v3, v16
	v_cmp_eq_f32_e32 vcc, v3, v16
	v_mul_f32_e32 v3, 0.5, v16
	v_trunc_f32_e32 v6, v3
	v_cmp_neq_f32_e64 s[0:1], v6, v3
	s_and_b64 s[0:1], vcc, s[0:1]
	s_nop 0
	v_cndmask_b32_e64 v3, 1.0, v17, s[0:1]
	v_bfi_b32 v2, s21, v2, v3
	v_cndmask_b32_e32 v3, v5, v2, vcc
	v_cmp_gt_f32_e32 vcc, 0, v17
	s_nop 1
	v_cndmask_b32_e32 v2, v2, v3, vcc
	v_cndmask_b32_e64 v3, v4, 0, s[4:5]
	v_cmp_neq_f32_e64 vcc, |v17|, 1.0
	v_cmp_gt_f32_e64 s[4:5], 0, v16
	s_nop 0
	v_cndmask_b32_e32 v3, 1.0, v3, vcc
	v_cmp_class_f32_e64 vcc, v16, s19
	s_nop 1
	v_cndmask_b32_e32 v2, v2, v3, vcc
	v_cmp_eq_f32_e32 vcc, 0, v17
	s_xor_b64 s[4:5], s[4:5], vcc
	v_cndmask_b32_e64 v3, v4, 0, s[4:5]
	v_cndmask_b32_e64 v4, 0, v17, s[0:1]
	v_bfi_b32 v3, s21, v3, v4
	s_or_b64 vcc, vcc, s[22:23]
	v_cndmask_b32_e32 v2, v2, v3, vcc
	v_cmp_o_f32_e32 vcc, v17, v16
	v_mov_b32_e32 v3, 0
	s_nop 0
	v_cndmask_b32_e32 v2, v5, v2, vcc
	ds_write_b32 v3, v2
.LBB259_20:
	s_or_b64 exec, exec, s[6:7]
	v_mov_b32_e32 v2, 0
	s_waitcnt lgkmcnt(0)
	s_barrier
	ds_read_b32 v2, v2
	s_waitcnt lgkmcnt(0)
	v_cmp_nlt_f32_e32 vcc, s18, v2
	s_cbranch_vccnz .LBB259_25
; %bb.21:
	s_and_saveexec_b64 s[0:1], s[2:3]
	s_cbranch_execz .LBB259_24
; %bb.22:
	s_mov_b32 s2, 0x9abcaf48
	v_cvt_f64_f32_e32 v[2:3], v2
	s_mov_b32 s3, 0x3e7ad7f2
	v_cvt_f64_f32_e32 v[4:5], s18
	v_add_f64 v[2:3], v[2:3], s[2:3]
	v_div_scale_f64 v[6:7], s[2:3], v[2:3], v[2:3], v[4:5]
	v_rcp_f64_e32 v[8:9], v[6:7]
	s_and_b32 s6, 0xffff, s20
	s_lshl_b64 s[2:3], s[12:13], 2
	s_add_u32 s2, s16, s2
	v_fma_f64 v[10:11], -v[6:7], v[8:9], 1.0
	v_fmac_f64_e32 v[8:9], v[8:9], v[10:11]
	v_fma_f64 v[10:11], -v[6:7], v[8:9], 1.0
	v_fmac_f64_e32 v[8:9], v[8:9], v[10:11]
	v_div_scale_f64 v[10:11], vcc, v[4:5], v[2:3], v[4:5]
	v_mul_f64 v[12:13], v[10:11], v[8:9]
	v_fma_f64 v[6:7], -v[6:7], v[12:13], v[10:11]
	s_addc_u32 s3, s17, s3
	s_nop 0
	v_div_fmas_f64 v[6:7], v[6:7], v[8:9], v[12:13]
	v_div_fixup_f64 v[2:3], v[6:7], v[2:3], v[4:5]
	v_cvt_f32_f64_e32 v4, v[2:3]
	v_add_u32_e32 v2, s6, v0
	s_mov_b64 s[4:5], 0
.LBB259_23:                             ; =>This Inner Loop Header: Depth=1
	v_mul_lo_u32 v3, v1, s14
	v_mul_lo_u32 v5, v0, s15
	v_mad_u64_u32 v[0:1], s[12:13], v0, s14, 0
	v_add3_u32 v1, v1, v5, v3
	v_lshl_add_u64 v[6:7], v[0:1], 2, s[2:3]
	global_load_dword v5, v[6:7], off
	v_ashrrev_i32_e32 v3, 31, v2
	v_cmp_le_i64_e32 vcc, s[8:9], v[2:3]
	v_mov_b64_e32 v[0:1], v[2:3]
	v_add_u32_e32 v2, s6, v2
	s_or_b64 s[4:5], vcc, s[4:5]
	s_waitcnt vmcnt(0)
	v_mul_f32_e32 v3, v5, v4
	global_store_dword v[6:7], v3, off
	s_andn2_b64 exec, exec, s[4:5]
	s_cbranch_execnz .LBB259_23
.LBB259_24:
	s_or_b64 exec, exec, s[0:1]
.LBB259_25:
	s_and_b64 vcc, exec, s[10:11]
	s_cbranch_vccnz .LBB259_30
.LBB259_26:
	s_endpgm
.LBB259_27:
	v_lshl_add_u32 v8, v9, 2, 0
	ds_read_b32 v8, v8
	s_or_b64 exec, exec, s[0:1]
	v_cmp_gt_u32_e32 vcc, 64, v0
	s_and_saveexec_b64 s[0:1], vcc
	s_cbranch_execz .LBB259_18
.LBB259_28:
	s_waitcnt lgkmcnt(0)
	ds_bpermute_b32 v2, v2, v8
	s_waitcnt lgkmcnt(0)
	v_add_f32_e32 v2, v8, v2
	ds_bpermute_b32 v3, v3, v2
	s_waitcnt lgkmcnt(0)
	v_add_f32_e32 v2, v2, v3
	;; [unrolled: 3-line block ×6, first 2 shown]
	s_or_b64 exec, exec, s[0:1]
	v_cmp_eq_u32_e32 vcc, 0, v0
	s_and_saveexec_b64 s[6:7], vcc
	s_cbranch_execnz .LBB259_19
	s_branch .LBB259_20
.LBB259_29:
	s_cbranch_execz .LBB259_26
.LBB259_30:
	s_trap 2
	; divergent unreachable
	s_endpgm
	.section	.rodata,"a",@progbits
	.p2align	6, 0x0
	.amdhsa_kernel _ZN2at6native12_GLOBAL__N_113renorm_kernelIffKlEEvPT_PT1_T0_S8_llllPS3_
		.amdhsa_group_segment_fixed_size 0
		.amdhsa_private_segment_fixed_size 0
		.amdhsa_kernarg_size 320
		.amdhsa_user_sgpr_count 2
		.amdhsa_user_sgpr_dispatch_ptr 0
		.amdhsa_user_sgpr_queue_ptr 0
		.amdhsa_user_sgpr_kernarg_segment_ptr 1
		.amdhsa_user_sgpr_dispatch_id 0
		.amdhsa_user_sgpr_kernarg_preload_length 0
		.amdhsa_user_sgpr_kernarg_preload_offset 0
		.amdhsa_user_sgpr_private_segment_size 0
		.amdhsa_uses_dynamic_stack 0
		.amdhsa_enable_private_segment 0
		.amdhsa_system_sgpr_workgroup_id_x 1
		.amdhsa_system_sgpr_workgroup_id_y 0
		.amdhsa_system_sgpr_workgroup_id_z 0
		.amdhsa_system_sgpr_workgroup_info 0
		.amdhsa_system_vgpr_workitem_id 0
		.amdhsa_next_free_vgpr 25
		.amdhsa_next_free_sgpr 42
		.amdhsa_accum_offset 28
		.amdhsa_reserve_vcc 1
		.amdhsa_float_round_mode_32 0
		.amdhsa_float_round_mode_16_64 0
		.amdhsa_float_denorm_mode_32 3
		.amdhsa_float_denorm_mode_16_64 3
		.amdhsa_dx10_clamp 1
		.amdhsa_ieee_mode 1
		.amdhsa_fp16_overflow 0
		.amdhsa_tg_split 0
		.amdhsa_exception_fp_ieee_invalid_op 0
		.amdhsa_exception_fp_denorm_src 0
		.amdhsa_exception_fp_ieee_div_zero 0
		.amdhsa_exception_fp_ieee_overflow 0
		.amdhsa_exception_fp_ieee_underflow 0
		.amdhsa_exception_fp_ieee_inexact 0
		.amdhsa_exception_int_div_zero 0
	.end_amdhsa_kernel
	.section	.text._ZN2at6native12_GLOBAL__N_113renorm_kernelIffKlEEvPT_PT1_T0_S8_llllPS3_,"axG",@progbits,_ZN2at6native12_GLOBAL__N_113renorm_kernelIffKlEEvPT_PT1_T0_S8_llllPS3_,comdat
.Lfunc_end259:
	.size	_ZN2at6native12_GLOBAL__N_113renorm_kernelIffKlEEvPT_PT1_T0_S8_llllPS3_, .Lfunc_end259-_ZN2at6native12_GLOBAL__N_113renorm_kernelIffKlEEvPT_PT1_T0_S8_llllPS3_
                                        ; -- End function
	.set _ZN2at6native12_GLOBAL__N_113renorm_kernelIffKlEEvPT_PT1_T0_S8_llllPS3_.num_vgpr, 25
	.set _ZN2at6native12_GLOBAL__N_113renorm_kernelIffKlEEvPT_PT1_T0_S8_llllPS3_.num_agpr, 0
	.set _ZN2at6native12_GLOBAL__N_113renorm_kernelIffKlEEvPT_PT1_T0_S8_llllPS3_.numbered_sgpr, 42
	.set _ZN2at6native12_GLOBAL__N_113renorm_kernelIffKlEEvPT_PT1_T0_S8_llllPS3_.num_named_barrier, 0
	.set _ZN2at6native12_GLOBAL__N_113renorm_kernelIffKlEEvPT_PT1_T0_S8_llllPS3_.private_seg_size, 0
	.set _ZN2at6native12_GLOBAL__N_113renorm_kernelIffKlEEvPT_PT1_T0_S8_llllPS3_.uses_vcc, 1
	.set _ZN2at6native12_GLOBAL__N_113renorm_kernelIffKlEEvPT_PT1_T0_S8_llllPS3_.uses_flat_scratch, 0
	.set _ZN2at6native12_GLOBAL__N_113renorm_kernelIffKlEEvPT_PT1_T0_S8_llllPS3_.has_dyn_sized_stack, 0
	.set _ZN2at6native12_GLOBAL__N_113renorm_kernelIffKlEEvPT_PT1_T0_S8_llllPS3_.has_recursion, 0
	.set _ZN2at6native12_GLOBAL__N_113renorm_kernelIffKlEEvPT_PT1_T0_S8_llllPS3_.has_indirect_call, 0
	.section	.AMDGPU.csdata,"",@progbits
; Kernel info:
; codeLenInByte = 3468
; TotalNumSgprs: 48
; NumVgprs: 25
; NumAgprs: 0
; TotalNumVgprs: 25
; ScratchSize: 0
; MemoryBound: 0
; FloatMode: 240
; IeeeMode: 1
; LDSByteSize: 0 bytes/workgroup (compile time only)
; SGPRBlocks: 5
; VGPRBlocks: 3
; NumSGPRsForWavesPerEU: 48
; NumVGPRsForWavesPerEU: 25
; AccumOffset: 28
; Occupancy: 8
; WaveLimiterHint : 1
; COMPUTE_PGM_RSRC2:SCRATCH_EN: 0
; COMPUTE_PGM_RSRC2:USER_SGPR: 2
; COMPUTE_PGM_RSRC2:TRAP_HANDLER: 0
; COMPUTE_PGM_RSRC2:TGID_X_EN: 1
; COMPUTE_PGM_RSRC2:TGID_Y_EN: 0
; COMPUTE_PGM_RSRC2:TGID_Z_EN: 0
; COMPUTE_PGM_RSRC2:TIDIG_COMP_CNT: 0
; COMPUTE_PGM_RSRC3_GFX90A:ACCUM_OFFSET: 6
; COMPUTE_PGM_RSRC3_GFX90A:TG_SPLIT: 0
	.section	.text._ZN2at6native12_GLOBAL__N_113renorm_kernelIN3c104HalfEfKlEEvPT_PT1_T0_SA_llllPS5_,"axG",@progbits,_ZN2at6native12_GLOBAL__N_113renorm_kernelIN3c104HalfEfKlEEvPT_PT1_T0_SA_llllPS5_,comdat
	.globl	_ZN2at6native12_GLOBAL__N_113renorm_kernelIN3c104HalfEfKlEEvPT_PT1_T0_SA_llllPS5_ ; -- Begin function _ZN2at6native12_GLOBAL__N_113renorm_kernelIN3c104HalfEfKlEEvPT_PT1_T0_SA_llllPS5_
	.p2align	8
	.type	_ZN2at6native12_GLOBAL__N_113renorm_kernelIN3c104HalfEfKlEEvPT_PT1_T0_SA_llllPS5_,@function
_ZN2at6native12_GLOBAL__N_113renorm_kernelIN3c104HalfEfKlEEvPT_PT1_T0_SA_llllPS5_: ; @_ZN2at6native12_GLOBAL__N_113renorm_kernelIN3c104HalfEfKlEEvPT_PT1_T0_SA_llllPS5_
; %bb.0:
	s_load_dwordx2 s[4:5], s[0:1], 0x38
	s_mov_b32 s3, 0
	v_mov_b64_e32 v[2:3], s[2:3]
	s_waitcnt lgkmcnt(0)
	s_load_dwordx2 s[4:5], s[4:5], 0x0
	s_waitcnt lgkmcnt(0)
	v_cmp_le_i64_e32 vcc, s[4:5], v[2:3]
	s_cbranch_vccnz .LBB260_26
; %bb.1:
	s_load_dwordx4 s[16:19], s[0:1], 0x0
	s_lshl_b64 s[2:3], s[2:3], 3
	s_waitcnt lgkmcnt(0)
	s_add_u32 s2, s18, s2
	s_addc_u32 s3, s19, s3
	s_load_dwordx2 s[2:3], s[2:3], 0x0
	s_waitcnt lgkmcnt(0)
	v_cmp_lt_i64_e64 s[4:5], s[2:3], 0
	s_and_b64 vcc, exec, s[4:5]
	s_cbranch_vccnz .LBB260_29
; %bb.2:
	s_load_dwordx8 s[8:15], s[0:1], 0x18
	s_getpc_b64 s[4:5]
	s_add_u32 s4, s4, .str.4@rel32@lo+4
	s_addc_u32 s5, s5, .str.4@rel32@hi+12
	s_cmp_eq_u64 s[4:5], 0
	s_cselect_b64 s[4:5], -1, 0
	s_waitcnt lgkmcnt(0)
	v_mov_b32_e32 v2, s10
	v_mov_b32_e32 v3, s11
	v_cmp_ge_i64_e32 vcc, s[2:3], v[2:3]
	s_or_b64 s[10:11], vcc, s[4:5]
	s_andn2_b64 vcc, exec, s[10:11]
	s_cbranch_vccz .LBB260_25
; %bb.3:
	s_load_dwordx2 s[18:19], s[0:1], 0x10
	s_mul_i32 s4, s2, s13
	s_mul_hi_u32 s5, s2, s12
	s_add_i32 s4, s5, s4
	s_mul_i32 s3, s3, s12
	v_mov_b32_e32 v1, 0
	s_add_i32 s13, s4, s3
	s_mul_i32 s12, s2, s12
	v_cmp_gt_i64_e64 s[2:3], s[8:9], v[0:1]
	v_mov_b32_e32 v6, v1
	s_and_saveexec_b64 s[20:21], s[2:3]
	s_cbranch_execz .LBB260_13
; %bb.4:
	s_load_dword s6, s[0:1], 0x4c
	s_lshl_b64 s[4:5], s[12:13], 1
	s_add_u32 s22, s16, s4
	s_addc_u32 s23, s17, s5
	s_waitcnt lgkmcnt(0)
	v_cmp_neq_f32_e64 s[24:25], s19, 1.0
	s_and_b32 s30, s6, 0xffff
	v_cmp_neq_f32_e64 s[26:27], s19, 2.0
	v_add_u32_e32 v2, s30, v0
	v_mov_b32_e32 v6, 0
	s_mov_b64 s[28:29], 0
	s_brev_b32 s31, -2
	s_mov_b32 s33, 0x3f2aaaab
	v_mov_b32_e32 v7, 0x3e91f4c4
	s_mov_b32 s34, 0x3f317218
	s_movk_i32 s35, 0x204
	s_mov_b32 s36, 0x7f800000
	s_mov_b32 s37, 0x42b17218
	;; [unrolled: 1-line block ×4, first 2 shown]
	v_mov_b32_e32 v8, 0x37000000
	v_mov_b32_e32 v9, 0x7f800000
	;; [unrolled: 1-line block ×3, first 2 shown]
	v_mov_b64_e32 v[4:5], v[0:1]
                                        ; implicit-def: $vgpr3
	s_branch .LBB260_7
.LBB260_5:                              ;   in Loop: Header=BB260_7 Depth=1
	v_and_b32_e32 v4, 0x7fffffff, v3
.LBB260_6:                              ;   in Loop: Header=BB260_7 Depth=1
	v_ashrrev_i32_e32 v3, 31, v2
	v_cmp_le_i64_e32 vcc, s[8:9], v[2:3]
	v_add_f32_e32 v6, v6, v4
	v_mov_b64_e32 v[4:5], v[2:3]
	s_or_b64 s[28:29], vcc, s[28:29]
	v_add_u32_e32 v2, s30, v2
	s_andn2_b64 exec, exec, s[28:29]
	s_cbranch_execz .LBB260_12
.LBB260_7:                              ; =>This Inner Loop Header: Depth=1
	v_mul_lo_u32 v3, v5, s14
	v_mul_lo_u32 v11, v4, s15
	v_mad_u64_u32 v[4:5], s[4:5], v4, s14, 0
	v_add3_u32 v5, v5, v11, v3
	v_lshl_add_u64 v[4:5], v[4:5], 1, s[22:23]
	global_load_ushort v4, v[4:5], off
	s_and_b64 vcc, exec, s[24:25]
	s_waitcnt vmcnt(0)
	v_cvt_f32_f16_e32 v3, v4
	s_cbranch_vccz .LBB260_5
; %bb.8:                                ;   in Loop: Header=BB260_7 Depth=1
	s_and_b64 vcc, exec, s[26:27]
	s_cbranch_vccz .LBB260_10
; %bb.9:                                ;   in Loop: Header=BB260_7 Depth=1
	v_mov_b32_e32 v5, s19
	v_cmp_neq_f16_e32 vcc, 1.0, v4
	s_nop 1
	v_cndmask_b32_e32 v11, 1.0, v5, vcc
	v_cmp_neq_f32_e32 vcc, 0, v11
	v_cmp_neq_f32_e64 s[6:7], v11, |v11|
	s_nop 0
	v_cndmask_b32_e32 v24, 1.0, v3, vcc
	v_frexp_mant_f32_e64 v4, |v24|
	v_cmp_gt_f32_e32 vcc, s33, v4
	v_cmp_lt_f32_e64 s[40:41], |v24|, 1.0
	s_xor_b64 s[6:7], s[6:7], s[40:41]
	v_cndmask_b32_e64 v5, 1.0, 2.0, vcc
	v_mul_f32_e32 v4, v4, v5
	v_add_f32_e32 v13, 1.0, v4
	v_rcp_f32_e32 v18, v13
	v_add_f32_e32 v5, -1.0, v13
	v_sub_f32_e32 v15, v4, v5
	v_add_f32_e32 v5, -1.0, v4
	v_mul_f32_e32 v19, v5, v18
	v_mul_f32_e32 v12, v13, v19
	v_fma_f32 v14, v19, v13, -v12
	v_fmac_f32_e32 v14, v19, v15
	v_add_f32_e32 v4, v12, v14
	v_sub_f32_e32 v13, v5, v4
	v_pk_add_f32 v[16:17], v[4:5], v[12:13] neg_lo:[0,1] neg_hi:[0,1]
	v_mov_b32_e32 v15, v4
	v_pk_add_f32 v[4:5], v[16:17], v[14:15] neg_lo:[0,1] neg_hi:[0,1]
	v_cmp_class_f32_e64 s[40:41], v24, s35
	v_add_f32_e32 v4, v4, v5
	v_add_f32_e32 v4, v13, v4
	v_mul_f32_e32 v5, v18, v4
	v_add_f32_e32 v4, v19, v5
	v_sub_f32_e32 v12, v4, v19
	v_sub_f32_e32 v20, v5, v12
	v_mul_f32_e32 v5, v4, v4
	v_fma_f32 v13, v4, v4, -v5
	v_add_f32_e32 v12, v20, v20
	v_fmac_f32_e32 v13, v4, v12
	v_add_f32_e32 v12, v5, v13
	v_fmamk_f32 v14, v12, 0x3e76c4e1, v7
	v_fmaak_f32 v14, v12, v14, 0x3ecccdef
	v_sub_f32_e32 v5, v12, v5
	v_sub_f32_e32 v21, v13, v5
	v_mul_f32_e32 v5, v12, v14
	v_fma_f32 v13, v12, v14, -v5
	v_fmac_f32_e32 v13, v21, v14
	v_add_f32_e32 v14, v5, v13
	v_add_f32_e32 v15, 0x3f2aaaaa, v14
	v_sub_f32_e32 v5, v14, v5
	v_sub_f32_e32 v5, v13, v5
	v_add_f32_e32 v13, 0xbf2aaaaa, v15
	v_add_f32_e32 v5, 0x31739010, v5
	v_sub_f32_e32 v13, v14, v13
	v_pk_mul_f32 v[16:17], v[4:5], v[12:13]
	v_pk_add_f32 v[18:19], v[4:5], v[12:13]
	v_fma_f32 v14, v12, v4, -v16
	v_fmac_f32_e32 v14, v12, v20
	v_mov_b32_e32 v17, v19
	v_fmac_f32_e32 v14, v21, v4
	v_pk_add_f32 v[12:13], v[16:17], v[14:15]
	v_ldexp_f32 v22, v20, 1
	v_sub_f32_e32 v5, v12, v16
	v_sub_f32_e32 v5, v14, v5
	;; [unrolled: 1-line block ×3, first 2 shown]
	v_add_f32_e32 v18, v19, v14
	v_pk_mul_f32 v[14:15], v[12:13], v[12:13] op_sel:[0,1] op_sel_hi:[1,0]
	v_cvt_f64_f32_e64 v[16:17], |v24|
	v_frexp_exp_i32_f64_e32 v15, v[16:17]
	v_subbrev_co_u32_e32 v15, vcc, 0, v15, vcc
	v_cvt_f32_i32_e32 v15, v15
	v_fma_f32 v16, v12, v13, -v14
	v_fmac_f32_e32 v16, v12, v18
	v_fmac_f32_e32 v16, v5, v13
	v_mul_f32_e32 v12, 0x3f317218, v15
	v_fma_f32 v18, v15, s34, -v12
	v_fmac_f32_e32 v18, 0xb102e308, v15
	v_ldexp_f32 v19, v4, 1
	v_add_f32_e32 v13, v14, v16
	v_pk_add_f32 v[4:5], v[12:13], v[18:19]
	v_mov_b32_e32 v20, v13
	v_mov_b32_e32 v21, v5
	;; [unrolled: 1-line block ×3, first 2 shown]
	v_pk_add_f32 v[14:15], v[20:21], v[14:15] neg_lo:[0,1] neg_hi:[0,1]
	v_mov_b32_e32 v17, v13
	v_pk_add_f32 v[14:15], v[16:17], v[14:15] neg_lo:[0,1] neg_hi:[0,1]
	v_mov_b32_e32 v19, v4
	v_add_f32_e32 v13, v22, v14
	v_add_f32_e32 v13, v13, v15
	v_pk_add_f32 v[14:15], v[4:5], v[12:13] neg_lo:[0,1] neg_hi:[0,1]
	v_pk_add_f32 v[16:17], v[4:5], v[12:13]
	v_mov_b32_e32 v12, v13
	v_mov_b32_e32 v15, v17
	v_pk_add_f32 v[20:21], v[18:19], v[14:15] neg_lo:[0,1] neg_hi:[0,1]
	v_pk_add_f32 v[14:15], v[18:19], v[14:15]
	v_mov_b32_e32 v13, v4
	v_pk_add_f32 v[18:19], v[14:15], v[4:5] op_sel:[1,0] op_sel_hi:[0,1] neg_lo:[0,1] neg_hi:[0,1]
	v_pk_add_f32 v[22:23], v[16:17], v[18:19] op_sel_hi:[1,0] neg_lo:[0,1] neg_hi:[0,1]
	v_mov_b32_e32 v16, v17
	v_mov_b32_e32 v17, v15
	v_pk_mov_b32 v[18:19], v[4:5], v[18:19] op_sel:[1,0]
	v_mov_b32_e32 v22, v20
	v_pk_add_f32 v[16:17], v[16:17], v[18:19] neg_lo:[0,1] neg_hi:[0,1]
	v_mov_b32_e32 v21, v15
	v_pk_add_f32 v[4:5], v[12:13], v[16:17] neg_lo:[0,1] neg_hi:[0,1]
	s_nop 0
	v_pk_add_f32 v[12:13], v[22:23], v[4:5]
	s_nop 0
	v_pk_add_f32 v[16:17], v[12:13], v[12:13] op_sel:[0,1] op_sel_hi:[1,0]
	s_nop 0
	v_pk_add_f32 v[14:15], v[14:15], v[16:17] op_sel:[1,0] op_sel_hi:[0,1]
	v_mov_b32_e32 v13, v14
	v_pk_add_f32 v[18:19], v[12:13], v[20:21] neg_lo:[0,1] neg_hi:[0,1]
	v_mov_b32_e32 v5, v16
	v_sub_f32_e32 v12, v12, v18
	v_pk_add_f32 v[4:5], v[4:5], v[18:19] neg_lo:[0,1] neg_hi:[0,1]
	v_sub_f32_e32 v12, v20, v12
	v_add_f32_e32 v4, v4, v12
	v_add_f32_e32 v4, v4, v5
	;; [unrolled: 1-line block ×3, first 2 shown]
	v_sub_f32_e32 v12, v5, v14
	v_sub_f32_e32 v4, v4, v12
	v_mul_f32_e32 v12, v11, v5
	v_fma_f32 v5, v11, v5, -v12
	v_fmac_f32_e32 v5, v11, v4
	v_add_f32_e32 v4, v12, v5
	v_cmp_class_f32_e64 vcc, v12, s35
	v_sub_f32_e32 v13, v4, v12
	v_sub_f32_e32 v5, v5, v13
	v_cndmask_b32_e32 v4, v4, v12, vcc
	v_cmp_eq_f32_e32 vcc, s37, v4
	s_nop 1
	v_cndmask_b32_e32 v12, 0, v8, vcc
	v_sub_f32_e32 v13, v4, v12
	v_mul_f32_e32 v14, 0x3fb8aa3b, v13
	v_fma_f32 v15, v13, s38, -v14
	v_rndne_f32_e32 v16, v14
	v_fmac_f32_e32 v15, 0x32a5705f, v13
	v_sub_f32_e32 v14, v14, v16
	v_add_f32_e32 v14, v14, v15
	v_exp_f32_e32 v14, v14
	v_cvt_i32_f32_e32 v15, v16
	v_cmp_neq_f32_e64 vcc, |v4|, s36
	s_nop 1
	v_cndmask_b32_e32 v4, 0, v5, vcc
	v_ldexp_f32 v5, v14, v15
	v_cmp_ngt_f32_e32 vcc, s39, v13
	v_add_f32_e32 v4, v12, v4
	s_nop 0
	v_cndmask_b32_e32 v5, 0, v5, vcc
	v_cmp_nlt_f32_e32 vcc, s37, v13
	s_nop 1
	v_cndmask_b32_e32 v5, v9, v5, vcc
	v_fma_f32 v4, v5, v4, v5
	v_cmp_class_f32_e64 vcc, v5, s35
	s_nop 1
	v_cndmask_b32_e32 v4, v4, v5, vcc
	v_trunc_f32_e32 v5, v11
	v_cmp_eq_f32_e32 vcc, v5, v11
	v_mul_f32_e32 v5, 0.5, v11
	v_trunc_f32_e32 v12, v5
	v_cmp_neq_f32_e64 s[4:5], v12, v5
	s_and_b64 s[4:5], vcc, s[4:5]
	s_nop 0
	v_cndmask_b32_e64 v5, 1.0, v24, s[4:5]
	v_bfi_b32 v4, s31, v4, v5
	v_cndmask_b32_e32 v5, v10, v4, vcc
	v_cmp_gt_f32_e32 vcc, 0, v24
	v_cndmask_b32_e64 v12, 0, v24, s[4:5]
	s_nop 0
	v_cndmask_b32_e32 v4, v4, v5, vcc
	v_cndmask_b32_e64 v5, v9, 0, s[6:7]
	v_cmp_neq_f32_e64 vcc, |v24|, 1.0
	v_cmp_gt_f32_e64 s[6:7], 0, v11
	s_nop 0
	v_cndmask_b32_e32 v5, 1.0, v5, vcc
	v_cmp_class_f32_e64 vcc, v11, s35
	s_nop 1
	v_cndmask_b32_e32 v4, v4, v5, vcc
	v_cmp_eq_f32_e32 vcc, 0, v24
	s_xor_b64 s[6:7], s[6:7], vcc
	v_cndmask_b32_e64 v5, v9, 0, s[6:7]
	v_bfi_b32 v5, s31, v5, v12
	s_or_b64 vcc, vcc, s[40:41]
	v_cndmask_b32_e32 v4, v4, v5, vcc
	v_cmp_o_f32_e32 vcc, v24, v11
	s_nop 1
	v_cndmask_b32_e32 v4, v10, v4, vcc
	s_cbranch_execnz .LBB260_6
	s_branch .LBB260_11
.LBB260_10:                             ;   in Loop: Header=BB260_7 Depth=1
                                        ; implicit-def: $vgpr4
.LBB260_11:                             ;   in Loop: Header=BB260_7 Depth=1
	v_mul_f32_e32 v4, v3, v3
	s_branch .LBB260_6
.LBB260_12:
	s_or_b64 exec, exec, s[28:29]
.LBB260_13:
	s_or_b64 exec, exec, s[20:21]
; %bb.14:
	v_mbcnt_lo_u32_b32 v2, -1, 0
	v_mbcnt_hi_u32_b32 v7, -1, v2
	v_mov_b32_e32 v2, 0x80
	v_lshl_or_b32 v2, v7, 2, v2
	ds_bpermute_b32 v3, v2, v6
	v_and_b32_e32 v8, 63, v7
	v_cmp_gt_u32_e32 vcc, 48, v8
	s_waitcnt lgkmcnt(0)
	s_barrier
	v_cndmask_b32_e64 v4, 0, 16, vcc
	v_add_f32_e32 v5, v6, v3
	v_add_lshl_u32 v3, v4, v7, 2
	ds_bpermute_b32 v6, v3, v5
	v_cmp_gt_u32_e32 vcc, 56, v8
	s_waitcnt lgkmcnt(0)
	v_add_f32_e32 v6, v5, v6
	v_cndmask_b32_e64 v4, 0, 8, vcc
	v_add_lshl_u32 v4, v4, v7, 2
	ds_bpermute_b32 v9, v4, v6
	v_cmp_gt_u32_e32 vcc, 60, v8
	s_waitcnt lgkmcnt(0)
	v_add_f32_e32 v9, v6, v9
	v_cndmask_b32_e64 v5, 0, 4, vcc
	;; [unrolled: 6-line block ×3, first 2 shown]
	v_add_lshl_u32 v6, v6, v7, 2
	ds_bpermute_b32 v11, v6, v10
	v_cmp_ne_u32_e32 vcc, 63, v8
	v_and_b32_e32 v9, 63, v0
	s_waitcnt lgkmcnt(0)
	v_add_f32_e32 v8, v10, v11
	v_addc_co_u32_e32 v7, vcc, 0, v7, vcc
	v_lshlrev_b32_e32 v7, 2, v7
	ds_bpermute_b32 v10, v7, v8
	v_cmp_eq_u32_e32 vcc, 0, v9
	s_and_saveexec_b64 s[4:5], vcc
	s_cbranch_execz .LBB260_16
; %bb.15:
	s_waitcnt lgkmcnt(0)
	v_add_f32_e32 v8, v8, v10
	v_lshrrev_b32_e32 v10, 4, v0
	v_add_u32_e32 v10, 0, v10
	ds_write_b32 v10, v8
.LBB260_16:
	s_or_b64 exec, exec, s[4:5]
	s_waitcnt lgkmcnt(0)
	s_barrier
	s_load_dword s20, s[0:1], 0x4c
	v_mov_b32_e32 v8, 0
	s_waitcnt lgkmcnt(0)
	s_bfe_u32 s0, s20, 0xa0006
	v_cmp_gt_u32_e32 vcc, s0, v0
	s_and_saveexec_b64 s[0:1], vcc
	s_cbranch_execnz .LBB260_27
; %bb.17:
	s_or_b64 exec, exec, s[0:1]
	v_cmp_gt_u32_e32 vcc, 64, v0
	s_and_saveexec_b64 s[0:1], vcc
	s_cbranch_execnz .LBB260_28
.LBB260_18:
	s_or_b64 exec, exec, s[0:1]
	v_cmp_eq_u32_e32 vcc, 0, v0
	s_and_saveexec_b64 s[6:7], vcc
	s_cbranch_execz .LBB260_20
.LBB260_19:
	v_div_scale_f32 v2, s[0:1], s19, s19, 1.0
	v_rcp_f32_e32 v3, v2
	v_div_scale_f32 v4, vcc, 1.0, s19, 1.0
	s_mov_b32 s0, 0x3f2aaaab
	v_fma_f32 v5, -v2, v3, 1.0
	v_fmac_f32_e32 v3, v5, v3
	v_mul_f32_e32 v5, v4, v3
	v_fma_f32 v6, -v2, v5, v4
	v_fmac_f32_e32 v5, v6, v3
	v_fma_f32 v2, -v2, v5, v4
	v_div_fmas_f32 v2, v2, v3, v5
	v_div_fixup_f32 v2, v2, s19, 1.0
	s_waitcnt lgkmcnt(0)
	v_cmp_neq_f32_e32 vcc, 1.0, v8
	s_movk_i32 s19, 0x204
	s_mov_b32 s1, 0x42b17218
	v_cndmask_b32_e32 v16, 1.0, v2, vcc
	v_cmp_neq_f32_e32 vcc, 0, v16
	s_mov_b32 s4, 0x3fb8aa3b
	s_brev_b32 s21, -2
	v_cndmask_b32_e32 v17, 1.0, v8, vcc
	v_frexp_mant_f32_e64 v2, |v17|
	v_cmp_gt_f32_e32 vcc, s0, v2
	s_mov_b32 s0, 0x3f317218
	v_cmp_lt_f32_e64 s[22:23], |v17|, 1.0
	v_cndmask_b32_e64 v3, 1.0, 2.0, vcc
	v_mul_f32_e32 v2, v2, v3
	v_add_f32_e32 v5, 1.0, v2
	v_rcp_f32_e32 v10, v5
	v_add_f32_e32 v3, -1.0, v5
	v_sub_f32_e32 v7, v2, v3
	v_add_f32_e32 v3, -1.0, v2
	v_mul_f32_e32 v11, v3, v10
	v_mul_f32_e32 v4, v5, v11
	v_fma_f32 v6, v11, v5, -v4
	v_fmac_f32_e32 v6, v11, v7
	v_add_f32_e32 v2, v4, v6
	v_sub_f32_e32 v5, v3, v2
	v_pk_add_f32 v[8:9], v[2:3], v[4:5] neg_lo:[0,1] neg_hi:[0,1]
	v_mov_b32_e32 v7, v2
	v_pk_add_f32 v[2:3], v[8:9], v[6:7] neg_lo:[0,1] neg_hi:[0,1]
	v_mov_b32_e32 v6, 0x3e91f4c4
	v_add_f32_e32 v2, v2, v3
	v_add_f32_e32 v2, v5, v2
	v_mul_f32_e32 v3, v10, v2
	v_add_f32_e32 v2, v11, v3
	v_sub_f32_e32 v4, v2, v11
	v_sub_f32_e32 v12, v3, v4
	v_mul_f32_e32 v3, v2, v2
	v_fma_f32 v5, v2, v2, -v3
	v_add_f32_e32 v4, v12, v12
	v_fmac_f32_e32 v5, v2, v4
	v_add_f32_e32 v4, v3, v5
	v_fmac_f32_e32 v6, 0x3e76c4e1, v4
	v_fmaak_f32 v6, v4, v6, 0x3ecccdef
	v_sub_f32_e32 v3, v4, v3
	v_sub_f32_e32 v13, v5, v3
	v_mul_f32_e32 v3, v4, v6
	v_fma_f32 v5, v4, v6, -v3
	v_fmac_f32_e32 v5, v13, v6
	v_add_f32_e32 v6, v3, v5
	v_add_f32_e32 v7, 0x3f2aaaaa, v6
	v_sub_f32_e32 v3, v6, v3
	v_sub_f32_e32 v3, v5, v3
	v_add_f32_e32 v5, 0xbf2aaaaa, v7
	v_add_f32_e32 v3, 0x31739010, v3
	v_sub_f32_e32 v5, v6, v5
	v_pk_mul_f32 v[8:9], v[2:3], v[4:5]
	v_pk_add_f32 v[10:11], v[2:3], v[4:5]
	v_fma_f32 v6, v4, v2, -v8
	v_fmac_f32_e32 v6, v4, v12
	v_mov_b32_e32 v9, v11
	v_fmac_f32_e32 v6, v13, v2
	v_pk_add_f32 v[4:5], v[8:9], v[6:7]
	v_ldexp_f32 v14, v12, 1
	v_sub_f32_e32 v3, v4, v8
	v_sub_f32_e32 v3, v6, v3
	;; [unrolled: 1-line block ×3, first 2 shown]
	v_add_f32_e32 v9, v11, v6
	v_pk_mul_f32 v[6:7], v[4:5], v[4:5] op_sel:[0,1] op_sel_hi:[1,0]
	v_cvt_f64_f32_e64 v[10:11], |v17|
	v_frexp_exp_i32_f64_e32 v7, v[10:11]
	v_subbrev_co_u32_e32 v7, vcc, 0, v7, vcc
	v_cvt_f32_i32_e32 v7, v7
	v_fma_f32 v8, v4, v5, -v6
	v_fmac_f32_e32 v8, v4, v9
	v_fmac_f32_e32 v8, v3, v5
	v_mul_f32_e32 v4, 0x3f317218, v7
	v_fma_f32 v3, v7, s0, -v4
	v_fmamk_f32 v10, v7, 0xb102e308, v3
	v_ldexp_f32 v11, v2, 1
	v_add_f32_e32 v5, v6, v8
	v_pk_add_f32 v[2:3], v[4:5], v[10:11]
	v_mov_b32_e32 v12, v5
	v_mov_b32_e32 v13, v3
	;; [unrolled: 1-line block ×3, first 2 shown]
	v_pk_add_f32 v[6:7], v[12:13], v[6:7] neg_lo:[0,1] neg_hi:[0,1]
	v_mov_b32_e32 v9, v5
	v_pk_add_f32 v[6:7], v[8:9], v[6:7] neg_lo:[0,1] neg_hi:[0,1]
	v_mov_b32_e32 v11, v2
	v_add_f32_e32 v5, v14, v6
	v_add_f32_e32 v5, v5, v7
	v_pk_add_f32 v[6:7], v[2:3], v[4:5] neg_lo:[0,1] neg_hi:[0,1]
	v_pk_add_f32 v[8:9], v[2:3], v[4:5]
	v_mov_b32_e32 v4, v5
	v_mov_b32_e32 v7, v9
	v_pk_add_f32 v[12:13], v[10:11], v[6:7] neg_lo:[0,1] neg_hi:[0,1]
	v_pk_add_f32 v[6:7], v[10:11], v[6:7]
	v_mov_b32_e32 v5, v2
	v_pk_add_f32 v[10:11], v[6:7], v[2:3] op_sel:[1,0] op_sel_hi:[0,1] neg_lo:[0,1] neg_hi:[0,1]
	v_pk_add_f32 v[14:15], v[8:9], v[10:11] op_sel_hi:[1,0] neg_lo:[0,1] neg_hi:[0,1]
	v_mov_b32_e32 v8, v9
	v_mov_b32_e32 v9, v7
	v_pk_mov_b32 v[10:11], v[2:3], v[10:11] op_sel:[1,0]
	v_mov_b32_e32 v14, v12
	v_pk_add_f32 v[8:9], v[8:9], v[10:11] neg_lo:[0,1] neg_hi:[0,1]
	v_mov_b32_e32 v13, v7
	v_pk_add_f32 v[2:3], v[4:5], v[8:9] neg_lo:[0,1] neg_hi:[0,1]
	s_mov_b32 s0, 0x7f800000
	v_pk_add_f32 v[4:5], v[14:15], v[2:3]
	s_nop 0
	v_pk_add_f32 v[8:9], v[4:5], v[4:5] op_sel:[0,1] op_sel_hi:[1,0]
	s_nop 0
	v_pk_add_f32 v[6:7], v[6:7], v[8:9] op_sel:[1,0] op_sel_hi:[0,1]
	v_mov_b32_e32 v5, v6
	v_pk_add_f32 v[10:11], v[4:5], v[12:13] neg_lo:[0,1] neg_hi:[0,1]
	v_mov_b32_e32 v3, v8
	v_sub_f32_e32 v4, v4, v10
	v_pk_add_f32 v[2:3], v[2:3], v[10:11] neg_lo:[0,1] neg_hi:[0,1]
	v_sub_f32_e32 v4, v12, v4
	v_add_f32_e32 v2, v2, v4
	v_add_f32_e32 v2, v2, v3
	;; [unrolled: 1-line block ×3, first 2 shown]
	v_sub_f32_e32 v4, v3, v6
	v_sub_f32_e32 v2, v2, v4
	v_mul_f32_e32 v4, v16, v3
	v_fma_f32 v3, v16, v3, -v4
	v_fmac_f32_e32 v3, v16, v2
	v_add_f32_e32 v2, v4, v3
	v_cmp_class_f32_e64 vcc, v4, s19
	v_sub_f32_e32 v5, v2, v4
	v_sub_f32_e32 v3, v3, v5
	v_cndmask_b32_e32 v2, v2, v4, vcc
	v_mov_b32_e32 v4, 0x37000000
	v_cmp_eq_f32_e32 vcc, s1, v2
	s_nop 1
	v_cndmask_b32_e32 v4, 0, v4, vcc
	v_sub_f32_e32 v5, v2, v4
	v_mul_f32_e32 v6, 0x3fb8aa3b, v5
	v_fma_f32 v7, v5, s4, -v6
	v_rndne_f32_e32 v8, v6
	v_fmamk_f32 v7, v5, 0x32a5705f, v7
	v_sub_f32_e32 v6, v6, v8
	v_add_f32_e32 v6, v6, v7
	v_exp_f32_e32 v6, v6
	v_cvt_i32_f32_e32 v7, v8
	v_cmp_neq_f32_e64 vcc, |v2|, s0
	s_mov_b32 s0, 0xc2ce8ed0
	v_cmp_neq_f32_e64 s[4:5], v16, |v16|
	v_cndmask_b32_e32 v2, 0, v3, vcc
	v_ldexp_f32 v3, v6, v7
	v_cmp_ngt_f32_e32 vcc, s0, v5
	v_add_f32_e32 v2, v4, v2
	v_mov_b32_e32 v4, 0x7f800000
	v_cndmask_b32_e32 v3, 0, v3, vcc
	v_cmp_nlt_f32_e32 vcc, s1, v5
	v_mov_b32_e32 v5, 0x7fc00000
	s_xor_b64 s[4:5], s[4:5], s[22:23]
	v_cndmask_b32_e32 v3, v4, v3, vcc
	v_fma_f32 v2, v3, v2, v3
	v_cmp_class_f32_e64 vcc, v3, s19
	v_cmp_class_f32_e64 s[22:23], v17, s19
	s_nop 0
	v_cndmask_b32_e32 v2, v2, v3, vcc
	v_trunc_f32_e32 v3, v16
	v_cmp_eq_f32_e32 vcc, v3, v16
	v_mul_f32_e32 v3, 0.5, v16
	v_trunc_f32_e32 v6, v3
	v_cmp_neq_f32_e64 s[0:1], v6, v3
	s_and_b64 s[0:1], vcc, s[0:1]
	s_nop 0
	v_cndmask_b32_e64 v3, 1.0, v17, s[0:1]
	v_bfi_b32 v2, s21, v2, v3
	v_cndmask_b32_e32 v3, v5, v2, vcc
	v_cmp_gt_f32_e32 vcc, 0, v17
	s_nop 1
	v_cndmask_b32_e32 v2, v2, v3, vcc
	v_cndmask_b32_e64 v3, v4, 0, s[4:5]
	v_cmp_neq_f32_e64 vcc, |v17|, 1.0
	v_cmp_gt_f32_e64 s[4:5], 0, v16
	s_nop 0
	v_cndmask_b32_e32 v3, 1.0, v3, vcc
	v_cmp_class_f32_e64 vcc, v16, s19
	s_nop 1
	v_cndmask_b32_e32 v2, v2, v3, vcc
	v_cmp_eq_f32_e32 vcc, 0, v17
	s_xor_b64 s[4:5], s[4:5], vcc
	v_cndmask_b32_e64 v3, v4, 0, s[4:5]
	v_cndmask_b32_e64 v4, 0, v17, s[0:1]
	v_bfi_b32 v3, s21, v3, v4
	s_or_b64 vcc, vcc, s[22:23]
	v_cndmask_b32_e32 v2, v2, v3, vcc
	v_cmp_o_f32_e32 vcc, v17, v16
	v_mov_b32_e32 v3, 0
	s_nop 0
	v_cndmask_b32_e32 v2, v5, v2, vcc
	ds_write_b32 v3, v2
.LBB260_20:
	s_or_b64 exec, exec, s[6:7]
	v_mov_b32_e32 v2, 0
	s_waitcnt lgkmcnt(0)
	s_barrier
	ds_read_b32 v2, v2
	s_waitcnt lgkmcnt(0)
	v_cmp_nlt_f32_e32 vcc, s18, v2
	s_cbranch_vccnz .LBB260_25
; %bb.21:
	s_and_saveexec_b64 s[0:1], s[2:3]
	s_cbranch_execz .LBB260_24
; %bb.22:
	s_mov_b32 s2, 0x9abcaf48
	v_cvt_f64_f32_e32 v[2:3], v2
	s_mov_b32 s3, 0x3e7ad7f2
	v_cvt_f64_f32_e32 v[4:5], s18
	v_add_f64 v[2:3], v[2:3], s[2:3]
	v_div_scale_f64 v[6:7], s[2:3], v[2:3], v[2:3], v[4:5]
	v_rcp_f64_e32 v[8:9], v[6:7]
	s_nop 0
	v_fma_f64 v[10:11], -v[6:7], v[8:9], 1.0
	v_fmac_f64_e32 v[8:9], v[8:9], v[10:11]
	v_fma_f64 v[10:11], -v[6:7], v[8:9], 1.0
	v_fmac_f64_e32 v[8:9], v[8:9], v[10:11]
	v_div_scale_f64 v[10:11], vcc, v[4:5], v[2:3], v[4:5]
	v_mul_f64 v[12:13], v[10:11], v[8:9]
	v_fma_f64 v[6:7], -v[6:7], v[12:13], v[10:11]
	s_nop 1
	v_div_fmas_f64 v[6:7], v[6:7], v[8:9], v[12:13]
	v_div_fixup_f64 v[2:3], v[6:7], v[2:3], v[4:5]
	s_nop 0
	v_readfirstlane_b32 s2, v3
	s_and_b32 s3, s2, 0x1ff
	v_or_b32_e32 v2, s3, v2
	v_cmp_ne_u32_e32 vcc, 0, v2
	s_lshr_b32 s3, s2, 8
	s_bfe_u32 s5, s2, 0xb0014
	v_cndmask_b32_e64 v2, 0, 1, vcc
	s_and_b32 s3, s3, 0xffe
	v_readfirstlane_b32 s4, v2
	s_sub_i32 s6, 0x3f1, s5
	s_or_b32 s3, s3, s4
	v_med3_i32 v2, s6, 0, 13
	s_or_b32 s4, s3, 0x1000
	v_readfirstlane_b32 s6, v2
	s_lshr_b32 s7, s4, s6
	s_lshl_b32 s6, s7, s6
	s_cmp_lg_u32 s6, s4
	s_cselect_b32 s4, 1, 0
	s_addk_i32 s5, 0xfc10
	s_lshl_b32 s6, s5, 12
	s_or_b32 s4, s7, s4
	s_or_b32 s6, s3, s6
	s_cmp_lt_i32 s5, 1
	s_cselect_b32 s4, s4, s6
	s_and_b32 s6, s4, 7
	s_cmp_gt_i32 s6, 5
	s_cselect_b32 s7, 1, 0
	s_cmp_eq_u32 s6, 3
	s_cselect_b32 s6, 1, 0
	s_or_b32 s6, s6, s7
	s_lshr_b32 s4, s4, 2
	s_add_i32 s4, s4, s6
	s_cmp_lt_i32 s5, 31
	s_cselect_b32 s4, s4, 0x7c00
	s_cmp_lg_u32 s3, 0
	s_movk_i32 s3, 0x7e00
	s_cselect_b32 s3, s3, 0x7c00
	s_cmpk_eq_i32 s5, 0x40f
	s_cselect_b32 s3, s3, s4
	s_lshr_b32 s2, s2, 16
	s_and_b32 s2, s2, 0x8000
	s_or_b32 s6, s2, s3
	s_and_b32 s7, 0xffff, s20
	s_lshl_b64 s[2:3], s[12:13], 1
	s_add_u32 s2, s16, s2
	s_addc_u32 s3, s17, s3
	v_add_u32_e32 v2, s7, v0
	s_mov_b64 s[4:5], 0
.LBB260_23:                             ; =>This Inner Loop Header: Depth=1
	v_mul_lo_u32 v3, v1, s14
	v_mul_lo_u32 v4, v0, s15
	v_mad_u64_u32 v[0:1], s[12:13], v0, s14, 0
	v_add3_u32 v1, v1, v4, v3
	v_lshl_add_u64 v[4:5], v[0:1], 1, s[2:3]
	global_load_ushort v6, v[4:5], off
	v_ashrrev_i32_e32 v3, 31, v2
	v_cmp_le_i64_e32 vcc, s[8:9], v[2:3]
	v_mov_b64_e32 v[0:1], v[2:3]
	v_add_u32_e32 v2, s7, v2
	s_or_b64 s[4:5], vcc, s[4:5]
	s_waitcnt vmcnt(0)
	v_mul_f16_e32 v3, s6, v6
	global_store_short v[4:5], v3, off
	s_andn2_b64 exec, exec, s[4:5]
	s_cbranch_execnz .LBB260_23
.LBB260_24:
	s_or_b64 exec, exec, s[0:1]
.LBB260_25:
	s_and_b64 vcc, exec, s[10:11]
	s_cbranch_vccnz .LBB260_30
.LBB260_26:
	s_endpgm
.LBB260_27:
	v_lshl_add_u32 v8, v9, 2, 0
	ds_read_b32 v8, v8
	s_or_b64 exec, exec, s[0:1]
	v_cmp_gt_u32_e32 vcc, 64, v0
	s_and_saveexec_b64 s[0:1], vcc
	s_cbranch_execz .LBB260_18
.LBB260_28:
	s_waitcnt lgkmcnt(0)
	ds_bpermute_b32 v2, v2, v8
	s_waitcnt lgkmcnt(0)
	v_add_f32_e32 v2, v8, v2
	ds_bpermute_b32 v3, v3, v2
	s_waitcnt lgkmcnt(0)
	v_add_f32_e32 v2, v2, v3
	;; [unrolled: 3-line block ×6, first 2 shown]
	s_or_b64 exec, exec, s[0:1]
	v_cmp_eq_u32_e32 vcc, 0, v0
	s_and_saveexec_b64 s[6:7], vcc
	s_cbranch_execnz .LBB260_19
	s_branch .LBB260_20
.LBB260_29:
	s_cbranch_execz .LBB260_26
.LBB260_30:
	s_trap 2
	; divergent unreachable
	s_endpgm
	.section	.rodata,"a",@progbits
	.p2align	6, 0x0
	.amdhsa_kernel _ZN2at6native12_GLOBAL__N_113renorm_kernelIN3c104HalfEfKlEEvPT_PT1_T0_SA_llllPS5_
		.amdhsa_group_segment_fixed_size 0
		.amdhsa_private_segment_fixed_size 0
		.amdhsa_kernarg_size 320
		.amdhsa_user_sgpr_count 2
		.amdhsa_user_sgpr_dispatch_ptr 0
		.amdhsa_user_sgpr_queue_ptr 0
		.amdhsa_user_sgpr_kernarg_segment_ptr 1
		.amdhsa_user_sgpr_dispatch_id 0
		.amdhsa_user_sgpr_kernarg_preload_length 0
		.amdhsa_user_sgpr_kernarg_preload_offset 0
		.amdhsa_user_sgpr_private_segment_size 0
		.amdhsa_uses_dynamic_stack 0
		.amdhsa_enable_private_segment 0
		.amdhsa_system_sgpr_workgroup_id_x 1
		.amdhsa_system_sgpr_workgroup_id_y 0
		.amdhsa_system_sgpr_workgroup_id_z 0
		.amdhsa_system_sgpr_workgroup_info 0
		.amdhsa_system_vgpr_workitem_id 0
		.amdhsa_next_free_vgpr 25
		.amdhsa_next_free_sgpr 42
		.amdhsa_accum_offset 28
		.amdhsa_reserve_vcc 1
		.amdhsa_float_round_mode_32 0
		.amdhsa_float_round_mode_16_64 0
		.amdhsa_float_denorm_mode_32 3
		.amdhsa_float_denorm_mode_16_64 3
		.amdhsa_dx10_clamp 1
		.amdhsa_ieee_mode 1
		.amdhsa_fp16_overflow 0
		.amdhsa_tg_split 0
		.amdhsa_exception_fp_ieee_invalid_op 0
		.amdhsa_exception_fp_denorm_src 0
		.amdhsa_exception_fp_ieee_div_zero 0
		.amdhsa_exception_fp_ieee_overflow 0
		.amdhsa_exception_fp_ieee_underflow 0
		.amdhsa_exception_fp_ieee_inexact 0
		.amdhsa_exception_int_div_zero 0
	.end_amdhsa_kernel
	.section	.text._ZN2at6native12_GLOBAL__N_113renorm_kernelIN3c104HalfEfKlEEvPT_PT1_T0_SA_llllPS5_,"axG",@progbits,_ZN2at6native12_GLOBAL__N_113renorm_kernelIN3c104HalfEfKlEEvPT_PT1_T0_SA_llllPS5_,comdat
.Lfunc_end260:
	.size	_ZN2at6native12_GLOBAL__N_113renorm_kernelIN3c104HalfEfKlEEvPT_PT1_T0_SA_llllPS5_, .Lfunc_end260-_ZN2at6native12_GLOBAL__N_113renorm_kernelIN3c104HalfEfKlEEvPT_PT1_T0_SA_llllPS5_
                                        ; -- End function
	.set _ZN2at6native12_GLOBAL__N_113renorm_kernelIN3c104HalfEfKlEEvPT_PT1_T0_SA_llllPS5_.num_vgpr, 25
	.set _ZN2at6native12_GLOBAL__N_113renorm_kernelIN3c104HalfEfKlEEvPT_PT1_T0_SA_llllPS5_.num_agpr, 0
	.set _ZN2at6native12_GLOBAL__N_113renorm_kernelIN3c104HalfEfKlEEvPT_PT1_T0_SA_llllPS5_.numbered_sgpr, 42
	.set _ZN2at6native12_GLOBAL__N_113renorm_kernelIN3c104HalfEfKlEEvPT_PT1_T0_SA_llllPS5_.num_named_barrier, 0
	.set _ZN2at6native12_GLOBAL__N_113renorm_kernelIN3c104HalfEfKlEEvPT_PT1_T0_SA_llllPS5_.private_seg_size, 0
	.set _ZN2at6native12_GLOBAL__N_113renorm_kernelIN3c104HalfEfKlEEvPT_PT1_T0_SA_llllPS5_.uses_vcc, 1
	.set _ZN2at6native12_GLOBAL__N_113renorm_kernelIN3c104HalfEfKlEEvPT_PT1_T0_SA_llllPS5_.uses_flat_scratch, 0
	.set _ZN2at6native12_GLOBAL__N_113renorm_kernelIN3c104HalfEfKlEEvPT_PT1_T0_SA_llllPS5_.has_dyn_sized_stack, 0
	.set _ZN2at6native12_GLOBAL__N_113renorm_kernelIN3c104HalfEfKlEEvPT_PT1_T0_SA_llllPS5_.has_recursion, 0
	.set _ZN2at6native12_GLOBAL__N_113renorm_kernelIN3c104HalfEfKlEEvPT_PT1_T0_SA_llllPS5_.has_indirect_call, 0
	.section	.AMDGPU.csdata,"",@progbits
; Kernel info:
; codeLenInByte = 3672
; TotalNumSgprs: 48
; NumVgprs: 25
; NumAgprs: 0
; TotalNumVgprs: 25
; ScratchSize: 0
; MemoryBound: 0
; FloatMode: 240
; IeeeMode: 1
; LDSByteSize: 0 bytes/workgroup (compile time only)
; SGPRBlocks: 5
; VGPRBlocks: 3
; NumSGPRsForWavesPerEU: 48
; NumVGPRsForWavesPerEU: 25
; AccumOffset: 28
; Occupancy: 8
; WaveLimiterHint : 1
; COMPUTE_PGM_RSRC2:SCRATCH_EN: 0
; COMPUTE_PGM_RSRC2:USER_SGPR: 2
; COMPUTE_PGM_RSRC2:TRAP_HANDLER: 0
; COMPUTE_PGM_RSRC2:TGID_X_EN: 1
; COMPUTE_PGM_RSRC2:TGID_Y_EN: 0
; COMPUTE_PGM_RSRC2:TGID_Z_EN: 0
; COMPUTE_PGM_RSRC2:TIDIG_COMP_CNT: 0
; COMPUTE_PGM_RSRC3_GFX90A:ACCUM_OFFSET: 6
; COMPUTE_PGM_RSRC3_GFX90A:TG_SPLIT: 0
	.section	.text._ZN2at6native12_GLOBAL__N_113renorm_kernelIN3c108BFloat16EfKlEEvPT_PT1_T0_SA_llllPS5_,"axG",@progbits,_ZN2at6native12_GLOBAL__N_113renorm_kernelIN3c108BFloat16EfKlEEvPT_PT1_T0_SA_llllPS5_,comdat
	.globl	_ZN2at6native12_GLOBAL__N_113renorm_kernelIN3c108BFloat16EfKlEEvPT_PT1_T0_SA_llllPS5_ ; -- Begin function _ZN2at6native12_GLOBAL__N_113renorm_kernelIN3c108BFloat16EfKlEEvPT_PT1_T0_SA_llllPS5_
	.p2align	8
	.type	_ZN2at6native12_GLOBAL__N_113renorm_kernelIN3c108BFloat16EfKlEEvPT_PT1_T0_SA_llllPS5_,@function
_ZN2at6native12_GLOBAL__N_113renorm_kernelIN3c108BFloat16EfKlEEvPT_PT1_T0_SA_llllPS5_: ; @_ZN2at6native12_GLOBAL__N_113renorm_kernelIN3c108BFloat16EfKlEEvPT_PT1_T0_SA_llllPS5_
; %bb.0:
	s_load_dwordx2 s[4:5], s[0:1], 0x38
	s_mov_b32 s3, 0
	v_mov_b64_e32 v[2:3], s[2:3]
	s_waitcnt lgkmcnt(0)
	s_load_dwordx2 s[4:5], s[4:5], 0x0
	s_waitcnt lgkmcnt(0)
	v_cmp_le_i64_e32 vcc, s[4:5], v[2:3]
	s_cbranch_vccnz .LBB261_25
; %bb.1:
	s_load_dwordx4 s[16:19], s[0:1], 0x0
	s_lshl_b64 s[2:3], s[2:3], 3
	s_waitcnt lgkmcnt(0)
	s_add_u32 s2, s18, s2
	s_addc_u32 s3, s19, s3
	s_load_dwordx2 s[2:3], s[2:3], 0x0
	s_waitcnt lgkmcnt(0)
	v_cmp_lt_i64_e64 s[4:5], s[2:3], 0
	s_and_b64 vcc, exec, s[4:5]
	s_cbranch_vccnz .LBB261_28
; %bb.2:
	s_load_dwordx8 s[8:15], s[0:1], 0x18
	s_getpc_b64 s[4:5]
	s_add_u32 s4, s4, .str.4@rel32@lo+4
	s_addc_u32 s5, s5, .str.4@rel32@hi+12
	s_cmp_eq_u64 s[4:5], 0
	s_cselect_b64 s[4:5], -1, 0
	s_waitcnt lgkmcnt(0)
	v_mov_b32_e32 v2, s10
	v_mov_b32_e32 v3, s11
	v_cmp_ge_i64_e32 vcc, s[2:3], v[2:3]
	s_or_b64 s[10:11], vcc, s[4:5]
	s_andn2_b64 vcc, exec, s[10:11]
	s_cbranch_vccz .LBB261_24
; %bb.3:
	s_load_dwordx2 s[18:19], s[0:1], 0x10
	s_mul_i32 s4, s2, s13
	s_mul_hi_u32 s5, s2, s12
	s_add_i32 s4, s5, s4
	s_mul_i32 s3, s3, s12
	v_mov_b32_e32 v1, 0
	s_add_i32 s13, s4, s3
	s_mul_i32 s12, s2, s12
	v_cmp_le_i64_e64 s[2:3], s[8:9], v[0:1]
	v_cmp_gt_i64_e32 vcc, s[8:9], v[0:1]
	v_mov_b32_e32 v6, v1
	s_and_saveexec_b64 s[20:21], vcc
	s_cbranch_execz .LBB261_13
; %bb.4:
	s_load_dword s6, s[0:1], 0x4c
	s_lshl_b64 s[4:5], s[12:13], 1
	s_add_u32 s22, s16, s4
	s_addc_u32 s23, s17, s5
	s_waitcnt lgkmcnt(0)
	v_cmp_neq_f32_e64 s[24:25], s19, 1.0
	s_and_b32 s30, s6, 0xffff
	v_cmp_neq_f32_e64 s[26:27], s19, 2.0
	v_add_u32_e32 v2, s30, v0
	v_mov_b32_e32 v6, 0
	s_mov_b64 s[28:29], 0
	s_brev_b32 s31, -2
	s_mov_b32 s33, 0x3f2aaaab
	v_mov_b32_e32 v7, 0x3e91f4c4
	s_mov_b32 s34, 0x3f317218
	s_movk_i32 s35, 0x204
	s_mov_b32 s36, 0x7f800000
	s_mov_b32 s37, 0x42b17218
	;; [unrolled: 1-line block ×4, first 2 shown]
	v_mov_b32_e32 v8, 0x37000000
	v_mov_b32_e32 v9, 0x7f800000
	;; [unrolled: 1-line block ×3, first 2 shown]
	v_mov_b64_e32 v[4:5], v[0:1]
                                        ; implicit-def: $vgpr3
	s_branch .LBB261_7
.LBB261_5:                              ;   in Loop: Header=BB261_7 Depth=1
	v_and_b32_e32 v4, 0x7fffffff, v3
.LBB261_6:                              ;   in Loop: Header=BB261_7 Depth=1
	v_ashrrev_i32_e32 v3, 31, v2
	v_cmp_le_i64_e32 vcc, s[8:9], v[2:3]
	v_add_f32_e32 v6, v6, v4
	v_mov_b64_e32 v[4:5], v[2:3]
	s_or_b64 s[28:29], vcc, s[28:29]
	v_add_u32_e32 v2, s30, v2
	s_andn2_b64 exec, exec, s[28:29]
	s_cbranch_execz .LBB261_12
.LBB261_7:                              ; =>This Inner Loop Header: Depth=1
	v_mul_lo_u32 v3, v5, s14
	v_mul_lo_u32 v11, v4, s15
	v_mad_u64_u32 v[4:5], s[4:5], v4, s14, 0
	v_add3_u32 v5, v5, v11, v3
	v_lshl_add_u64 v[4:5], v[4:5], 1, s[22:23]
	global_load_ushort v3, v[4:5], off
	s_and_b64 vcc, exec, s[24:25]
	s_waitcnt vmcnt(0)
	v_lshlrev_b32_e32 v3, 16, v3
	s_cbranch_vccz .LBB261_5
; %bb.8:                                ;   in Loop: Header=BB261_7 Depth=1
	s_and_b64 vcc, exec, s[26:27]
	s_cbranch_vccz .LBB261_10
; %bb.9:                                ;   in Loop: Header=BB261_7 Depth=1
	v_mov_b32_e32 v4, s19
	v_cmp_neq_f32_e32 vcc, 1.0, v3
	s_nop 1
	v_cndmask_b32_e32 v11, 1.0, v4, vcc
	v_cmp_neq_f32_e32 vcc, 0, v11
	v_cmp_neq_f32_e64 s[6:7], v11, |v11|
	s_nop 0
	v_cndmask_b32_e32 v24, 1.0, v3, vcc
	v_frexp_mant_f32_e64 v4, |v24|
	v_cmp_gt_f32_e32 vcc, s33, v4
	v_cmp_lt_f32_e64 s[40:41], |v24|, 1.0
	s_xor_b64 s[6:7], s[6:7], s[40:41]
	v_cndmask_b32_e64 v5, 1.0, 2.0, vcc
	v_mul_f32_e32 v4, v4, v5
	v_add_f32_e32 v13, 1.0, v4
	v_rcp_f32_e32 v18, v13
	v_add_f32_e32 v5, -1.0, v13
	v_sub_f32_e32 v15, v4, v5
	v_add_f32_e32 v5, -1.0, v4
	v_mul_f32_e32 v19, v5, v18
	v_mul_f32_e32 v12, v13, v19
	v_fma_f32 v14, v19, v13, -v12
	v_fmac_f32_e32 v14, v19, v15
	v_add_f32_e32 v4, v12, v14
	v_sub_f32_e32 v13, v5, v4
	v_pk_add_f32 v[16:17], v[4:5], v[12:13] neg_lo:[0,1] neg_hi:[0,1]
	v_mov_b32_e32 v15, v4
	v_pk_add_f32 v[4:5], v[16:17], v[14:15] neg_lo:[0,1] neg_hi:[0,1]
	v_cmp_class_f32_e64 s[40:41], v24, s35
	v_add_f32_e32 v4, v4, v5
	v_add_f32_e32 v4, v13, v4
	v_mul_f32_e32 v5, v18, v4
	v_add_f32_e32 v4, v19, v5
	v_sub_f32_e32 v12, v4, v19
	v_sub_f32_e32 v20, v5, v12
	v_mul_f32_e32 v5, v4, v4
	v_fma_f32 v13, v4, v4, -v5
	v_add_f32_e32 v12, v20, v20
	v_fmac_f32_e32 v13, v4, v12
	v_add_f32_e32 v12, v5, v13
	v_fmamk_f32 v14, v12, 0x3e76c4e1, v7
	v_fmaak_f32 v14, v12, v14, 0x3ecccdef
	v_sub_f32_e32 v5, v12, v5
	v_sub_f32_e32 v21, v13, v5
	v_mul_f32_e32 v5, v12, v14
	v_fma_f32 v13, v12, v14, -v5
	v_fmac_f32_e32 v13, v21, v14
	v_add_f32_e32 v14, v5, v13
	v_add_f32_e32 v15, 0x3f2aaaaa, v14
	v_sub_f32_e32 v5, v14, v5
	v_sub_f32_e32 v5, v13, v5
	v_add_f32_e32 v13, 0xbf2aaaaa, v15
	v_add_f32_e32 v5, 0x31739010, v5
	v_sub_f32_e32 v13, v14, v13
	v_pk_mul_f32 v[16:17], v[4:5], v[12:13]
	v_pk_add_f32 v[18:19], v[4:5], v[12:13]
	v_fma_f32 v14, v12, v4, -v16
	v_fmac_f32_e32 v14, v12, v20
	v_mov_b32_e32 v17, v19
	v_fmac_f32_e32 v14, v21, v4
	v_pk_add_f32 v[12:13], v[16:17], v[14:15]
	v_ldexp_f32 v22, v20, 1
	v_sub_f32_e32 v5, v12, v16
	v_sub_f32_e32 v5, v14, v5
	;; [unrolled: 1-line block ×3, first 2 shown]
	v_add_f32_e32 v18, v19, v14
	v_pk_mul_f32 v[14:15], v[12:13], v[12:13] op_sel:[0,1] op_sel_hi:[1,0]
	v_cvt_f64_f32_e64 v[16:17], |v24|
	v_frexp_exp_i32_f64_e32 v15, v[16:17]
	v_subbrev_co_u32_e32 v15, vcc, 0, v15, vcc
	v_cvt_f32_i32_e32 v15, v15
	v_fma_f32 v16, v12, v13, -v14
	v_fmac_f32_e32 v16, v12, v18
	v_fmac_f32_e32 v16, v5, v13
	v_mul_f32_e32 v12, 0x3f317218, v15
	v_fma_f32 v18, v15, s34, -v12
	v_fmac_f32_e32 v18, 0xb102e308, v15
	v_ldexp_f32 v19, v4, 1
	v_add_f32_e32 v13, v14, v16
	v_pk_add_f32 v[4:5], v[12:13], v[18:19]
	v_mov_b32_e32 v20, v13
	v_mov_b32_e32 v21, v5
	;; [unrolled: 1-line block ×3, first 2 shown]
	v_pk_add_f32 v[14:15], v[20:21], v[14:15] neg_lo:[0,1] neg_hi:[0,1]
	v_mov_b32_e32 v17, v13
	v_pk_add_f32 v[14:15], v[16:17], v[14:15] neg_lo:[0,1] neg_hi:[0,1]
	v_mov_b32_e32 v19, v4
	v_add_f32_e32 v13, v22, v14
	v_add_f32_e32 v13, v13, v15
	v_pk_add_f32 v[14:15], v[4:5], v[12:13] neg_lo:[0,1] neg_hi:[0,1]
	v_pk_add_f32 v[16:17], v[4:5], v[12:13]
	v_mov_b32_e32 v12, v13
	v_mov_b32_e32 v15, v17
	v_pk_add_f32 v[20:21], v[18:19], v[14:15] neg_lo:[0,1] neg_hi:[0,1]
	v_pk_add_f32 v[14:15], v[18:19], v[14:15]
	v_mov_b32_e32 v13, v4
	v_pk_add_f32 v[18:19], v[14:15], v[4:5] op_sel:[1,0] op_sel_hi:[0,1] neg_lo:[0,1] neg_hi:[0,1]
	v_pk_add_f32 v[22:23], v[16:17], v[18:19] op_sel_hi:[1,0] neg_lo:[0,1] neg_hi:[0,1]
	v_mov_b32_e32 v16, v17
	v_mov_b32_e32 v17, v15
	v_pk_mov_b32 v[18:19], v[4:5], v[18:19] op_sel:[1,0]
	v_mov_b32_e32 v22, v20
	v_pk_add_f32 v[16:17], v[16:17], v[18:19] neg_lo:[0,1] neg_hi:[0,1]
	v_mov_b32_e32 v21, v15
	v_pk_add_f32 v[4:5], v[12:13], v[16:17] neg_lo:[0,1] neg_hi:[0,1]
	s_nop 0
	v_pk_add_f32 v[12:13], v[22:23], v[4:5]
	s_nop 0
	v_pk_add_f32 v[16:17], v[12:13], v[12:13] op_sel:[0,1] op_sel_hi:[1,0]
	s_nop 0
	v_pk_add_f32 v[14:15], v[14:15], v[16:17] op_sel:[1,0] op_sel_hi:[0,1]
	v_mov_b32_e32 v13, v14
	v_pk_add_f32 v[18:19], v[12:13], v[20:21] neg_lo:[0,1] neg_hi:[0,1]
	v_mov_b32_e32 v5, v16
	v_sub_f32_e32 v12, v12, v18
	v_pk_add_f32 v[4:5], v[4:5], v[18:19] neg_lo:[0,1] neg_hi:[0,1]
	v_sub_f32_e32 v12, v20, v12
	v_add_f32_e32 v4, v4, v12
	v_add_f32_e32 v4, v4, v5
	;; [unrolled: 1-line block ×3, first 2 shown]
	v_sub_f32_e32 v12, v5, v14
	v_sub_f32_e32 v4, v4, v12
	v_mul_f32_e32 v12, v11, v5
	v_fma_f32 v5, v11, v5, -v12
	v_fmac_f32_e32 v5, v11, v4
	v_add_f32_e32 v4, v12, v5
	v_cmp_class_f32_e64 vcc, v12, s35
	v_sub_f32_e32 v13, v4, v12
	v_sub_f32_e32 v5, v5, v13
	v_cndmask_b32_e32 v4, v4, v12, vcc
	v_cmp_eq_f32_e32 vcc, s37, v4
	s_nop 1
	v_cndmask_b32_e32 v12, 0, v8, vcc
	v_sub_f32_e32 v13, v4, v12
	v_mul_f32_e32 v14, 0x3fb8aa3b, v13
	v_fma_f32 v15, v13, s38, -v14
	v_rndne_f32_e32 v16, v14
	v_fmac_f32_e32 v15, 0x32a5705f, v13
	v_sub_f32_e32 v14, v14, v16
	v_add_f32_e32 v14, v14, v15
	v_exp_f32_e32 v14, v14
	v_cvt_i32_f32_e32 v15, v16
	v_cmp_neq_f32_e64 vcc, |v4|, s36
	s_nop 1
	v_cndmask_b32_e32 v4, 0, v5, vcc
	v_ldexp_f32 v5, v14, v15
	v_cmp_ngt_f32_e32 vcc, s39, v13
	v_add_f32_e32 v4, v12, v4
	s_nop 0
	v_cndmask_b32_e32 v5, 0, v5, vcc
	v_cmp_nlt_f32_e32 vcc, s37, v13
	s_nop 1
	v_cndmask_b32_e32 v5, v9, v5, vcc
	v_fma_f32 v4, v5, v4, v5
	v_cmp_class_f32_e64 vcc, v5, s35
	s_nop 1
	v_cndmask_b32_e32 v4, v4, v5, vcc
	v_trunc_f32_e32 v5, v11
	v_cmp_eq_f32_e32 vcc, v5, v11
	v_mul_f32_e32 v5, 0.5, v11
	v_trunc_f32_e32 v12, v5
	v_cmp_neq_f32_e64 s[4:5], v12, v5
	s_and_b64 s[4:5], vcc, s[4:5]
	s_nop 0
	v_cndmask_b32_e64 v5, 1.0, v24, s[4:5]
	v_bfi_b32 v4, s31, v4, v5
	v_cndmask_b32_e32 v5, v10, v4, vcc
	v_cmp_gt_f32_e32 vcc, 0, v24
	v_cndmask_b32_e64 v12, 0, v24, s[4:5]
	s_nop 0
	v_cndmask_b32_e32 v4, v4, v5, vcc
	v_cndmask_b32_e64 v5, v9, 0, s[6:7]
	v_cmp_neq_f32_e64 vcc, |v24|, 1.0
	v_cmp_gt_f32_e64 s[6:7], 0, v11
	s_nop 0
	v_cndmask_b32_e32 v5, 1.0, v5, vcc
	v_cmp_class_f32_e64 vcc, v11, s35
	s_nop 1
	v_cndmask_b32_e32 v4, v4, v5, vcc
	v_cmp_eq_f32_e32 vcc, 0, v24
	s_xor_b64 s[6:7], s[6:7], vcc
	v_cndmask_b32_e64 v5, v9, 0, s[6:7]
	v_bfi_b32 v5, s31, v5, v12
	s_or_b64 vcc, vcc, s[40:41]
	v_cndmask_b32_e32 v4, v4, v5, vcc
	v_cmp_o_f32_e32 vcc, v24, v11
	s_nop 1
	v_cndmask_b32_e32 v4, v10, v4, vcc
	s_cbranch_execnz .LBB261_6
	s_branch .LBB261_11
.LBB261_10:                             ;   in Loop: Header=BB261_7 Depth=1
                                        ; implicit-def: $vgpr4
.LBB261_11:                             ;   in Loop: Header=BB261_7 Depth=1
	v_mul_f32_e32 v4, v3, v3
	s_branch .LBB261_6
.LBB261_12:
	s_or_b64 exec, exec, s[28:29]
.LBB261_13:
	s_or_b64 exec, exec, s[20:21]
; %bb.14:
	v_mbcnt_lo_u32_b32 v2, -1, 0
	v_mbcnt_hi_u32_b32 v7, -1, v2
	v_mov_b32_e32 v2, 0x80
	v_lshl_or_b32 v2, v7, 2, v2
	ds_bpermute_b32 v3, v2, v6
	v_and_b32_e32 v8, 63, v7
	v_cmp_gt_u32_e32 vcc, 48, v8
	s_waitcnt lgkmcnt(0)
	s_barrier
	v_cndmask_b32_e64 v4, 0, 16, vcc
	v_add_f32_e32 v5, v6, v3
	v_add_lshl_u32 v3, v4, v7, 2
	ds_bpermute_b32 v6, v3, v5
	v_cmp_gt_u32_e32 vcc, 56, v8
	s_waitcnt lgkmcnt(0)
	v_add_f32_e32 v6, v5, v6
	v_cndmask_b32_e64 v4, 0, 8, vcc
	v_add_lshl_u32 v4, v4, v7, 2
	ds_bpermute_b32 v9, v4, v6
	v_cmp_gt_u32_e32 vcc, 60, v8
	s_waitcnt lgkmcnt(0)
	v_add_f32_e32 v9, v6, v9
	v_cndmask_b32_e64 v5, 0, 4, vcc
	;; [unrolled: 6-line block ×3, first 2 shown]
	v_add_lshl_u32 v6, v6, v7, 2
	ds_bpermute_b32 v11, v6, v10
	v_cmp_ne_u32_e32 vcc, 63, v8
	v_and_b32_e32 v9, 63, v0
	s_waitcnt lgkmcnt(0)
	v_add_f32_e32 v8, v10, v11
	v_addc_co_u32_e32 v7, vcc, 0, v7, vcc
	v_lshlrev_b32_e32 v7, 2, v7
	ds_bpermute_b32 v10, v7, v8
	v_cmp_eq_u32_e32 vcc, 0, v9
	s_and_saveexec_b64 s[4:5], vcc
	s_cbranch_execz .LBB261_16
; %bb.15:
	s_waitcnt lgkmcnt(0)
	v_add_f32_e32 v8, v8, v10
	v_lshrrev_b32_e32 v10, 4, v0
	v_add_u32_e32 v10, 0, v10
	ds_write_b32 v10, v8
.LBB261_16:
	s_or_b64 exec, exec, s[4:5]
	s_waitcnt lgkmcnt(0)
	s_barrier
	s_load_dword s20, s[0:1], 0x4c
	v_mov_b32_e32 v8, 0
	s_waitcnt lgkmcnt(0)
	s_bfe_u32 s0, s20, 0xa0006
	v_cmp_gt_u32_e32 vcc, s0, v0
	s_and_saveexec_b64 s[0:1], vcc
	s_cbranch_execnz .LBB261_26
; %bb.17:
	s_or_b64 exec, exec, s[0:1]
	v_cmp_gt_u32_e32 vcc, 64, v0
	s_and_saveexec_b64 s[0:1], vcc
	s_cbranch_execnz .LBB261_27
.LBB261_18:
	s_or_b64 exec, exec, s[0:1]
	v_cmp_eq_u32_e32 vcc, 0, v0
	s_and_saveexec_b64 s[6:7], vcc
	s_cbranch_execz .LBB261_20
.LBB261_19:
	v_div_scale_f32 v2, s[0:1], s19, s19, 1.0
	v_rcp_f32_e32 v3, v2
	v_div_scale_f32 v4, vcc, 1.0, s19, 1.0
	s_mov_b32 s0, 0x3f2aaaab
	v_fma_f32 v5, -v2, v3, 1.0
	v_fmac_f32_e32 v3, v5, v3
	v_mul_f32_e32 v5, v4, v3
	v_fma_f32 v6, -v2, v5, v4
	v_fmac_f32_e32 v5, v6, v3
	v_fma_f32 v2, -v2, v5, v4
	v_div_fmas_f32 v2, v2, v3, v5
	v_div_fixup_f32 v2, v2, s19, 1.0
	s_waitcnt lgkmcnt(0)
	v_cmp_neq_f32_e32 vcc, 1.0, v8
	s_movk_i32 s19, 0x204
	s_mov_b32 s1, 0x42b17218
	v_cndmask_b32_e32 v16, 1.0, v2, vcc
	v_cmp_neq_f32_e32 vcc, 0, v16
	s_mov_b32 s4, 0x3fb8aa3b
	s_brev_b32 s21, -2
	v_cndmask_b32_e32 v17, 1.0, v8, vcc
	v_frexp_mant_f32_e64 v2, |v17|
	v_cmp_gt_f32_e32 vcc, s0, v2
	s_mov_b32 s0, 0x3f317218
	v_cmp_lt_f32_e64 s[22:23], |v17|, 1.0
	v_cndmask_b32_e64 v3, 1.0, 2.0, vcc
	v_mul_f32_e32 v2, v2, v3
	v_add_f32_e32 v5, 1.0, v2
	v_rcp_f32_e32 v10, v5
	v_add_f32_e32 v3, -1.0, v5
	v_sub_f32_e32 v7, v2, v3
	v_add_f32_e32 v3, -1.0, v2
	v_mul_f32_e32 v11, v3, v10
	v_mul_f32_e32 v4, v5, v11
	v_fma_f32 v6, v11, v5, -v4
	v_fmac_f32_e32 v6, v11, v7
	v_add_f32_e32 v2, v4, v6
	v_sub_f32_e32 v5, v3, v2
	v_pk_add_f32 v[8:9], v[2:3], v[4:5] neg_lo:[0,1] neg_hi:[0,1]
	v_mov_b32_e32 v7, v2
	v_pk_add_f32 v[2:3], v[8:9], v[6:7] neg_lo:[0,1] neg_hi:[0,1]
	v_mov_b32_e32 v6, 0x3e91f4c4
	v_add_f32_e32 v2, v2, v3
	v_add_f32_e32 v2, v5, v2
	v_mul_f32_e32 v3, v10, v2
	v_add_f32_e32 v2, v11, v3
	v_sub_f32_e32 v4, v2, v11
	v_sub_f32_e32 v12, v3, v4
	v_mul_f32_e32 v3, v2, v2
	v_fma_f32 v5, v2, v2, -v3
	v_add_f32_e32 v4, v12, v12
	v_fmac_f32_e32 v5, v2, v4
	v_add_f32_e32 v4, v3, v5
	v_fmac_f32_e32 v6, 0x3e76c4e1, v4
	v_fmaak_f32 v6, v4, v6, 0x3ecccdef
	v_sub_f32_e32 v3, v4, v3
	v_sub_f32_e32 v13, v5, v3
	v_mul_f32_e32 v3, v4, v6
	v_fma_f32 v5, v4, v6, -v3
	v_fmac_f32_e32 v5, v13, v6
	v_add_f32_e32 v6, v3, v5
	v_add_f32_e32 v7, 0x3f2aaaaa, v6
	v_sub_f32_e32 v3, v6, v3
	v_sub_f32_e32 v3, v5, v3
	v_add_f32_e32 v5, 0xbf2aaaaa, v7
	v_add_f32_e32 v3, 0x31739010, v3
	v_sub_f32_e32 v5, v6, v5
	v_pk_mul_f32 v[8:9], v[2:3], v[4:5]
	v_pk_add_f32 v[10:11], v[2:3], v[4:5]
	v_fma_f32 v6, v4, v2, -v8
	v_fmac_f32_e32 v6, v4, v12
	v_mov_b32_e32 v9, v11
	v_fmac_f32_e32 v6, v13, v2
	v_pk_add_f32 v[4:5], v[8:9], v[6:7]
	v_ldexp_f32 v14, v12, 1
	v_sub_f32_e32 v3, v4, v8
	v_sub_f32_e32 v3, v6, v3
	;; [unrolled: 1-line block ×3, first 2 shown]
	v_add_f32_e32 v9, v11, v6
	v_pk_mul_f32 v[6:7], v[4:5], v[4:5] op_sel:[0,1] op_sel_hi:[1,0]
	v_cvt_f64_f32_e64 v[10:11], |v17|
	v_frexp_exp_i32_f64_e32 v7, v[10:11]
	v_subbrev_co_u32_e32 v7, vcc, 0, v7, vcc
	v_cvt_f32_i32_e32 v7, v7
	v_fma_f32 v8, v4, v5, -v6
	v_fmac_f32_e32 v8, v4, v9
	v_fmac_f32_e32 v8, v3, v5
	v_mul_f32_e32 v4, 0x3f317218, v7
	v_fma_f32 v3, v7, s0, -v4
	v_fmamk_f32 v10, v7, 0xb102e308, v3
	v_ldexp_f32 v11, v2, 1
	v_add_f32_e32 v5, v6, v8
	v_pk_add_f32 v[2:3], v[4:5], v[10:11]
	v_mov_b32_e32 v12, v5
	v_mov_b32_e32 v13, v3
	;; [unrolled: 1-line block ×3, first 2 shown]
	v_pk_add_f32 v[6:7], v[12:13], v[6:7] neg_lo:[0,1] neg_hi:[0,1]
	v_mov_b32_e32 v9, v5
	v_pk_add_f32 v[6:7], v[8:9], v[6:7] neg_lo:[0,1] neg_hi:[0,1]
	v_mov_b32_e32 v11, v2
	v_add_f32_e32 v5, v14, v6
	v_add_f32_e32 v5, v5, v7
	v_pk_add_f32 v[6:7], v[2:3], v[4:5] neg_lo:[0,1] neg_hi:[0,1]
	v_pk_add_f32 v[8:9], v[2:3], v[4:5]
	v_mov_b32_e32 v4, v5
	v_mov_b32_e32 v7, v9
	v_pk_add_f32 v[12:13], v[10:11], v[6:7] neg_lo:[0,1] neg_hi:[0,1]
	v_pk_add_f32 v[6:7], v[10:11], v[6:7]
	v_mov_b32_e32 v5, v2
	v_pk_add_f32 v[10:11], v[6:7], v[2:3] op_sel:[1,0] op_sel_hi:[0,1] neg_lo:[0,1] neg_hi:[0,1]
	v_pk_add_f32 v[14:15], v[8:9], v[10:11] op_sel_hi:[1,0] neg_lo:[0,1] neg_hi:[0,1]
	v_mov_b32_e32 v8, v9
	v_mov_b32_e32 v9, v7
	v_pk_mov_b32 v[10:11], v[2:3], v[10:11] op_sel:[1,0]
	v_mov_b32_e32 v14, v12
	v_pk_add_f32 v[8:9], v[8:9], v[10:11] neg_lo:[0,1] neg_hi:[0,1]
	v_mov_b32_e32 v13, v7
	v_pk_add_f32 v[2:3], v[4:5], v[8:9] neg_lo:[0,1] neg_hi:[0,1]
	s_mov_b32 s0, 0x7f800000
	v_pk_add_f32 v[4:5], v[14:15], v[2:3]
	s_nop 0
	v_pk_add_f32 v[8:9], v[4:5], v[4:5] op_sel:[0,1] op_sel_hi:[1,0]
	s_nop 0
	v_pk_add_f32 v[6:7], v[6:7], v[8:9] op_sel:[1,0] op_sel_hi:[0,1]
	v_mov_b32_e32 v5, v6
	v_pk_add_f32 v[10:11], v[4:5], v[12:13] neg_lo:[0,1] neg_hi:[0,1]
	v_mov_b32_e32 v3, v8
	v_sub_f32_e32 v4, v4, v10
	v_pk_add_f32 v[2:3], v[2:3], v[10:11] neg_lo:[0,1] neg_hi:[0,1]
	v_sub_f32_e32 v4, v12, v4
	v_add_f32_e32 v2, v2, v4
	v_add_f32_e32 v2, v2, v3
	v_add_f32_e32 v3, v6, v2
	v_sub_f32_e32 v4, v3, v6
	v_sub_f32_e32 v2, v2, v4
	v_mul_f32_e32 v4, v16, v3
	v_fma_f32 v3, v16, v3, -v4
	v_fmac_f32_e32 v3, v16, v2
	v_add_f32_e32 v2, v4, v3
	v_cmp_class_f32_e64 vcc, v4, s19
	v_sub_f32_e32 v5, v2, v4
	v_sub_f32_e32 v3, v3, v5
	v_cndmask_b32_e32 v2, v2, v4, vcc
	v_mov_b32_e32 v4, 0x37000000
	v_cmp_eq_f32_e32 vcc, s1, v2
	s_nop 1
	v_cndmask_b32_e32 v4, 0, v4, vcc
	v_sub_f32_e32 v5, v2, v4
	v_mul_f32_e32 v6, 0x3fb8aa3b, v5
	v_fma_f32 v7, v5, s4, -v6
	v_rndne_f32_e32 v8, v6
	v_fmamk_f32 v7, v5, 0x32a5705f, v7
	v_sub_f32_e32 v6, v6, v8
	v_add_f32_e32 v6, v6, v7
	v_exp_f32_e32 v6, v6
	v_cvt_i32_f32_e32 v7, v8
	v_cmp_neq_f32_e64 vcc, |v2|, s0
	s_mov_b32 s0, 0xc2ce8ed0
	v_cmp_neq_f32_e64 s[4:5], v16, |v16|
	v_cndmask_b32_e32 v2, 0, v3, vcc
	v_ldexp_f32 v3, v6, v7
	v_cmp_ngt_f32_e32 vcc, s0, v5
	v_add_f32_e32 v2, v4, v2
	v_mov_b32_e32 v4, 0x7f800000
	v_cndmask_b32_e32 v3, 0, v3, vcc
	v_cmp_nlt_f32_e32 vcc, s1, v5
	v_mov_b32_e32 v5, 0x7fc00000
	s_xor_b64 s[4:5], s[4:5], s[22:23]
	v_cndmask_b32_e32 v3, v4, v3, vcc
	v_fma_f32 v2, v3, v2, v3
	v_cmp_class_f32_e64 vcc, v3, s19
	v_cmp_class_f32_e64 s[22:23], v17, s19
	s_nop 0
	v_cndmask_b32_e32 v2, v2, v3, vcc
	v_trunc_f32_e32 v3, v16
	v_cmp_eq_f32_e32 vcc, v3, v16
	v_mul_f32_e32 v3, 0.5, v16
	v_trunc_f32_e32 v6, v3
	v_cmp_neq_f32_e64 s[0:1], v6, v3
	s_and_b64 s[0:1], vcc, s[0:1]
	s_nop 0
	v_cndmask_b32_e64 v3, 1.0, v17, s[0:1]
	v_bfi_b32 v2, s21, v2, v3
	v_cndmask_b32_e32 v3, v5, v2, vcc
	v_cmp_gt_f32_e32 vcc, 0, v17
	s_nop 1
	v_cndmask_b32_e32 v2, v2, v3, vcc
	v_cndmask_b32_e64 v3, v4, 0, s[4:5]
	v_cmp_neq_f32_e64 vcc, |v17|, 1.0
	v_cmp_gt_f32_e64 s[4:5], 0, v16
	s_nop 0
	v_cndmask_b32_e32 v3, 1.0, v3, vcc
	v_cmp_class_f32_e64 vcc, v16, s19
	s_nop 1
	v_cndmask_b32_e32 v2, v2, v3, vcc
	v_cmp_eq_f32_e32 vcc, 0, v17
	s_xor_b64 s[4:5], s[4:5], vcc
	v_cndmask_b32_e64 v3, v4, 0, s[4:5]
	v_cndmask_b32_e64 v4, 0, v17, s[0:1]
	v_bfi_b32 v3, s21, v3, v4
	s_or_b64 vcc, vcc, s[22:23]
	v_cndmask_b32_e32 v2, v2, v3, vcc
	v_cmp_o_f32_e32 vcc, v17, v16
	v_mov_b32_e32 v3, 0
	s_nop 0
	v_cndmask_b32_e32 v2, v5, v2, vcc
	ds_write_b32 v3, v2
.LBB261_20:
	s_or_b64 exec, exec, s[6:7]
	v_mov_b32_e32 v2, 0
	s_waitcnt lgkmcnt(0)
	s_barrier
	ds_read_b32 v2, v2
	s_xor_b64 s[0:1], s[2:3], -1
	s_waitcnt lgkmcnt(0)
	v_cmp_lt_f32_e32 vcc, s18, v2
	s_and_b64 s[2:3], vcc, s[0:1]
	s_and_saveexec_b64 s[0:1], s[2:3]
	s_cbranch_execz .LBB261_23
; %bb.21:
	s_mov_b32 s2, 0x9abcaf48
	v_cvt_f64_f32_e32 v[2:3], v2
	s_mov_b32 s3, 0x3e7ad7f2
	v_cvt_f64_f32_e32 v[4:5], s18
	v_add_f64 v[2:3], v[2:3], s[2:3]
	v_div_scale_f64 v[6:7], s[2:3], v[2:3], v[2:3], v[4:5]
	v_rcp_f64_e32 v[8:9], v[6:7]
	s_and_b32 s6, 0xffff, s20
	s_lshl_b64 s[2:3], s[12:13], 1
	s_add_u32 s2, s16, s2
	v_fma_f64 v[10:11], -v[6:7], v[8:9], 1.0
	v_fmac_f64_e32 v[8:9], v[8:9], v[10:11]
	v_fma_f64 v[10:11], -v[6:7], v[8:9], 1.0
	v_fmac_f64_e32 v[8:9], v[8:9], v[10:11]
	v_div_scale_f64 v[10:11], vcc, v[4:5], v[2:3], v[4:5]
	v_mul_f64 v[12:13], v[10:11], v[8:9]
	v_fma_f64 v[6:7], -v[6:7], v[12:13], v[10:11]
	s_movk_i32 s7, 0x7fff
	s_nop 0
	v_div_fmas_f64 v[6:7], v[6:7], v[8:9], v[12:13]
	v_div_fixup_f64 v[2:3], v[6:7], v[2:3], v[4:5]
	v_cvt_f32_f64_e32 v2, v[2:3]
	v_bfe_u32 v3, v2, 16, 1
	v_add_u32_e32 v3, v2, v3
	v_add_u32_e32 v3, 0x7fff, v3
	v_and_b32_e32 v3, 0xffff0000, v3
	v_mov_b32_e32 v4, 0x7fc00000
	v_cmp_o_f32_e32 vcc, v2, v2
	s_addc_u32 s3, s17, s3
	v_add_u32_e32 v2, s6, v0
	v_cndmask_b32_e32 v4, v4, v3, vcc
	s_mov_b64 s[4:5], 0
	v_mov_b32_e32 v5, 0x7fc0
.LBB261_22:                             ; =>This Inner Loop Header: Depth=1
	v_mul_lo_u32 v3, v1, s14
	v_mul_lo_u32 v6, v0, s15
	v_mad_u64_u32 v[0:1], s[12:13], v0, s14, 0
	v_add3_u32 v1, v1, v6, v3
	v_lshl_add_u64 v[6:7], v[0:1], 1, s[2:3]
	global_load_ushort v8, v[6:7], off
	v_ashrrev_i32_e32 v3, 31, v2
	v_mov_b64_e32 v[0:1], v[2:3]
	v_cmp_le_i64_e32 vcc, s[8:9], v[2:3]
	s_or_b64 s[4:5], vcc, s[4:5]
	v_add_u32_e32 v2, s6, v2
	s_waitcnt vmcnt(0)
	v_lshlrev_b32_e32 v3, 16, v8
	v_mul_f32_e32 v3, v4, v3
	v_bfe_u32 v8, v3, 16, 1
	v_cmp_o_f32_e32 vcc, v3, v3
	v_add3_u32 v3, v3, v8, s7
	s_nop 0
	v_cndmask_b32_sdwa v3, v5, v3, vcc dst_sel:DWORD dst_unused:UNUSED_PAD src0_sel:DWORD src1_sel:WORD_1
	global_store_short v[6:7], v3, off
	s_andn2_b64 exec, exec, s[4:5]
	s_cbranch_execnz .LBB261_22
.LBB261_23:
	s_or_b64 exec, exec, s[0:1]
.LBB261_24:
	s_and_b64 vcc, exec, s[10:11]
	s_cbranch_vccnz .LBB261_29
.LBB261_25:
	s_endpgm
.LBB261_26:
	v_lshl_add_u32 v8, v9, 2, 0
	ds_read_b32 v8, v8
	s_or_b64 exec, exec, s[0:1]
	v_cmp_gt_u32_e32 vcc, 64, v0
	s_and_saveexec_b64 s[0:1], vcc
	s_cbranch_execz .LBB261_18
.LBB261_27:
	s_waitcnt lgkmcnt(0)
	ds_bpermute_b32 v2, v2, v8
	s_waitcnt lgkmcnt(0)
	v_add_f32_e32 v2, v8, v2
	ds_bpermute_b32 v3, v3, v2
	s_waitcnt lgkmcnt(0)
	v_add_f32_e32 v2, v2, v3
	;; [unrolled: 3-line block ×6, first 2 shown]
	s_or_b64 exec, exec, s[0:1]
	v_cmp_eq_u32_e32 vcc, 0, v0
	s_and_saveexec_b64 s[6:7], vcc
	s_cbranch_execnz .LBB261_19
	s_branch .LBB261_20
.LBB261_28:
	s_cbranch_execz .LBB261_25
.LBB261_29:
	s_trap 2
	; divergent unreachable
	s_endpgm
	.section	.rodata,"a",@progbits
	.p2align	6, 0x0
	.amdhsa_kernel _ZN2at6native12_GLOBAL__N_113renorm_kernelIN3c108BFloat16EfKlEEvPT_PT1_T0_SA_llllPS5_
		.amdhsa_group_segment_fixed_size 0
		.amdhsa_private_segment_fixed_size 0
		.amdhsa_kernarg_size 320
		.amdhsa_user_sgpr_count 2
		.amdhsa_user_sgpr_dispatch_ptr 0
		.amdhsa_user_sgpr_queue_ptr 0
		.amdhsa_user_sgpr_kernarg_segment_ptr 1
		.amdhsa_user_sgpr_dispatch_id 0
		.amdhsa_user_sgpr_kernarg_preload_length 0
		.amdhsa_user_sgpr_kernarg_preload_offset 0
		.amdhsa_user_sgpr_private_segment_size 0
		.amdhsa_uses_dynamic_stack 0
		.amdhsa_enable_private_segment 0
		.amdhsa_system_sgpr_workgroup_id_x 1
		.amdhsa_system_sgpr_workgroup_id_y 0
		.amdhsa_system_sgpr_workgroup_id_z 0
		.amdhsa_system_sgpr_workgroup_info 0
		.amdhsa_system_vgpr_workitem_id 0
		.amdhsa_next_free_vgpr 25
		.amdhsa_next_free_sgpr 42
		.amdhsa_accum_offset 28
		.amdhsa_reserve_vcc 1
		.amdhsa_float_round_mode_32 0
		.amdhsa_float_round_mode_16_64 0
		.amdhsa_float_denorm_mode_32 3
		.amdhsa_float_denorm_mode_16_64 3
		.amdhsa_dx10_clamp 1
		.amdhsa_ieee_mode 1
		.amdhsa_fp16_overflow 0
		.amdhsa_tg_split 0
		.amdhsa_exception_fp_ieee_invalid_op 0
		.amdhsa_exception_fp_denorm_src 0
		.amdhsa_exception_fp_ieee_div_zero 0
		.amdhsa_exception_fp_ieee_overflow 0
		.amdhsa_exception_fp_ieee_underflow 0
		.amdhsa_exception_fp_ieee_inexact 0
		.amdhsa_exception_int_div_zero 0
	.end_amdhsa_kernel
	.section	.text._ZN2at6native12_GLOBAL__N_113renorm_kernelIN3c108BFloat16EfKlEEvPT_PT1_T0_SA_llllPS5_,"axG",@progbits,_ZN2at6native12_GLOBAL__N_113renorm_kernelIN3c108BFloat16EfKlEEvPT_PT1_T0_SA_llllPS5_,comdat
.Lfunc_end261:
	.size	_ZN2at6native12_GLOBAL__N_113renorm_kernelIN3c108BFloat16EfKlEEvPT_PT1_T0_SA_llllPS5_, .Lfunc_end261-_ZN2at6native12_GLOBAL__N_113renorm_kernelIN3c108BFloat16EfKlEEvPT_PT1_T0_SA_llllPS5_
                                        ; -- End function
	.set _ZN2at6native12_GLOBAL__N_113renorm_kernelIN3c108BFloat16EfKlEEvPT_PT1_T0_SA_llllPS5_.num_vgpr, 25
	.set _ZN2at6native12_GLOBAL__N_113renorm_kernelIN3c108BFloat16EfKlEEvPT_PT1_T0_SA_llllPS5_.num_agpr, 0
	.set _ZN2at6native12_GLOBAL__N_113renorm_kernelIN3c108BFloat16EfKlEEvPT_PT1_T0_SA_llllPS5_.numbered_sgpr, 42
	.set _ZN2at6native12_GLOBAL__N_113renorm_kernelIN3c108BFloat16EfKlEEvPT_PT1_T0_SA_llllPS5_.num_named_barrier, 0
	.set _ZN2at6native12_GLOBAL__N_113renorm_kernelIN3c108BFloat16EfKlEEvPT_PT1_T0_SA_llllPS5_.private_seg_size, 0
	.set _ZN2at6native12_GLOBAL__N_113renorm_kernelIN3c108BFloat16EfKlEEvPT_PT1_T0_SA_llllPS5_.uses_vcc, 1
	.set _ZN2at6native12_GLOBAL__N_113renorm_kernelIN3c108BFloat16EfKlEEvPT_PT1_T0_SA_llllPS5_.uses_flat_scratch, 0
	.set _ZN2at6native12_GLOBAL__N_113renorm_kernelIN3c108BFloat16EfKlEEvPT_PT1_T0_SA_llllPS5_.has_dyn_sized_stack, 0
	.set _ZN2at6native12_GLOBAL__N_113renorm_kernelIN3c108BFloat16EfKlEEvPT_PT1_T0_SA_llllPS5_.has_recursion, 0
	.set _ZN2at6native12_GLOBAL__N_113renorm_kernelIN3c108BFloat16EfKlEEvPT_PT1_T0_SA_llllPS5_.has_indirect_call, 0
	.section	.AMDGPU.csdata,"",@progbits
; Kernel info:
; codeLenInByte = 3560
; TotalNumSgprs: 48
; NumVgprs: 25
; NumAgprs: 0
; TotalNumVgprs: 25
; ScratchSize: 0
; MemoryBound: 0
; FloatMode: 240
; IeeeMode: 1
; LDSByteSize: 0 bytes/workgroup (compile time only)
; SGPRBlocks: 5
; VGPRBlocks: 3
; NumSGPRsForWavesPerEU: 48
; NumVGPRsForWavesPerEU: 25
; AccumOffset: 28
; Occupancy: 8
; WaveLimiterHint : 1
; COMPUTE_PGM_RSRC2:SCRATCH_EN: 0
; COMPUTE_PGM_RSRC2:USER_SGPR: 2
; COMPUTE_PGM_RSRC2:TRAP_HANDLER: 0
; COMPUTE_PGM_RSRC2:TGID_X_EN: 1
; COMPUTE_PGM_RSRC2:TGID_Y_EN: 0
; COMPUTE_PGM_RSRC2:TGID_Z_EN: 0
; COMPUTE_PGM_RSRC2:TIDIG_COMP_CNT: 0
; COMPUTE_PGM_RSRC3_GFX90A:ACCUM_OFFSET: 6
; COMPUTE_PGM_RSRC3_GFX90A:TG_SPLIT: 0
	.section	.AMDGPU.gpr_maximums,"",@progbits
	.set amdgpu.max_num_vgpr, 0
	.set amdgpu.max_num_agpr, 0
	.set amdgpu.max_num_sgpr, 0
	.section	.AMDGPU.csdata,"",@progbits
	.type	.str.4,@object                  ; @.str.4
	.section	.rodata.str1.1,"aMS",@progbits,1
.str.4:
	.asciz	"embedding_renorm_: index out of bounds"
	.size	.str.4, 39

	.type	__hip_cuid_68b727e07396db9d,@object ; @__hip_cuid_68b727e07396db9d
	.section	.bss,"aw",@nobits
	.globl	__hip_cuid_68b727e07396db9d
__hip_cuid_68b727e07396db9d:
	.byte	0                               ; 0x0
	.size	__hip_cuid_68b727e07396db9d, 1

	.ident	"AMD clang version 22.0.0git (https://github.com/RadeonOpenCompute/llvm-project roc-7.2.4 26084 f58b06dce1f9c15707c5f808fd002e18c2accf7e)"
	.section	".note.GNU-stack","",@progbits
	.addrsig
	.addrsig_sym __hip_cuid_68b727e07396db9d
	.amdgpu_metadata
---
amdhsa.kernels:
  - .agpr_count:     0
    .args:
      - .address_space:  global
        .offset:         0
        .size:           8
        .value_kind:     global_buffer
      - .actual_access:  read_only
        .address_space:  global
        .offset:         8
        .size:           8
        .value_kind:     global_buffer
      - .address_space:  global
        .offset:         16
        .size:           8
        .value_kind:     global_buffer
      - .offset:         24
        .size:           4
        .value_kind:     by_value
      - .offset:         32
        .size:           8
        .value_kind:     by_value
      - .offset:         40
        .size:           4
        .value_kind:     by_value
      - .offset:         48
        .size:           4
        .value_kind:     hidden_block_count_x
      - .offset:         52
        .size:           4
        .value_kind:     hidden_block_count_y
      - .offset:         56
        .size:           4
        .value_kind:     hidden_block_count_z
      - .offset:         60
        .size:           2
        .value_kind:     hidden_group_size_x
      - .offset:         62
        .size:           2
        .value_kind:     hidden_group_size_y
      - .offset:         64
        .size:           2
        .value_kind:     hidden_group_size_z
      - .offset:         66
        .size:           2
        .value_kind:     hidden_remainder_x
      - .offset:         68
        .size:           2
        .value_kind:     hidden_remainder_y
      - .offset:         70
        .size:           2
        .value_kind:     hidden_remainder_z
      - .offset:         88
        .size:           8
        .value_kind:     hidden_global_offset_x
      - .offset:         96
        .size:           8
        .value_kind:     hidden_global_offset_y
      - .offset:         104
        .size:           8
        .value_kind:     hidden_global_offset_z
      - .offset:         112
        .size:           2
        .value_kind:     hidden_grid_dims
      - .offset:         168
        .size:           4
        .value_kind:     hidden_dynamic_lds_size
    .group_segment_fixed_size: 0
    .kernarg_segment_align: 8
    .kernarg_segment_size: 304
    .language:       OpenCL C
    .language_version:
      - 2
      - 0
    .max_flat_workgroup_size: 1024
    .name:           _ZN2at6native12_GLOBAL__N_133embedding_backward_feature_kernelIddiEEvPKT1_PKT_PS6_ili
    .private_segment_fixed_size: 0
    .sgpr_count:     29
    .sgpr_spill_count: 0
    .symbol:         _ZN2at6native12_GLOBAL__N_133embedding_backward_feature_kernelIddiEEvPKT1_PKT_PS6_ili.kd
    .uniform_work_group_size: 1
    .uses_dynamic_stack: false
    .vgpr_count:     24
    .vgpr_spill_count: 0
    .wavefront_size: 64
  - .agpr_count:     0
    .args:
      - .address_space:  global
        .offset:         0
        .size:           8
        .value_kind:     global_buffer
      - .actual_access:  read_only
        .address_space:  global
        .offset:         8
        .size:           8
        .value_kind:     global_buffer
      - .address_space:  global
        .offset:         16
        .size:           8
        .value_kind:     global_buffer
      - .offset:         24
        .size:           4
        .value_kind:     by_value
      - .offset:         32
        .size:           8
        .value_kind:     by_value
      - .offset:         40
        .size:           4
        .value_kind:     by_value
      - .offset:         48
        .size:           4
        .value_kind:     hidden_block_count_x
      - .offset:         52
        .size:           4
        .value_kind:     hidden_block_count_y
      - .offset:         56
        .size:           4
        .value_kind:     hidden_block_count_z
      - .offset:         60
        .size:           2
        .value_kind:     hidden_group_size_x
      - .offset:         62
        .size:           2
        .value_kind:     hidden_group_size_y
      - .offset:         64
        .size:           2
        .value_kind:     hidden_group_size_z
      - .offset:         66
        .size:           2
        .value_kind:     hidden_remainder_x
      - .offset:         68
        .size:           2
        .value_kind:     hidden_remainder_y
      - .offset:         70
        .size:           2
        .value_kind:     hidden_remainder_z
      - .offset:         88
        .size:           8
        .value_kind:     hidden_global_offset_x
      - .offset:         96
        .size:           8
        .value_kind:     hidden_global_offset_y
      - .offset:         104
        .size:           8
        .value_kind:     hidden_global_offset_z
      - .offset:         112
        .size:           2
        .value_kind:     hidden_grid_dims
      - .offset:         168
        .size:           4
        .value_kind:     hidden_dynamic_lds_size
    .group_segment_fixed_size: 0
    .kernarg_segment_align: 8
    .kernarg_segment_size: 304
    .language:       OpenCL C
    .language_version:
      - 2
      - 0
    .max_flat_workgroup_size: 1024
    .name:           _ZN2at6native12_GLOBAL__N_133embedding_backward_feature_kernelIddlEEvPKT1_PKT_PS6_ili
    .private_segment_fixed_size: 0
    .sgpr_count:     29
    .sgpr_spill_count: 0
    .symbol:         _ZN2at6native12_GLOBAL__N_133embedding_backward_feature_kernelIddlEEvPKT1_PKT_PS6_ili.kd
    .uniform_work_group_size: 1
    .uses_dynamic_stack: false
    .vgpr_count:     24
    .vgpr_spill_count: 0
    .wavefront_size: 64
  - .agpr_count:     0
    .args:
      - .address_space:  global
        .offset:         0
        .size:           8
        .value_kind:     global_buffer
      - .actual_access:  read_only
        .address_space:  global
        .offset:         8
        .size:           8
        .value_kind:     global_buffer
      - .address_space:  global
        .offset:         16
        .size:           8
        .value_kind:     global_buffer
      - .offset:         24
        .size:           4
        .value_kind:     by_value
      - .offset:         32
        .size:           8
        .value_kind:     by_value
      - .offset:         40
        .size:           4
        .value_kind:     by_value
      - .offset:         48
        .size:           4
        .value_kind:     hidden_block_count_x
      - .offset:         52
        .size:           4
        .value_kind:     hidden_block_count_y
      - .offset:         56
        .size:           4
        .value_kind:     hidden_block_count_z
      - .offset:         60
        .size:           2
        .value_kind:     hidden_group_size_x
      - .offset:         62
        .size:           2
        .value_kind:     hidden_group_size_y
      - .offset:         64
        .size:           2
        .value_kind:     hidden_group_size_z
      - .offset:         66
        .size:           2
        .value_kind:     hidden_remainder_x
      - .offset:         68
        .size:           2
        .value_kind:     hidden_remainder_y
      - .offset:         70
        .size:           2
        .value_kind:     hidden_remainder_z
      - .offset:         88
        .size:           8
        .value_kind:     hidden_global_offset_x
      - .offset:         96
        .size:           8
        .value_kind:     hidden_global_offset_y
      - .offset:         104
        .size:           8
        .value_kind:     hidden_global_offset_z
      - .offset:         112
        .size:           2
        .value_kind:     hidden_grid_dims
      - .offset:         168
        .size:           4
        .value_kind:     hidden_dynamic_lds_size
    .group_segment_fixed_size: 0
    .kernarg_segment_align: 8
    .kernarg_segment_size: 304
    .language:       OpenCL C
    .language_version:
      - 2
      - 0
    .max_flat_workgroup_size: 1024
    .name:           _ZN2at6native12_GLOBAL__N_133embedding_backward_feature_kernelIffiEEvPKT1_PKT_PS6_ili
    .private_segment_fixed_size: 0
    .sgpr_count:     29
    .sgpr_spill_count: 0
    .symbol:         _ZN2at6native12_GLOBAL__N_133embedding_backward_feature_kernelIffiEEvPKT1_PKT_PS6_ili.kd
    .uniform_work_group_size: 1
    .uses_dynamic_stack: false
    .vgpr_count:     22
    .vgpr_spill_count: 0
    .wavefront_size: 64
  - .agpr_count:     0
    .args:
      - .address_space:  global
        .offset:         0
        .size:           8
        .value_kind:     global_buffer
      - .actual_access:  read_only
        .address_space:  global
        .offset:         8
        .size:           8
        .value_kind:     global_buffer
      - .address_space:  global
        .offset:         16
        .size:           8
        .value_kind:     global_buffer
      - .offset:         24
        .size:           4
        .value_kind:     by_value
      - .offset:         32
        .size:           8
        .value_kind:     by_value
      - .offset:         40
        .size:           4
        .value_kind:     by_value
      - .offset:         48
        .size:           4
        .value_kind:     hidden_block_count_x
      - .offset:         52
        .size:           4
        .value_kind:     hidden_block_count_y
      - .offset:         56
        .size:           4
        .value_kind:     hidden_block_count_z
      - .offset:         60
        .size:           2
        .value_kind:     hidden_group_size_x
      - .offset:         62
        .size:           2
        .value_kind:     hidden_group_size_y
      - .offset:         64
        .size:           2
        .value_kind:     hidden_group_size_z
      - .offset:         66
        .size:           2
        .value_kind:     hidden_remainder_x
      - .offset:         68
        .size:           2
        .value_kind:     hidden_remainder_y
      - .offset:         70
        .size:           2
        .value_kind:     hidden_remainder_z
      - .offset:         88
        .size:           8
        .value_kind:     hidden_global_offset_x
      - .offset:         96
        .size:           8
        .value_kind:     hidden_global_offset_y
      - .offset:         104
        .size:           8
        .value_kind:     hidden_global_offset_z
      - .offset:         112
        .size:           2
        .value_kind:     hidden_grid_dims
      - .offset:         168
        .size:           4
        .value_kind:     hidden_dynamic_lds_size
    .group_segment_fixed_size: 0
    .kernarg_segment_align: 8
    .kernarg_segment_size: 304
    .language:       OpenCL C
    .language_version:
      - 2
      - 0
    .max_flat_workgroup_size: 1024
    .name:           _ZN2at6native12_GLOBAL__N_133embedding_backward_feature_kernelIfflEEvPKT1_PKT_PS6_ili
    .private_segment_fixed_size: 0
    .sgpr_count:     29
    .sgpr_spill_count: 0
    .symbol:         _ZN2at6native12_GLOBAL__N_133embedding_backward_feature_kernelIfflEEvPKT1_PKT_PS6_ili.kd
    .uniform_work_group_size: 1
    .uses_dynamic_stack: false
    .vgpr_count:     22
    .vgpr_spill_count: 0
    .wavefront_size: 64
  - .agpr_count:     0
    .args:
      - .address_space:  global
        .offset:         0
        .size:           8
        .value_kind:     global_buffer
      - .actual_access:  read_only
        .address_space:  global
        .offset:         8
        .size:           8
        .value_kind:     global_buffer
      - .address_space:  global
        .offset:         16
        .size:           8
        .value_kind:     global_buffer
      - .offset:         24
        .size:           4
        .value_kind:     by_value
      - .offset:         32
        .size:           8
        .value_kind:     by_value
      - .offset:         40
        .size:           4
        .value_kind:     by_value
      - .offset:         48
        .size:           4
        .value_kind:     hidden_block_count_x
      - .offset:         52
        .size:           4
        .value_kind:     hidden_block_count_y
      - .offset:         56
        .size:           4
        .value_kind:     hidden_block_count_z
      - .offset:         60
        .size:           2
        .value_kind:     hidden_group_size_x
      - .offset:         62
        .size:           2
        .value_kind:     hidden_group_size_y
      - .offset:         64
        .size:           2
        .value_kind:     hidden_group_size_z
      - .offset:         66
        .size:           2
        .value_kind:     hidden_remainder_x
      - .offset:         68
        .size:           2
        .value_kind:     hidden_remainder_y
      - .offset:         70
        .size:           2
        .value_kind:     hidden_remainder_z
      - .offset:         88
        .size:           8
        .value_kind:     hidden_global_offset_x
      - .offset:         96
        .size:           8
        .value_kind:     hidden_global_offset_y
      - .offset:         104
        .size:           8
        .value_kind:     hidden_global_offset_z
      - .offset:         112
        .size:           2
        .value_kind:     hidden_grid_dims
      - .offset:         168
        .size:           4
        .value_kind:     hidden_dynamic_lds_size
    .group_segment_fixed_size: 0
    .kernarg_segment_align: 8
    .kernarg_segment_size: 304
    .language:       OpenCL C
    .language_version:
      - 2
      - 0
    .max_flat_workgroup_size: 1024
    .name:           _ZN2at6native12_GLOBAL__N_133embedding_backward_feature_kernelIN3c104HalfEfiEEvPKT1_PKT_PS8_ili
    .private_segment_fixed_size: 0
    .sgpr_count:     29
    .sgpr_spill_count: 0
    .symbol:         _ZN2at6native12_GLOBAL__N_133embedding_backward_feature_kernelIN3c104HalfEfiEEvPKT1_PKT_PS8_ili.kd
    .uniform_work_group_size: 1
    .uses_dynamic_stack: false
    .vgpr_count:     22
    .vgpr_spill_count: 0
    .wavefront_size: 64
  - .agpr_count:     0
    .args:
      - .address_space:  global
        .offset:         0
        .size:           8
        .value_kind:     global_buffer
      - .actual_access:  read_only
        .address_space:  global
        .offset:         8
        .size:           8
        .value_kind:     global_buffer
      - .address_space:  global
        .offset:         16
        .size:           8
        .value_kind:     global_buffer
      - .offset:         24
        .size:           4
        .value_kind:     by_value
      - .offset:         32
        .size:           8
        .value_kind:     by_value
      - .offset:         40
        .size:           4
        .value_kind:     by_value
      - .offset:         48
        .size:           4
        .value_kind:     hidden_block_count_x
      - .offset:         52
        .size:           4
        .value_kind:     hidden_block_count_y
      - .offset:         56
        .size:           4
        .value_kind:     hidden_block_count_z
      - .offset:         60
        .size:           2
        .value_kind:     hidden_group_size_x
      - .offset:         62
        .size:           2
        .value_kind:     hidden_group_size_y
      - .offset:         64
        .size:           2
        .value_kind:     hidden_group_size_z
      - .offset:         66
        .size:           2
        .value_kind:     hidden_remainder_x
      - .offset:         68
        .size:           2
        .value_kind:     hidden_remainder_y
      - .offset:         70
        .size:           2
        .value_kind:     hidden_remainder_z
      - .offset:         88
        .size:           8
        .value_kind:     hidden_global_offset_x
      - .offset:         96
        .size:           8
        .value_kind:     hidden_global_offset_y
      - .offset:         104
        .size:           8
        .value_kind:     hidden_global_offset_z
      - .offset:         112
        .size:           2
        .value_kind:     hidden_grid_dims
      - .offset:         168
        .size:           4
        .value_kind:     hidden_dynamic_lds_size
    .group_segment_fixed_size: 0
    .kernarg_segment_align: 8
    .kernarg_segment_size: 304
    .language:       OpenCL C
    .language_version:
      - 2
      - 0
    .max_flat_workgroup_size: 1024
    .name:           _ZN2at6native12_GLOBAL__N_133embedding_backward_feature_kernelIN3c104HalfEflEEvPKT1_PKT_PS8_ili
    .private_segment_fixed_size: 0
    .sgpr_count:     29
    .sgpr_spill_count: 0
    .symbol:         _ZN2at6native12_GLOBAL__N_133embedding_backward_feature_kernelIN3c104HalfEflEEvPKT1_PKT_PS8_ili.kd
    .uniform_work_group_size: 1
    .uses_dynamic_stack: false
    .vgpr_count:     22
    .vgpr_spill_count: 0
    .wavefront_size: 64
  - .agpr_count:     0
    .args:
      - .address_space:  global
        .offset:         0
        .size:           8
        .value_kind:     global_buffer
      - .actual_access:  read_only
        .address_space:  global
        .offset:         8
        .size:           8
        .value_kind:     global_buffer
      - .address_space:  global
        .offset:         16
        .size:           8
        .value_kind:     global_buffer
      - .offset:         24
        .size:           4
        .value_kind:     by_value
      - .offset:         32
        .size:           8
        .value_kind:     by_value
      - .offset:         40
        .size:           4
        .value_kind:     by_value
      - .offset:         48
        .size:           4
        .value_kind:     hidden_block_count_x
      - .offset:         52
        .size:           4
        .value_kind:     hidden_block_count_y
      - .offset:         56
        .size:           4
        .value_kind:     hidden_block_count_z
      - .offset:         60
        .size:           2
        .value_kind:     hidden_group_size_x
      - .offset:         62
        .size:           2
        .value_kind:     hidden_group_size_y
      - .offset:         64
        .size:           2
        .value_kind:     hidden_group_size_z
      - .offset:         66
        .size:           2
        .value_kind:     hidden_remainder_x
      - .offset:         68
        .size:           2
        .value_kind:     hidden_remainder_y
      - .offset:         70
        .size:           2
        .value_kind:     hidden_remainder_z
      - .offset:         88
        .size:           8
        .value_kind:     hidden_global_offset_x
      - .offset:         96
        .size:           8
        .value_kind:     hidden_global_offset_y
      - .offset:         104
        .size:           8
        .value_kind:     hidden_global_offset_z
      - .offset:         112
        .size:           2
        .value_kind:     hidden_grid_dims
      - .offset:         168
        .size:           4
        .value_kind:     hidden_dynamic_lds_size
    .group_segment_fixed_size: 0
    .kernarg_segment_align: 8
    .kernarg_segment_size: 304
    .language:       OpenCL C
    .language_version:
      - 2
      - 0
    .max_flat_workgroup_size: 1024
    .name:           _ZN2at6native12_GLOBAL__N_133embedding_backward_feature_kernelIN3c108BFloat16EfiEEvPKT1_PKT_PS8_ili
    .private_segment_fixed_size: 0
    .sgpr_count:     30
    .sgpr_spill_count: 0
    .symbol:         _ZN2at6native12_GLOBAL__N_133embedding_backward_feature_kernelIN3c108BFloat16EfiEEvPKT1_PKT_PS8_ili.kd
    .uniform_work_group_size: 1
    .uses_dynamic_stack: false
    .vgpr_count:     24
    .vgpr_spill_count: 0
    .wavefront_size: 64
  - .agpr_count:     0
    .args:
      - .address_space:  global
        .offset:         0
        .size:           8
        .value_kind:     global_buffer
      - .actual_access:  read_only
        .address_space:  global
        .offset:         8
        .size:           8
        .value_kind:     global_buffer
      - .address_space:  global
        .offset:         16
        .size:           8
        .value_kind:     global_buffer
      - .offset:         24
        .size:           4
        .value_kind:     by_value
      - .offset:         32
        .size:           8
        .value_kind:     by_value
      - .offset:         40
        .size:           4
        .value_kind:     by_value
      - .offset:         48
        .size:           4
        .value_kind:     hidden_block_count_x
      - .offset:         52
        .size:           4
        .value_kind:     hidden_block_count_y
      - .offset:         56
        .size:           4
        .value_kind:     hidden_block_count_z
      - .offset:         60
        .size:           2
        .value_kind:     hidden_group_size_x
      - .offset:         62
        .size:           2
        .value_kind:     hidden_group_size_y
      - .offset:         64
        .size:           2
        .value_kind:     hidden_group_size_z
      - .offset:         66
        .size:           2
        .value_kind:     hidden_remainder_x
      - .offset:         68
        .size:           2
        .value_kind:     hidden_remainder_y
      - .offset:         70
        .size:           2
        .value_kind:     hidden_remainder_z
      - .offset:         88
        .size:           8
        .value_kind:     hidden_global_offset_x
      - .offset:         96
        .size:           8
        .value_kind:     hidden_global_offset_y
      - .offset:         104
        .size:           8
        .value_kind:     hidden_global_offset_z
      - .offset:         112
        .size:           2
        .value_kind:     hidden_grid_dims
      - .offset:         168
        .size:           4
        .value_kind:     hidden_dynamic_lds_size
    .group_segment_fixed_size: 0
    .kernarg_segment_align: 8
    .kernarg_segment_size: 304
    .language:       OpenCL C
    .language_version:
      - 2
      - 0
    .max_flat_workgroup_size: 1024
    .name:           _ZN2at6native12_GLOBAL__N_133embedding_backward_feature_kernelIN3c108BFloat16EflEEvPKT1_PKT_PS8_ili
    .private_segment_fixed_size: 0
    .sgpr_count:     30
    .sgpr_spill_count: 0
    .symbol:         _ZN2at6native12_GLOBAL__N_133embedding_backward_feature_kernelIN3c108BFloat16EflEEvPKT1_PKT_PS8_ili.kd
    .uniform_work_group_size: 1
    .uses_dynamic_stack: false
    .vgpr_count:     24
    .vgpr_spill_count: 0
    .wavefront_size: 64
  - .agpr_count:     0
    .args:
      - .address_space:  global
        .offset:         0
        .size:           8
        .value_kind:     global_buffer
      - .offset:         8
        .size:           4
        .value_kind:     by_value
      - .offset:         12
        .size:           4
        .value_kind:     by_value
      - .address_space:  global
        .offset:         16
        .size:           8
        .value_kind:     global_buffer
      - .address_space:  global
        .offset:         24
        .size:           8
        .value_kind:     global_buffer
      - .actual_access:  write_only
        .address_space:  global
        .offset:         32
        .size:           8
        .value_kind:     global_buffer
      - .offset:         40
        .size:           8
        .value_kind:     by_value
      - .offset:         48
        .size:           4
        .value_kind:     by_value
      - .offset:         52
        .size:           1
        .value_kind:     by_value
      - .offset:         56
        .size:           4
        .value_kind:     hidden_block_count_x
      - .offset:         60
        .size:           4
        .value_kind:     hidden_block_count_y
      - .offset:         64
        .size:           4
        .value_kind:     hidden_block_count_z
      - .offset:         68
        .size:           2
        .value_kind:     hidden_group_size_x
      - .offset:         70
        .size:           2
        .value_kind:     hidden_group_size_y
      - .offset:         72
        .size:           2
        .value_kind:     hidden_group_size_z
      - .offset:         74
        .size:           2
        .value_kind:     hidden_remainder_x
      - .offset:         76
        .size:           2
        .value_kind:     hidden_remainder_y
      - .offset:         78
        .size:           2
        .value_kind:     hidden_remainder_z
      - .offset:         96
        .size:           8
        .value_kind:     hidden_global_offset_x
      - .offset:         104
        .size:           8
        .value_kind:     hidden_global_offset_y
      - .offset:         112
        .size:           8
        .value_kind:     hidden_global_offset_z
      - .offset:         120
        .size:           2
        .value_kind:     hidden_grid_dims
    .group_segment_fixed_size: 0
    .kernarg_segment_align: 8
    .kernarg_segment_size: 312
    .language:       OpenCL C
    .language_version:
      - 2
      - 0
    .max_flat_workgroup_size: 256
    .name:           _ZN7rocprim17ROCPRIM_400000_NS6detail30init_device_scan_by_key_kernelINS1_19lookback_scan_stateINS0_5tupleIJibEEELb0ELb1EEEPKijNS1_16block_id_wrapperIjLb0EEEEEvT_jjPNSB_10value_typeET0_PNSt15iterator_traitsISE_E10value_typeEmT1_T2_
    .private_segment_fixed_size: 0
    .sgpr_count:     26
    .sgpr_spill_count: 0
    .symbol:         _ZN7rocprim17ROCPRIM_400000_NS6detail30init_device_scan_by_key_kernelINS1_19lookback_scan_stateINS0_5tupleIJibEEELb0ELb1EEEPKijNS1_16block_id_wrapperIjLb0EEEEEvT_jjPNSB_10value_typeET0_PNSt15iterator_traitsISE_E10value_typeEmT1_T2_.kd
    .uniform_work_group_size: 1
    .uses_dynamic_stack: false
    .vgpr_count:     10
    .vgpr_spill_count: 0
    .wavefront_size: 64
  - .agpr_count:     0
    .args:
      - .address_space:  global
        .offset:         0
        .size:           8
        .value_kind:     global_buffer
      - .offset:         8
        .size:           4
        .value_kind:     by_value
      - .offset:         12
        .size:           4
        .value_kind:     by_value
      - .address_space:  global
        .offset:         16
        .size:           8
        .value_kind:     global_buffer
      - .offset:         24
        .size:           1
        .value_kind:     by_value
      - .offset:         32
        .size:           4
        .value_kind:     hidden_block_count_x
      - .offset:         36
        .size:           4
        .value_kind:     hidden_block_count_y
      - .offset:         40
        .size:           4
        .value_kind:     hidden_block_count_z
      - .offset:         44
        .size:           2
        .value_kind:     hidden_group_size_x
      - .offset:         46
        .size:           2
        .value_kind:     hidden_group_size_y
      - .offset:         48
        .size:           2
        .value_kind:     hidden_group_size_z
      - .offset:         50
        .size:           2
        .value_kind:     hidden_remainder_x
      - .offset:         52
        .size:           2
        .value_kind:     hidden_remainder_y
      - .offset:         54
        .size:           2
        .value_kind:     hidden_remainder_z
      - .offset:         72
        .size:           8
        .value_kind:     hidden_global_offset_x
      - .offset:         80
        .size:           8
        .value_kind:     hidden_global_offset_y
      - .offset:         88
        .size:           8
        .value_kind:     hidden_global_offset_z
      - .offset:         96
        .size:           2
        .value_kind:     hidden_grid_dims
    .group_segment_fixed_size: 0
    .kernarg_segment_align: 8
    .kernarg_segment_size: 288
    .language:       OpenCL C
    .language_version:
      - 2
      - 0
    .max_flat_workgroup_size: 256
    .name:           _ZN7rocprim17ROCPRIM_400000_NS6detail30init_device_scan_by_key_kernelINS1_19lookback_scan_stateINS0_5tupleIJibEEELb0ELb1EEENS1_16block_id_wrapperIjLb0EEEEEvT_jjPNS9_10value_typeET0_
    .private_segment_fixed_size: 0
    .sgpr_count:     20
    .sgpr_spill_count: 0
    .symbol:         _ZN7rocprim17ROCPRIM_400000_NS6detail30init_device_scan_by_key_kernelINS1_19lookback_scan_stateINS0_5tupleIJibEEELb0ELb1EEENS1_16block_id_wrapperIjLb0EEEEEvT_jjPNS9_10value_typeET0_.kd
    .uniform_work_group_size: 1
    .uses_dynamic_stack: false
    .vgpr_count:     10
    .vgpr_spill_count: 0
    .wavefront_size: 64
  - .agpr_count:     0
    .args:
      - .offset:         0
        .size:           120
        .value_kind:     by_value
    .group_segment_fixed_size: 14336
    .kernarg_segment_align: 8
    .kernarg_segment_size: 120
    .language:       OpenCL C
    .language_version:
      - 2
      - 0
    .max_flat_workgroup_size: 256
    .name:           _ZN7rocprim17ROCPRIM_400000_NS6detail17trampoline_kernelINS0_14default_configENS1_27scan_by_key_config_selectorIiiEEZZNS1_16scan_by_key_implILNS1_25lookback_scan_determinismE0ELb0ES3_PKiN6hipcub16HIPCUB_304000_NS21ConstantInputIteratorIilEEPiiNSB_3SumENSB_8EqualityEiEE10hipError_tPvRmT2_T3_T4_T5_mT6_T7_P12ihipStream_tbENKUlT_T0_E_clISt17integral_constantIbLb0EESX_EEDaSS_ST_EUlSS_E_NS1_11comp_targetILNS1_3genE0ELNS1_11target_archE4294967295ELNS1_3gpuE0ELNS1_3repE0EEENS1_30default_config_static_selectorELNS0_4arch9wavefront6targetE1EEEvT1_
    .private_segment_fixed_size: 0
    .sgpr_count:     62
    .sgpr_spill_count: 0
    .symbol:         _ZN7rocprim17ROCPRIM_400000_NS6detail17trampoline_kernelINS0_14default_configENS1_27scan_by_key_config_selectorIiiEEZZNS1_16scan_by_key_implILNS1_25lookback_scan_determinismE0ELb0ES3_PKiN6hipcub16HIPCUB_304000_NS21ConstantInputIteratorIilEEPiiNSB_3SumENSB_8EqualityEiEE10hipError_tPvRmT2_T3_T4_T5_mT6_T7_P12ihipStream_tbENKUlT_T0_E_clISt17integral_constantIbLb0EESX_EEDaSS_ST_EUlSS_E_NS1_11comp_targetILNS1_3genE0ELNS1_11target_archE4294967295ELNS1_3gpuE0ELNS1_3repE0EEENS1_30default_config_static_selectorELNS0_4arch9wavefront6targetE1EEEvT1_.kd
    .uniform_work_group_size: 1
    .uses_dynamic_stack: false
    .vgpr_count:     62
    .vgpr_spill_count: 0
    .wavefront_size: 64
  - .agpr_count:     0
    .args:
      - .offset:         0
        .size:           120
        .value_kind:     by_value
    .group_segment_fixed_size: 0
    .kernarg_segment_align: 8
    .kernarg_segment_size: 120
    .language:       OpenCL C
    .language_version:
      - 2
      - 0
    .max_flat_workgroup_size: 256
    .name:           _ZN7rocprim17ROCPRIM_400000_NS6detail17trampoline_kernelINS0_14default_configENS1_27scan_by_key_config_selectorIiiEEZZNS1_16scan_by_key_implILNS1_25lookback_scan_determinismE0ELb0ES3_PKiN6hipcub16HIPCUB_304000_NS21ConstantInputIteratorIilEEPiiNSB_3SumENSB_8EqualityEiEE10hipError_tPvRmT2_T3_T4_T5_mT6_T7_P12ihipStream_tbENKUlT_T0_E_clISt17integral_constantIbLb0EESX_EEDaSS_ST_EUlSS_E_NS1_11comp_targetILNS1_3genE10ELNS1_11target_archE1201ELNS1_3gpuE5ELNS1_3repE0EEENS1_30default_config_static_selectorELNS0_4arch9wavefront6targetE1EEEvT1_
    .private_segment_fixed_size: 0
    .sgpr_count:     6
    .sgpr_spill_count: 0
    .symbol:         _ZN7rocprim17ROCPRIM_400000_NS6detail17trampoline_kernelINS0_14default_configENS1_27scan_by_key_config_selectorIiiEEZZNS1_16scan_by_key_implILNS1_25lookback_scan_determinismE0ELb0ES3_PKiN6hipcub16HIPCUB_304000_NS21ConstantInputIteratorIilEEPiiNSB_3SumENSB_8EqualityEiEE10hipError_tPvRmT2_T3_T4_T5_mT6_T7_P12ihipStream_tbENKUlT_T0_E_clISt17integral_constantIbLb0EESX_EEDaSS_ST_EUlSS_E_NS1_11comp_targetILNS1_3genE10ELNS1_11target_archE1201ELNS1_3gpuE5ELNS1_3repE0EEENS1_30default_config_static_selectorELNS0_4arch9wavefront6targetE1EEEvT1_.kd
    .uniform_work_group_size: 1
    .uses_dynamic_stack: false
    .vgpr_count:     0
    .vgpr_spill_count: 0
    .wavefront_size: 64
  - .agpr_count:     0
    .args:
      - .offset:         0
        .size:           120
        .value_kind:     by_value
    .group_segment_fixed_size: 0
    .kernarg_segment_align: 8
    .kernarg_segment_size: 120
    .language:       OpenCL C
    .language_version:
      - 2
      - 0
    .max_flat_workgroup_size: 256
    .name:           _ZN7rocprim17ROCPRIM_400000_NS6detail17trampoline_kernelINS0_14default_configENS1_27scan_by_key_config_selectorIiiEEZZNS1_16scan_by_key_implILNS1_25lookback_scan_determinismE0ELb0ES3_PKiN6hipcub16HIPCUB_304000_NS21ConstantInputIteratorIilEEPiiNSB_3SumENSB_8EqualityEiEE10hipError_tPvRmT2_T3_T4_T5_mT6_T7_P12ihipStream_tbENKUlT_T0_E_clISt17integral_constantIbLb0EESX_EEDaSS_ST_EUlSS_E_NS1_11comp_targetILNS1_3genE5ELNS1_11target_archE942ELNS1_3gpuE9ELNS1_3repE0EEENS1_30default_config_static_selectorELNS0_4arch9wavefront6targetE1EEEvT1_
    .private_segment_fixed_size: 0
    .sgpr_count:     6
    .sgpr_spill_count: 0
    .symbol:         _ZN7rocprim17ROCPRIM_400000_NS6detail17trampoline_kernelINS0_14default_configENS1_27scan_by_key_config_selectorIiiEEZZNS1_16scan_by_key_implILNS1_25lookback_scan_determinismE0ELb0ES3_PKiN6hipcub16HIPCUB_304000_NS21ConstantInputIteratorIilEEPiiNSB_3SumENSB_8EqualityEiEE10hipError_tPvRmT2_T3_T4_T5_mT6_T7_P12ihipStream_tbENKUlT_T0_E_clISt17integral_constantIbLb0EESX_EEDaSS_ST_EUlSS_E_NS1_11comp_targetILNS1_3genE5ELNS1_11target_archE942ELNS1_3gpuE9ELNS1_3repE0EEENS1_30default_config_static_selectorELNS0_4arch9wavefront6targetE1EEEvT1_.kd
    .uniform_work_group_size: 1
    .uses_dynamic_stack: false
    .vgpr_count:     0
    .vgpr_spill_count: 0
    .wavefront_size: 64
  - .agpr_count:     0
    .args:
      - .offset:         0
        .size:           120
        .value_kind:     by_value
    .group_segment_fixed_size: 0
    .kernarg_segment_align: 8
    .kernarg_segment_size: 120
    .language:       OpenCL C
    .language_version:
      - 2
      - 0
    .max_flat_workgroup_size: 256
    .name:           _ZN7rocprim17ROCPRIM_400000_NS6detail17trampoline_kernelINS0_14default_configENS1_27scan_by_key_config_selectorIiiEEZZNS1_16scan_by_key_implILNS1_25lookback_scan_determinismE0ELb0ES3_PKiN6hipcub16HIPCUB_304000_NS21ConstantInputIteratorIilEEPiiNSB_3SumENSB_8EqualityEiEE10hipError_tPvRmT2_T3_T4_T5_mT6_T7_P12ihipStream_tbENKUlT_T0_E_clISt17integral_constantIbLb0EESX_EEDaSS_ST_EUlSS_E_NS1_11comp_targetILNS1_3genE4ELNS1_11target_archE910ELNS1_3gpuE8ELNS1_3repE0EEENS1_30default_config_static_selectorELNS0_4arch9wavefront6targetE1EEEvT1_
    .private_segment_fixed_size: 0
    .sgpr_count:     6
    .sgpr_spill_count: 0
    .symbol:         _ZN7rocprim17ROCPRIM_400000_NS6detail17trampoline_kernelINS0_14default_configENS1_27scan_by_key_config_selectorIiiEEZZNS1_16scan_by_key_implILNS1_25lookback_scan_determinismE0ELb0ES3_PKiN6hipcub16HIPCUB_304000_NS21ConstantInputIteratorIilEEPiiNSB_3SumENSB_8EqualityEiEE10hipError_tPvRmT2_T3_T4_T5_mT6_T7_P12ihipStream_tbENKUlT_T0_E_clISt17integral_constantIbLb0EESX_EEDaSS_ST_EUlSS_E_NS1_11comp_targetILNS1_3genE4ELNS1_11target_archE910ELNS1_3gpuE8ELNS1_3repE0EEENS1_30default_config_static_selectorELNS0_4arch9wavefront6targetE1EEEvT1_.kd
    .uniform_work_group_size: 1
    .uses_dynamic_stack: false
    .vgpr_count:     0
    .vgpr_spill_count: 0
    .wavefront_size: 64
  - .agpr_count:     0
    .args:
      - .offset:         0
        .size:           120
        .value_kind:     by_value
    .group_segment_fixed_size: 0
    .kernarg_segment_align: 8
    .kernarg_segment_size: 120
    .language:       OpenCL C
    .language_version:
      - 2
      - 0
    .max_flat_workgroup_size: 256
    .name:           _ZN7rocprim17ROCPRIM_400000_NS6detail17trampoline_kernelINS0_14default_configENS1_27scan_by_key_config_selectorIiiEEZZNS1_16scan_by_key_implILNS1_25lookback_scan_determinismE0ELb0ES3_PKiN6hipcub16HIPCUB_304000_NS21ConstantInputIteratorIilEEPiiNSB_3SumENSB_8EqualityEiEE10hipError_tPvRmT2_T3_T4_T5_mT6_T7_P12ihipStream_tbENKUlT_T0_E_clISt17integral_constantIbLb0EESX_EEDaSS_ST_EUlSS_E_NS1_11comp_targetILNS1_3genE3ELNS1_11target_archE908ELNS1_3gpuE7ELNS1_3repE0EEENS1_30default_config_static_selectorELNS0_4arch9wavefront6targetE1EEEvT1_
    .private_segment_fixed_size: 0
    .sgpr_count:     6
    .sgpr_spill_count: 0
    .symbol:         _ZN7rocprim17ROCPRIM_400000_NS6detail17trampoline_kernelINS0_14default_configENS1_27scan_by_key_config_selectorIiiEEZZNS1_16scan_by_key_implILNS1_25lookback_scan_determinismE0ELb0ES3_PKiN6hipcub16HIPCUB_304000_NS21ConstantInputIteratorIilEEPiiNSB_3SumENSB_8EqualityEiEE10hipError_tPvRmT2_T3_T4_T5_mT6_T7_P12ihipStream_tbENKUlT_T0_E_clISt17integral_constantIbLb0EESX_EEDaSS_ST_EUlSS_E_NS1_11comp_targetILNS1_3genE3ELNS1_11target_archE908ELNS1_3gpuE7ELNS1_3repE0EEENS1_30default_config_static_selectorELNS0_4arch9wavefront6targetE1EEEvT1_.kd
    .uniform_work_group_size: 1
    .uses_dynamic_stack: false
    .vgpr_count:     0
    .vgpr_spill_count: 0
    .wavefront_size: 64
  - .agpr_count:     0
    .args:
      - .offset:         0
        .size:           120
        .value_kind:     by_value
    .group_segment_fixed_size: 0
    .kernarg_segment_align: 8
    .kernarg_segment_size: 120
    .language:       OpenCL C
    .language_version:
      - 2
      - 0
    .max_flat_workgroup_size: 256
    .name:           _ZN7rocprim17ROCPRIM_400000_NS6detail17trampoline_kernelINS0_14default_configENS1_27scan_by_key_config_selectorIiiEEZZNS1_16scan_by_key_implILNS1_25lookback_scan_determinismE0ELb0ES3_PKiN6hipcub16HIPCUB_304000_NS21ConstantInputIteratorIilEEPiiNSB_3SumENSB_8EqualityEiEE10hipError_tPvRmT2_T3_T4_T5_mT6_T7_P12ihipStream_tbENKUlT_T0_E_clISt17integral_constantIbLb0EESX_EEDaSS_ST_EUlSS_E_NS1_11comp_targetILNS1_3genE2ELNS1_11target_archE906ELNS1_3gpuE6ELNS1_3repE0EEENS1_30default_config_static_selectorELNS0_4arch9wavefront6targetE1EEEvT1_
    .private_segment_fixed_size: 0
    .sgpr_count:     6
    .sgpr_spill_count: 0
    .symbol:         _ZN7rocprim17ROCPRIM_400000_NS6detail17trampoline_kernelINS0_14default_configENS1_27scan_by_key_config_selectorIiiEEZZNS1_16scan_by_key_implILNS1_25lookback_scan_determinismE0ELb0ES3_PKiN6hipcub16HIPCUB_304000_NS21ConstantInputIteratorIilEEPiiNSB_3SumENSB_8EqualityEiEE10hipError_tPvRmT2_T3_T4_T5_mT6_T7_P12ihipStream_tbENKUlT_T0_E_clISt17integral_constantIbLb0EESX_EEDaSS_ST_EUlSS_E_NS1_11comp_targetILNS1_3genE2ELNS1_11target_archE906ELNS1_3gpuE6ELNS1_3repE0EEENS1_30default_config_static_selectorELNS0_4arch9wavefront6targetE1EEEvT1_.kd
    .uniform_work_group_size: 1
    .uses_dynamic_stack: false
    .vgpr_count:     0
    .vgpr_spill_count: 0
    .wavefront_size: 64
  - .agpr_count:     0
    .args:
      - .offset:         0
        .size:           120
        .value_kind:     by_value
    .group_segment_fixed_size: 0
    .kernarg_segment_align: 8
    .kernarg_segment_size: 120
    .language:       OpenCL C
    .language_version:
      - 2
      - 0
    .max_flat_workgroup_size: 256
    .name:           _ZN7rocprim17ROCPRIM_400000_NS6detail17trampoline_kernelINS0_14default_configENS1_27scan_by_key_config_selectorIiiEEZZNS1_16scan_by_key_implILNS1_25lookback_scan_determinismE0ELb0ES3_PKiN6hipcub16HIPCUB_304000_NS21ConstantInputIteratorIilEEPiiNSB_3SumENSB_8EqualityEiEE10hipError_tPvRmT2_T3_T4_T5_mT6_T7_P12ihipStream_tbENKUlT_T0_E_clISt17integral_constantIbLb0EESX_EEDaSS_ST_EUlSS_E_NS1_11comp_targetILNS1_3genE10ELNS1_11target_archE1200ELNS1_3gpuE4ELNS1_3repE0EEENS1_30default_config_static_selectorELNS0_4arch9wavefront6targetE1EEEvT1_
    .private_segment_fixed_size: 0
    .sgpr_count:     6
    .sgpr_spill_count: 0
    .symbol:         _ZN7rocprim17ROCPRIM_400000_NS6detail17trampoline_kernelINS0_14default_configENS1_27scan_by_key_config_selectorIiiEEZZNS1_16scan_by_key_implILNS1_25lookback_scan_determinismE0ELb0ES3_PKiN6hipcub16HIPCUB_304000_NS21ConstantInputIteratorIilEEPiiNSB_3SumENSB_8EqualityEiEE10hipError_tPvRmT2_T3_T4_T5_mT6_T7_P12ihipStream_tbENKUlT_T0_E_clISt17integral_constantIbLb0EESX_EEDaSS_ST_EUlSS_E_NS1_11comp_targetILNS1_3genE10ELNS1_11target_archE1200ELNS1_3gpuE4ELNS1_3repE0EEENS1_30default_config_static_selectorELNS0_4arch9wavefront6targetE1EEEvT1_.kd
    .uniform_work_group_size: 1
    .uses_dynamic_stack: false
    .vgpr_count:     0
    .vgpr_spill_count: 0
    .wavefront_size: 64
  - .agpr_count:     0
    .args:
      - .offset:         0
        .size:           120
        .value_kind:     by_value
    .group_segment_fixed_size: 0
    .kernarg_segment_align: 8
    .kernarg_segment_size: 120
    .language:       OpenCL C
    .language_version:
      - 2
      - 0
    .max_flat_workgroup_size: 256
    .name:           _ZN7rocprim17ROCPRIM_400000_NS6detail17trampoline_kernelINS0_14default_configENS1_27scan_by_key_config_selectorIiiEEZZNS1_16scan_by_key_implILNS1_25lookback_scan_determinismE0ELb0ES3_PKiN6hipcub16HIPCUB_304000_NS21ConstantInputIteratorIilEEPiiNSB_3SumENSB_8EqualityEiEE10hipError_tPvRmT2_T3_T4_T5_mT6_T7_P12ihipStream_tbENKUlT_T0_E_clISt17integral_constantIbLb0EESX_EEDaSS_ST_EUlSS_E_NS1_11comp_targetILNS1_3genE9ELNS1_11target_archE1100ELNS1_3gpuE3ELNS1_3repE0EEENS1_30default_config_static_selectorELNS0_4arch9wavefront6targetE1EEEvT1_
    .private_segment_fixed_size: 0
    .sgpr_count:     6
    .sgpr_spill_count: 0
    .symbol:         _ZN7rocprim17ROCPRIM_400000_NS6detail17trampoline_kernelINS0_14default_configENS1_27scan_by_key_config_selectorIiiEEZZNS1_16scan_by_key_implILNS1_25lookback_scan_determinismE0ELb0ES3_PKiN6hipcub16HIPCUB_304000_NS21ConstantInputIteratorIilEEPiiNSB_3SumENSB_8EqualityEiEE10hipError_tPvRmT2_T3_T4_T5_mT6_T7_P12ihipStream_tbENKUlT_T0_E_clISt17integral_constantIbLb0EESX_EEDaSS_ST_EUlSS_E_NS1_11comp_targetILNS1_3genE9ELNS1_11target_archE1100ELNS1_3gpuE3ELNS1_3repE0EEENS1_30default_config_static_selectorELNS0_4arch9wavefront6targetE1EEEvT1_.kd
    .uniform_work_group_size: 1
    .uses_dynamic_stack: false
    .vgpr_count:     0
    .vgpr_spill_count: 0
    .wavefront_size: 64
  - .agpr_count:     0
    .args:
      - .offset:         0
        .size:           120
        .value_kind:     by_value
    .group_segment_fixed_size: 0
    .kernarg_segment_align: 8
    .kernarg_segment_size: 120
    .language:       OpenCL C
    .language_version:
      - 2
      - 0
    .max_flat_workgroup_size: 256
    .name:           _ZN7rocprim17ROCPRIM_400000_NS6detail17trampoline_kernelINS0_14default_configENS1_27scan_by_key_config_selectorIiiEEZZNS1_16scan_by_key_implILNS1_25lookback_scan_determinismE0ELb0ES3_PKiN6hipcub16HIPCUB_304000_NS21ConstantInputIteratorIilEEPiiNSB_3SumENSB_8EqualityEiEE10hipError_tPvRmT2_T3_T4_T5_mT6_T7_P12ihipStream_tbENKUlT_T0_E_clISt17integral_constantIbLb0EESX_EEDaSS_ST_EUlSS_E_NS1_11comp_targetILNS1_3genE8ELNS1_11target_archE1030ELNS1_3gpuE2ELNS1_3repE0EEENS1_30default_config_static_selectorELNS0_4arch9wavefront6targetE1EEEvT1_
    .private_segment_fixed_size: 0
    .sgpr_count:     6
    .sgpr_spill_count: 0
    .symbol:         _ZN7rocprim17ROCPRIM_400000_NS6detail17trampoline_kernelINS0_14default_configENS1_27scan_by_key_config_selectorIiiEEZZNS1_16scan_by_key_implILNS1_25lookback_scan_determinismE0ELb0ES3_PKiN6hipcub16HIPCUB_304000_NS21ConstantInputIteratorIilEEPiiNSB_3SumENSB_8EqualityEiEE10hipError_tPvRmT2_T3_T4_T5_mT6_T7_P12ihipStream_tbENKUlT_T0_E_clISt17integral_constantIbLb0EESX_EEDaSS_ST_EUlSS_E_NS1_11comp_targetILNS1_3genE8ELNS1_11target_archE1030ELNS1_3gpuE2ELNS1_3repE0EEENS1_30default_config_static_selectorELNS0_4arch9wavefront6targetE1EEEvT1_.kd
    .uniform_work_group_size: 1
    .uses_dynamic_stack: false
    .vgpr_count:     0
    .vgpr_spill_count: 0
    .wavefront_size: 64
  - .agpr_count:     0
    .args:
      - .address_space:  global
        .offset:         0
        .size:           8
        .value_kind:     global_buffer
      - .offset:         8
        .size:           4
        .value_kind:     by_value
      - .offset:         12
        .size:           4
        .value_kind:     by_value
      - .address_space:  global
        .offset:         16
        .size:           8
        .value_kind:     global_buffer
      - .address_space:  global
        .offset:         24
        .size:           8
        .value_kind:     global_buffer
      - .actual_access:  write_only
        .address_space:  global
        .offset:         32
        .size:           8
        .value_kind:     global_buffer
      - .offset:         40
        .size:           8
        .value_kind:     by_value
      - .offset:         48
        .size:           4
        .value_kind:     by_value
      - .address_space:  global
        .offset:         56
        .size:           8
        .value_kind:     global_buffer
      - .offset:         64
        .size:           4
        .value_kind:     hidden_block_count_x
      - .offset:         68
        .size:           4
        .value_kind:     hidden_block_count_y
      - .offset:         72
        .size:           4
        .value_kind:     hidden_block_count_z
      - .offset:         76
        .size:           2
        .value_kind:     hidden_group_size_x
      - .offset:         78
        .size:           2
        .value_kind:     hidden_group_size_y
      - .offset:         80
        .size:           2
        .value_kind:     hidden_group_size_z
      - .offset:         82
        .size:           2
        .value_kind:     hidden_remainder_x
      - .offset:         84
        .size:           2
        .value_kind:     hidden_remainder_y
      - .offset:         86
        .size:           2
        .value_kind:     hidden_remainder_z
      - .offset:         104
        .size:           8
        .value_kind:     hidden_global_offset_x
      - .offset:         112
        .size:           8
        .value_kind:     hidden_global_offset_y
      - .offset:         120
        .size:           8
        .value_kind:     hidden_global_offset_z
      - .offset:         128
        .size:           2
        .value_kind:     hidden_grid_dims
    .group_segment_fixed_size: 0
    .kernarg_segment_align: 8
    .kernarg_segment_size: 320
    .language:       OpenCL C
    .language_version:
      - 2
      - 0
    .max_flat_workgroup_size: 256
    .name:           _ZN7rocprim17ROCPRIM_400000_NS6detail30init_device_scan_by_key_kernelINS1_19lookback_scan_stateINS0_5tupleIJibEEELb1ELb1EEEPKijNS1_16block_id_wrapperIjLb1EEEEEvT_jjPNSB_10value_typeET0_PNSt15iterator_traitsISE_E10value_typeEmT1_T2_
    .private_segment_fixed_size: 0
    .sgpr_count:     26
    .sgpr_spill_count: 0
    .symbol:         _ZN7rocprim17ROCPRIM_400000_NS6detail30init_device_scan_by_key_kernelINS1_19lookback_scan_stateINS0_5tupleIJibEEELb1ELb1EEEPKijNS1_16block_id_wrapperIjLb1EEEEEvT_jjPNSB_10value_typeET0_PNSt15iterator_traitsISE_E10value_typeEmT1_T2_.kd
    .uniform_work_group_size: 1
    .uses_dynamic_stack: false
    .vgpr_count:     10
    .vgpr_spill_count: 0
    .wavefront_size: 64
  - .agpr_count:     0
    .args:
      - .address_space:  global
        .offset:         0
        .size:           8
        .value_kind:     global_buffer
      - .offset:         8
        .size:           4
        .value_kind:     by_value
      - .offset:         12
        .size:           4
        .value_kind:     by_value
      - .address_space:  global
        .offset:         16
        .size:           8
        .value_kind:     global_buffer
      - .address_space:  global
        .offset:         24
        .size:           8
        .value_kind:     global_buffer
      - .offset:         32
        .size:           4
        .value_kind:     hidden_block_count_x
      - .offset:         36
        .size:           4
        .value_kind:     hidden_block_count_y
      - .offset:         40
        .size:           4
        .value_kind:     hidden_block_count_z
      - .offset:         44
        .size:           2
        .value_kind:     hidden_group_size_x
      - .offset:         46
        .size:           2
        .value_kind:     hidden_group_size_y
      - .offset:         48
        .size:           2
        .value_kind:     hidden_group_size_z
      - .offset:         50
        .size:           2
        .value_kind:     hidden_remainder_x
      - .offset:         52
        .size:           2
        .value_kind:     hidden_remainder_y
      - .offset:         54
        .size:           2
        .value_kind:     hidden_remainder_z
      - .offset:         72
        .size:           8
        .value_kind:     hidden_global_offset_x
      - .offset:         80
        .size:           8
        .value_kind:     hidden_global_offset_y
      - .offset:         88
        .size:           8
        .value_kind:     hidden_global_offset_z
      - .offset:         96
        .size:           2
        .value_kind:     hidden_grid_dims
    .group_segment_fixed_size: 0
    .kernarg_segment_align: 8
    .kernarg_segment_size: 288
    .language:       OpenCL C
    .language_version:
      - 2
      - 0
    .max_flat_workgroup_size: 256
    .name:           _ZN7rocprim17ROCPRIM_400000_NS6detail30init_device_scan_by_key_kernelINS1_19lookback_scan_stateINS0_5tupleIJibEEELb1ELb1EEENS1_16block_id_wrapperIjLb1EEEEEvT_jjPNS9_10value_typeET0_
    .private_segment_fixed_size: 0
    .sgpr_count:     22
    .sgpr_spill_count: 0
    .symbol:         _ZN7rocprim17ROCPRIM_400000_NS6detail30init_device_scan_by_key_kernelINS1_19lookback_scan_stateINS0_5tupleIJibEEELb1ELb1EEENS1_16block_id_wrapperIjLb1EEEEEvT_jjPNS9_10value_typeET0_.kd
    .uniform_work_group_size: 1
    .uses_dynamic_stack: false
    .vgpr_count:     10
    .vgpr_spill_count: 0
    .wavefront_size: 64
  - .agpr_count:     0
    .args:
      - .offset:         0
        .size:           120
        .value_kind:     by_value
    .group_segment_fixed_size: 0
    .kernarg_segment_align: 8
    .kernarg_segment_size: 120
    .language:       OpenCL C
    .language_version:
      - 2
      - 0
    .max_flat_workgroup_size: 256
    .name:           _ZN7rocprim17ROCPRIM_400000_NS6detail17trampoline_kernelINS0_14default_configENS1_27scan_by_key_config_selectorIiiEEZZNS1_16scan_by_key_implILNS1_25lookback_scan_determinismE0ELb0ES3_PKiN6hipcub16HIPCUB_304000_NS21ConstantInputIteratorIilEEPiiNSB_3SumENSB_8EqualityEiEE10hipError_tPvRmT2_T3_T4_T5_mT6_T7_P12ihipStream_tbENKUlT_T0_E_clISt17integral_constantIbLb1EESX_EEDaSS_ST_EUlSS_E_NS1_11comp_targetILNS1_3genE0ELNS1_11target_archE4294967295ELNS1_3gpuE0ELNS1_3repE0EEENS1_30default_config_static_selectorELNS0_4arch9wavefront6targetE1EEEvT1_
    .private_segment_fixed_size: 0
    .sgpr_count:     6
    .sgpr_spill_count: 0
    .symbol:         _ZN7rocprim17ROCPRIM_400000_NS6detail17trampoline_kernelINS0_14default_configENS1_27scan_by_key_config_selectorIiiEEZZNS1_16scan_by_key_implILNS1_25lookback_scan_determinismE0ELb0ES3_PKiN6hipcub16HIPCUB_304000_NS21ConstantInputIteratorIilEEPiiNSB_3SumENSB_8EqualityEiEE10hipError_tPvRmT2_T3_T4_T5_mT6_T7_P12ihipStream_tbENKUlT_T0_E_clISt17integral_constantIbLb1EESX_EEDaSS_ST_EUlSS_E_NS1_11comp_targetILNS1_3genE0ELNS1_11target_archE4294967295ELNS1_3gpuE0ELNS1_3repE0EEENS1_30default_config_static_selectorELNS0_4arch9wavefront6targetE1EEEvT1_.kd
    .uniform_work_group_size: 1
    .uses_dynamic_stack: false
    .vgpr_count:     0
    .vgpr_spill_count: 0
    .wavefront_size: 64
  - .agpr_count:     0
    .args:
      - .offset:         0
        .size:           120
        .value_kind:     by_value
    .group_segment_fixed_size: 0
    .kernarg_segment_align: 8
    .kernarg_segment_size: 120
    .language:       OpenCL C
    .language_version:
      - 2
      - 0
    .max_flat_workgroup_size: 256
    .name:           _ZN7rocprim17ROCPRIM_400000_NS6detail17trampoline_kernelINS0_14default_configENS1_27scan_by_key_config_selectorIiiEEZZNS1_16scan_by_key_implILNS1_25lookback_scan_determinismE0ELb0ES3_PKiN6hipcub16HIPCUB_304000_NS21ConstantInputIteratorIilEEPiiNSB_3SumENSB_8EqualityEiEE10hipError_tPvRmT2_T3_T4_T5_mT6_T7_P12ihipStream_tbENKUlT_T0_E_clISt17integral_constantIbLb1EESX_EEDaSS_ST_EUlSS_E_NS1_11comp_targetILNS1_3genE10ELNS1_11target_archE1201ELNS1_3gpuE5ELNS1_3repE0EEENS1_30default_config_static_selectorELNS0_4arch9wavefront6targetE1EEEvT1_
    .private_segment_fixed_size: 0
    .sgpr_count:     6
    .sgpr_spill_count: 0
    .symbol:         _ZN7rocprim17ROCPRIM_400000_NS6detail17trampoline_kernelINS0_14default_configENS1_27scan_by_key_config_selectorIiiEEZZNS1_16scan_by_key_implILNS1_25lookback_scan_determinismE0ELb0ES3_PKiN6hipcub16HIPCUB_304000_NS21ConstantInputIteratorIilEEPiiNSB_3SumENSB_8EqualityEiEE10hipError_tPvRmT2_T3_T4_T5_mT6_T7_P12ihipStream_tbENKUlT_T0_E_clISt17integral_constantIbLb1EESX_EEDaSS_ST_EUlSS_E_NS1_11comp_targetILNS1_3genE10ELNS1_11target_archE1201ELNS1_3gpuE5ELNS1_3repE0EEENS1_30default_config_static_selectorELNS0_4arch9wavefront6targetE1EEEvT1_.kd
    .uniform_work_group_size: 1
    .uses_dynamic_stack: false
    .vgpr_count:     0
    .vgpr_spill_count: 0
    .wavefront_size: 64
  - .agpr_count:     0
    .args:
      - .offset:         0
        .size:           120
        .value_kind:     by_value
    .group_segment_fixed_size: 0
    .kernarg_segment_align: 8
    .kernarg_segment_size: 120
    .language:       OpenCL C
    .language_version:
      - 2
      - 0
    .max_flat_workgroup_size: 256
    .name:           _ZN7rocprim17ROCPRIM_400000_NS6detail17trampoline_kernelINS0_14default_configENS1_27scan_by_key_config_selectorIiiEEZZNS1_16scan_by_key_implILNS1_25lookback_scan_determinismE0ELb0ES3_PKiN6hipcub16HIPCUB_304000_NS21ConstantInputIteratorIilEEPiiNSB_3SumENSB_8EqualityEiEE10hipError_tPvRmT2_T3_T4_T5_mT6_T7_P12ihipStream_tbENKUlT_T0_E_clISt17integral_constantIbLb1EESX_EEDaSS_ST_EUlSS_E_NS1_11comp_targetILNS1_3genE5ELNS1_11target_archE942ELNS1_3gpuE9ELNS1_3repE0EEENS1_30default_config_static_selectorELNS0_4arch9wavefront6targetE1EEEvT1_
    .private_segment_fixed_size: 0
    .sgpr_count:     6
    .sgpr_spill_count: 0
    .symbol:         _ZN7rocprim17ROCPRIM_400000_NS6detail17trampoline_kernelINS0_14default_configENS1_27scan_by_key_config_selectorIiiEEZZNS1_16scan_by_key_implILNS1_25lookback_scan_determinismE0ELb0ES3_PKiN6hipcub16HIPCUB_304000_NS21ConstantInputIteratorIilEEPiiNSB_3SumENSB_8EqualityEiEE10hipError_tPvRmT2_T3_T4_T5_mT6_T7_P12ihipStream_tbENKUlT_T0_E_clISt17integral_constantIbLb1EESX_EEDaSS_ST_EUlSS_E_NS1_11comp_targetILNS1_3genE5ELNS1_11target_archE942ELNS1_3gpuE9ELNS1_3repE0EEENS1_30default_config_static_selectorELNS0_4arch9wavefront6targetE1EEEvT1_.kd
    .uniform_work_group_size: 1
    .uses_dynamic_stack: false
    .vgpr_count:     0
    .vgpr_spill_count: 0
    .wavefront_size: 64
  - .agpr_count:     0
    .args:
      - .offset:         0
        .size:           120
        .value_kind:     by_value
    .group_segment_fixed_size: 0
    .kernarg_segment_align: 8
    .kernarg_segment_size: 120
    .language:       OpenCL C
    .language_version:
      - 2
      - 0
    .max_flat_workgroup_size: 256
    .name:           _ZN7rocprim17ROCPRIM_400000_NS6detail17trampoline_kernelINS0_14default_configENS1_27scan_by_key_config_selectorIiiEEZZNS1_16scan_by_key_implILNS1_25lookback_scan_determinismE0ELb0ES3_PKiN6hipcub16HIPCUB_304000_NS21ConstantInputIteratorIilEEPiiNSB_3SumENSB_8EqualityEiEE10hipError_tPvRmT2_T3_T4_T5_mT6_T7_P12ihipStream_tbENKUlT_T0_E_clISt17integral_constantIbLb1EESX_EEDaSS_ST_EUlSS_E_NS1_11comp_targetILNS1_3genE4ELNS1_11target_archE910ELNS1_3gpuE8ELNS1_3repE0EEENS1_30default_config_static_selectorELNS0_4arch9wavefront6targetE1EEEvT1_
    .private_segment_fixed_size: 0
    .sgpr_count:     6
    .sgpr_spill_count: 0
    .symbol:         _ZN7rocprim17ROCPRIM_400000_NS6detail17trampoline_kernelINS0_14default_configENS1_27scan_by_key_config_selectorIiiEEZZNS1_16scan_by_key_implILNS1_25lookback_scan_determinismE0ELb0ES3_PKiN6hipcub16HIPCUB_304000_NS21ConstantInputIteratorIilEEPiiNSB_3SumENSB_8EqualityEiEE10hipError_tPvRmT2_T3_T4_T5_mT6_T7_P12ihipStream_tbENKUlT_T0_E_clISt17integral_constantIbLb1EESX_EEDaSS_ST_EUlSS_E_NS1_11comp_targetILNS1_3genE4ELNS1_11target_archE910ELNS1_3gpuE8ELNS1_3repE0EEENS1_30default_config_static_selectorELNS0_4arch9wavefront6targetE1EEEvT1_.kd
    .uniform_work_group_size: 1
    .uses_dynamic_stack: false
    .vgpr_count:     0
    .vgpr_spill_count: 0
    .wavefront_size: 64
  - .agpr_count:     0
    .args:
      - .offset:         0
        .size:           120
        .value_kind:     by_value
    .group_segment_fixed_size: 0
    .kernarg_segment_align: 8
    .kernarg_segment_size: 120
    .language:       OpenCL C
    .language_version:
      - 2
      - 0
    .max_flat_workgroup_size: 256
    .name:           _ZN7rocprim17ROCPRIM_400000_NS6detail17trampoline_kernelINS0_14default_configENS1_27scan_by_key_config_selectorIiiEEZZNS1_16scan_by_key_implILNS1_25lookback_scan_determinismE0ELb0ES3_PKiN6hipcub16HIPCUB_304000_NS21ConstantInputIteratorIilEEPiiNSB_3SumENSB_8EqualityEiEE10hipError_tPvRmT2_T3_T4_T5_mT6_T7_P12ihipStream_tbENKUlT_T0_E_clISt17integral_constantIbLb1EESX_EEDaSS_ST_EUlSS_E_NS1_11comp_targetILNS1_3genE3ELNS1_11target_archE908ELNS1_3gpuE7ELNS1_3repE0EEENS1_30default_config_static_selectorELNS0_4arch9wavefront6targetE1EEEvT1_
    .private_segment_fixed_size: 0
    .sgpr_count:     6
    .sgpr_spill_count: 0
    .symbol:         _ZN7rocprim17ROCPRIM_400000_NS6detail17trampoline_kernelINS0_14default_configENS1_27scan_by_key_config_selectorIiiEEZZNS1_16scan_by_key_implILNS1_25lookback_scan_determinismE0ELb0ES3_PKiN6hipcub16HIPCUB_304000_NS21ConstantInputIteratorIilEEPiiNSB_3SumENSB_8EqualityEiEE10hipError_tPvRmT2_T3_T4_T5_mT6_T7_P12ihipStream_tbENKUlT_T0_E_clISt17integral_constantIbLb1EESX_EEDaSS_ST_EUlSS_E_NS1_11comp_targetILNS1_3genE3ELNS1_11target_archE908ELNS1_3gpuE7ELNS1_3repE0EEENS1_30default_config_static_selectorELNS0_4arch9wavefront6targetE1EEEvT1_.kd
    .uniform_work_group_size: 1
    .uses_dynamic_stack: false
    .vgpr_count:     0
    .vgpr_spill_count: 0
    .wavefront_size: 64
  - .agpr_count:     0
    .args:
      - .offset:         0
        .size:           120
        .value_kind:     by_value
    .group_segment_fixed_size: 0
    .kernarg_segment_align: 8
    .kernarg_segment_size: 120
    .language:       OpenCL C
    .language_version:
      - 2
      - 0
    .max_flat_workgroup_size: 256
    .name:           _ZN7rocprim17ROCPRIM_400000_NS6detail17trampoline_kernelINS0_14default_configENS1_27scan_by_key_config_selectorIiiEEZZNS1_16scan_by_key_implILNS1_25lookback_scan_determinismE0ELb0ES3_PKiN6hipcub16HIPCUB_304000_NS21ConstantInputIteratorIilEEPiiNSB_3SumENSB_8EqualityEiEE10hipError_tPvRmT2_T3_T4_T5_mT6_T7_P12ihipStream_tbENKUlT_T0_E_clISt17integral_constantIbLb1EESX_EEDaSS_ST_EUlSS_E_NS1_11comp_targetILNS1_3genE2ELNS1_11target_archE906ELNS1_3gpuE6ELNS1_3repE0EEENS1_30default_config_static_selectorELNS0_4arch9wavefront6targetE1EEEvT1_
    .private_segment_fixed_size: 0
    .sgpr_count:     6
    .sgpr_spill_count: 0
    .symbol:         _ZN7rocprim17ROCPRIM_400000_NS6detail17trampoline_kernelINS0_14default_configENS1_27scan_by_key_config_selectorIiiEEZZNS1_16scan_by_key_implILNS1_25lookback_scan_determinismE0ELb0ES3_PKiN6hipcub16HIPCUB_304000_NS21ConstantInputIteratorIilEEPiiNSB_3SumENSB_8EqualityEiEE10hipError_tPvRmT2_T3_T4_T5_mT6_T7_P12ihipStream_tbENKUlT_T0_E_clISt17integral_constantIbLb1EESX_EEDaSS_ST_EUlSS_E_NS1_11comp_targetILNS1_3genE2ELNS1_11target_archE906ELNS1_3gpuE6ELNS1_3repE0EEENS1_30default_config_static_selectorELNS0_4arch9wavefront6targetE1EEEvT1_.kd
    .uniform_work_group_size: 1
    .uses_dynamic_stack: false
    .vgpr_count:     0
    .vgpr_spill_count: 0
    .wavefront_size: 64
  - .agpr_count:     0
    .args:
      - .offset:         0
        .size:           120
        .value_kind:     by_value
    .group_segment_fixed_size: 0
    .kernarg_segment_align: 8
    .kernarg_segment_size: 120
    .language:       OpenCL C
    .language_version:
      - 2
      - 0
    .max_flat_workgroup_size: 256
    .name:           _ZN7rocprim17ROCPRIM_400000_NS6detail17trampoline_kernelINS0_14default_configENS1_27scan_by_key_config_selectorIiiEEZZNS1_16scan_by_key_implILNS1_25lookback_scan_determinismE0ELb0ES3_PKiN6hipcub16HIPCUB_304000_NS21ConstantInputIteratorIilEEPiiNSB_3SumENSB_8EqualityEiEE10hipError_tPvRmT2_T3_T4_T5_mT6_T7_P12ihipStream_tbENKUlT_T0_E_clISt17integral_constantIbLb1EESX_EEDaSS_ST_EUlSS_E_NS1_11comp_targetILNS1_3genE10ELNS1_11target_archE1200ELNS1_3gpuE4ELNS1_3repE0EEENS1_30default_config_static_selectorELNS0_4arch9wavefront6targetE1EEEvT1_
    .private_segment_fixed_size: 0
    .sgpr_count:     6
    .sgpr_spill_count: 0
    .symbol:         _ZN7rocprim17ROCPRIM_400000_NS6detail17trampoline_kernelINS0_14default_configENS1_27scan_by_key_config_selectorIiiEEZZNS1_16scan_by_key_implILNS1_25lookback_scan_determinismE0ELb0ES3_PKiN6hipcub16HIPCUB_304000_NS21ConstantInputIteratorIilEEPiiNSB_3SumENSB_8EqualityEiEE10hipError_tPvRmT2_T3_T4_T5_mT6_T7_P12ihipStream_tbENKUlT_T0_E_clISt17integral_constantIbLb1EESX_EEDaSS_ST_EUlSS_E_NS1_11comp_targetILNS1_3genE10ELNS1_11target_archE1200ELNS1_3gpuE4ELNS1_3repE0EEENS1_30default_config_static_selectorELNS0_4arch9wavefront6targetE1EEEvT1_.kd
    .uniform_work_group_size: 1
    .uses_dynamic_stack: false
    .vgpr_count:     0
    .vgpr_spill_count: 0
    .wavefront_size: 64
  - .agpr_count:     0
    .args:
      - .offset:         0
        .size:           120
        .value_kind:     by_value
    .group_segment_fixed_size: 0
    .kernarg_segment_align: 8
    .kernarg_segment_size: 120
    .language:       OpenCL C
    .language_version:
      - 2
      - 0
    .max_flat_workgroup_size: 256
    .name:           _ZN7rocprim17ROCPRIM_400000_NS6detail17trampoline_kernelINS0_14default_configENS1_27scan_by_key_config_selectorIiiEEZZNS1_16scan_by_key_implILNS1_25lookback_scan_determinismE0ELb0ES3_PKiN6hipcub16HIPCUB_304000_NS21ConstantInputIteratorIilEEPiiNSB_3SumENSB_8EqualityEiEE10hipError_tPvRmT2_T3_T4_T5_mT6_T7_P12ihipStream_tbENKUlT_T0_E_clISt17integral_constantIbLb1EESX_EEDaSS_ST_EUlSS_E_NS1_11comp_targetILNS1_3genE9ELNS1_11target_archE1100ELNS1_3gpuE3ELNS1_3repE0EEENS1_30default_config_static_selectorELNS0_4arch9wavefront6targetE1EEEvT1_
    .private_segment_fixed_size: 0
    .sgpr_count:     6
    .sgpr_spill_count: 0
    .symbol:         _ZN7rocprim17ROCPRIM_400000_NS6detail17trampoline_kernelINS0_14default_configENS1_27scan_by_key_config_selectorIiiEEZZNS1_16scan_by_key_implILNS1_25lookback_scan_determinismE0ELb0ES3_PKiN6hipcub16HIPCUB_304000_NS21ConstantInputIteratorIilEEPiiNSB_3SumENSB_8EqualityEiEE10hipError_tPvRmT2_T3_T4_T5_mT6_T7_P12ihipStream_tbENKUlT_T0_E_clISt17integral_constantIbLb1EESX_EEDaSS_ST_EUlSS_E_NS1_11comp_targetILNS1_3genE9ELNS1_11target_archE1100ELNS1_3gpuE3ELNS1_3repE0EEENS1_30default_config_static_selectorELNS0_4arch9wavefront6targetE1EEEvT1_.kd
    .uniform_work_group_size: 1
    .uses_dynamic_stack: false
    .vgpr_count:     0
    .vgpr_spill_count: 0
    .wavefront_size: 64
  - .agpr_count:     0
    .args:
      - .offset:         0
        .size:           120
        .value_kind:     by_value
    .group_segment_fixed_size: 0
    .kernarg_segment_align: 8
    .kernarg_segment_size: 120
    .language:       OpenCL C
    .language_version:
      - 2
      - 0
    .max_flat_workgroup_size: 256
    .name:           _ZN7rocprim17ROCPRIM_400000_NS6detail17trampoline_kernelINS0_14default_configENS1_27scan_by_key_config_selectorIiiEEZZNS1_16scan_by_key_implILNS1_25lookback_scan_determinismE0ELb0ES3_PKiN6hipcub16HIPCUB_304000_NS21ConstantInputIteratorIilEEPiiNSB_3SumENSB_8EqualityEiEE10hipError_tPvRmT2_T3_T4_T5_mT6_T7_P12ihipStream_tbENKUlT_T0_E_clISt17integral_constantIbLb1EESX_EEDaSS_ST_EUlSS_E_NS1_11comp_targetILNS1_3genE8ELNS1_11target_archE1030ELNS1_3gpuE2ELNS1_3repE0EEENS1_30default_config_static_selectorELNS0_4arch9wavefront6targetE1EEEvT1_
    .private_segment_fixed_size: 0
    .sgpr_count:     6
    .sgpr_spill_count: 0
    .symbol:         _ZN7rocprim17ROCPRIM_400000_NS6detail17trampoline_kernelINS0_14default_configENS1_27scan_by_key_config_selectorIiiEEZZNS1_16scan_by_key_implILNS1_25lookback_scan_determinismE0ELb0ES3_PKiN6hipcub16HIPCUB_304000_NS21ConstantInputIteratorIilEEPiiNSB_3SumENSB_8EqualityEiEE10hipError_tPvRmT2_T3_T4_T5_mT6_T7_P12ihipStream_tbENKUlT_T0_E_clISt17integral_constantIbLb1EESX_EEDaSS_ST_EUlSS_E_NS1_11comp_targetILNS1_3genE8ELNS1_11target_archE1030ELNS1_3gpuE2ELNS1_3repE0EEENS1_30default_config_static_selectorELNS0_4arch9wavefront6targetE1EEEvT1_.kd
    .uniform_work_group_size: 1
    .uses_dynamic_stack: false
    .vgpr_count:     0
    .vgpr_spill_count: 0
    .wavefront_size: 64
  - .agpr_count:     0
    .args:
      - .address_space:  global
        .offset:         0
        .size:           8
        .value_kind:     global_buffer
      - .offset:         8
        .size:           4
        .value_kind:     by_value
      - .offset:         12
        .size:           4
        .value_kind:     by_value
      - .address_space:  global
        .offset:         16
        .size:           8
        .value_kind:     global_buffer
      - .address_space:  global
        .offset:         24
        .size:           8
        .value_kind:     global_buffer
      - .actual_access:  write_only
        .address_space:  global
        .offset:         32
        .size:           8
        .value_kind:     global_buffer
      - .offset:         40
        .size:           8
        .value_kind:     by_value
      - .offset:         48
        .size:           4
        .value_kind:     by_value
      - .offset:         52
        .size:           1
        .value_kind:     by_value
      - .offset:         56
        .size:           4
        .value_kind:     hidden_block_count_x
      - .offset:         60
        .size:           4
        .value_kind:     hidden_block_count_y
      - .offset:         64
        .size:           4
        .value_kind:     hidden_block_count_z
      - .offset:         68
        .size:           2
        .value_kind:     hidden_group_size_x
      - .offset:         70
        .size:           2
        .value_kind:     hidden_group_size_y
      - .offset:         72
        .size:           2
        .value_kind:     hidden_group_size_z
      - .offset:         74
        .size:           2
        .value_kind:     hidden_remainder_x
      - .offset:         76
        .size:           2
        .value_kind:     hidden_remainder_y
      - .offset:         78
        .size:           2
        .value_kind:     hidden_remainder_z
      - .offset:         96
        .size:           8
        .value_kind:     hidden_global_offset_x
      - .offset:         104
        .size:           8
        .value_kind:     hidden_global_offset_y
      - .offset:         112
        .size:           8
        .value_kind:     hidden_global_offset_z
      - .offset:         120
        .size:           2
        .value_kind:     hidden_grid_dims
    .group_segment_fixed_size: 0
    .kernarg_segment_align: 8
    .kernarg_segment_size: 312
    .language:       OpenCL C
    .language_version:
      - 2
      - 0
    .max_flat_workgroup_size: 256
    .name:           _ZN7rocprim17ROCPRIM_400000_NS6detail30init_device_scan_by_key_kernelINS1_19lookback_scan_stateINS0_5tupleIJibEEELb1ELb1EEEPKijNS1_16block_id_wrapperIjLb0EEEEEvT_jjPNSB_10value_typeET0_PNSt15iterator_traitsISE_E10value_typeEmT1_T2_
    .private_segment_fixed_size: 0
    .sgpr_count:     26
    .sgpr_spill_count: 0
    .symbol:         _ZN7rocprim17ROCPRIM_400000_NS6detail30init_device_scan_by_key_kernelINS1_19lookback_scan_stateINS0_5tupleIJibEEELb1ELb1EEEPKijNS1_16block_id_wrapperIjLb0EEEEEvT_jjPNSB_10value_typeET0_PNSt15iterator_traitsISE_E10value_typeEmT1_T2_.kd
    .uniform_work_group_size: 1
    .uses_dynamic_stack: false
    .vgpr_count:     10
    .vgpr_spill_count: 0
    .wavefront_size: 64
  - .agpr_count:     0
    .args:
      - .address_space:  global
        .offset:         0
        .size:           8
        .value_kind:     global_buffer
      - .offset:         8
        .size:           4
        .value_kind:     by_value
      - .offset:         12
        .size:           4
        .value_kind:     by_value
      - .address_space:  global
        .offset:         16
        .size:           8
        .value_kind:     global_buffer
      - .offset:         24
        .size:           1
        .value_kind:     by_value
      - .offset:         32
        .size:           4
        .value_kind:     hidden_block_count_x
      - .offset:         36
        .size:           4
        .value_kind:     hidden_block_count_y
      - .offset:         40
        .size:           4
        .value_kind:     hidden_block_count_z
      - .offset:         44
        .size:           2
        .value_kind:     hidden_group_size_x
      - .offset:         46
        .size:           2
        .value_kind:     hidden_group_size_y
      - .offset:         48
        .size:           2
        .value_kind:     hidden_group_size_z
      - .offset:         50
        .size:           2
        .value_kind:     hidden_remainder_x
      - .offset:         52
        .size:           2
        .value_kind:     hidden_remainder_y
      - .offset:         54
        .size:           2
        .value_kind:     hidden_remainder_z
      - .offset:         72
        .size:           8
        .value_kind:     hidden_global_offset_x
      - .offset:         80
        .size:           8
        .value_kind:     hidden_global_offset_y
      - .offset:         88
        .size:           8
        .value_kind:     hidden_global_offset_z
      - .offset:         96
        .size:           2
        .value_kind:     hidden_grid_dims
    .group_segment_fixed_size: 0
    .kernarg_segment_align: 8
    .kernarg_segment_size: 288
    .language:       OpenCL C
    .language_version:
      - 2
      - 0
    .max_flat_workgroup_size: 256
    .name:           _ZN7rocprim17ROCPRIM_400000_NS6detail30init_device_scan_by_key_kernelINS1_19lookback_scan_stateINS0_5tupleIJibEEELb1ELb1EEENS1_16block_id_wrapperIjLb0EEEEEvT_jjPNS9_10value_typeET0_
    .private_segment_fixed_size: 0
    .sgpr_count:     20
    .sgpr_spill_count: 0
    .symbol:         _ZN7rocprim17ROCPRIM_400000_NS6detail30init_device_scan_by_key_kernelINS1_19lookback_scan_stateINS0_5tupleIJibEEELb1ELb1EEENS1_16block_id_wrapperIjLb0EEEEEvT_jjPNS9_10value_typeET0_.kd
    .uniform_work_group_size: 1
    .uses_dynamic_stack: false
    .vgpr_count:     10
    .vgpr_spill_count: 0
    .wavefront_size: 64
  - .agpr_count:     0
    .args:
      - .offset:         0
        .size:           120
        .value_kind:     by_value
    .group_segment_fixed_size: 0
    .kernarg_segment_align: 8
    .kernarg_segment_size: 120
    .language:       OpenCL C
    .language_version:
      - 2
      - 0
    .max_flat_workgroup_size: 256
    .name:           _ZN7rocprim17ROCPRIM_400000_NS6detail17trampoline_kernelINS0_14default_configENS1_27scan_by_key_config_selectorIiiEEZZNS1_16scan_by_key_implILNS1_25lookback_scan_determinismE0ELb0ES3_PKiN6hipcub16HIPCUB_304000_NS21ConstantInputIteratorIilEEPiiNSB_3SumENSB_8EqualityEiEE10hipError_tPvRmT2_T3_T4_T5_mT6_T7_P12ihipStream_tbENKUlT_T0_E_clISt17integral_constantIbLb1EESW_IbLb0EEEEDaSS_ST_EUlSS_E_NS1_11comp_targetILNS1_3genE0ELNS1_11target_archE4294967295ELNS1_3gpuE0ELNS1_3repE0EEENS1_30default_config_static_selectorELNS0_4arch9wavefront6targetE1EEEvT1_
    .private_segment_fixed_size: 0
    .sgpr_count:     6
    .sgpr_spill_count: 0
    .symbol:         _ZN7rocprim17ROCPRIM_400000_NS6detail17trampoline_kernelINS0_14default_configENS1_27scan_by_key_config_selectorIiiEEZZNS1_16scan_by_key_implILNS1_25lookback_scan_determinismE0ELb0ES3_PKiN6hipcub16HIPCUB_304000_NS21ConstantInputIteratorIilEEPiiNSB_3SumENSB_8EqualityEiEE10hipError_tPvRmT2_T3_T4_T5_mT6_T7_P12ihipStream_tbENKUlT_T0_E_clISt17integral_constantIbLb1EESW_IbLb0EEEEDaSS_ST_EUlSS_E_NS1_11comp_targetILNS1_3genE0ELNS1_11target_archE4294967295ELNS1_3gpuE0ELNS1_3repE0EEENS1_30default_config_static_selectorELNS0_4arch9wavefront6targetE1EEEvT1_.kd
    .uniform_work_group_size: 1
    .uses_dynamic_stack: false
    .vgpr_count:     0
    .vgpr_spill_count: 0
    .wavefront_size: 64
  - .agpr_count:     0
    .args:
      - .offset:         0
        .size:           120
        .value_kind:     by_value
    .group_segment_fixed_size: 0
    .kernarg_segment_align: 8
    .kernarg_segment_size: 120
    .language:       OpenCL C
    .language_version:
      - 2
      - 0
    .max_flat_workgroup_size: 256
    .name:           _ZN7rocprim17ROCPRIM_400000_NS6detail17trampoline_kernelINS0_14default_configENS1_27scan_by_key_config_selectorIiiEEZZNS1_16scan_by_key_implILNS1_25lookback_scan_determinismE0ELb0ES3_PKiN6hipcub16HIPCUB_304000_NS21ConstantInputIteratorIilEEPiiNSB_3SumENSB_8EqualityEiEE10hipError_tPvRmT2_T3_T4_T5_mT6_T7_P12ihipStream_tbENKUlT_T0_E_clISt17integral_constantIbLb1EESW_IbLb0EEEEDaSS_ST_EUlSS_E_NS1_11comp_targetILNS1_3genE10ELNS1_11target_archE1201ELNS1_3gpuE5ELNS1_3repE0EEENS1_30default_config_static_selectorELNS0_4arch9wavefront6targetE1EEEvT1_
    .private_segment_fixed_size: 0
    .sgpr_count:     6
    .sgpr_spill_count: 0
    .symbol:         _ZN7rocprim17ROCPRIM_400000_NS6detail17trampoline_kernelINS0_14default_configENS1_27scan_by_key_config_selectorIiiEEZZNS1_16scan_by_key_implILNS1_25lookback_scan_determinismE0ELb0ES3_PKiN6hipcub16HIPCUB_304000_NS21ConstantInputIteratorIilEEPiiNSB_3SumENSB_8EqualityEiEE10hipError_tPvRmT2_T3_T4_T5_mT6_T7_P12ihipStream_tbENKUlT_T0_E_clISt17integral_constantIbLb1EESW_IbLb0EEEEDaSS_ST_EUlSS_E_NS1_11comp_targetILNS1_3genE10ELNS1_11target_archE1201ELNS1_3gpuE5ELNS1_3repE0EEENS1_30default_config_static_selectorELNS0_4arch9wavefront6targetE1EEEvT1_.kd
    .uniform_work_group_size: 1
    .uses_dynamic_stack: false
    .vgpr_count:     0
    .vgpr_spill_count: 0
    .wavefront_size: 64
  - .agpr_count:     0
    .args:
      - .offset:         0
        .size:           120
        .value_kind:     by_value
    .group_segment_fixed_size: 0
    .kernarg_segment_align: 8
    .kernarg_segment_size: 120
    .language:       OpenCL C
    .language_version:
      - 2
      - 0
    .max_flat_workgroup_size: 256
    .name:           _ZN7rocprim17ROCPRIM_400000_NS6detail17trampoline_kernelINS0_14default_configENS1_27scan_by_key_config_selectorIiiEEZZNS1_16scan_by_key_implILNS1_25lookback_scan_determinismE0ELb0ES3_PKiN6hipcub16HIPCUB_304000_NS21ConstantInputIteratorIilEEPiiNSB_3SumENSB_8EqualityEiEE10hipError_tPvRmT2_T3_T4_T5_mT6_T7_P12ihipStream_tbENKUlT_T0_E_clISt17integral_constantIbLb1EESW_IbLb0EEEEDaSS_ST_EUlSS_E_NS1_11comp_targetILNS1_3genE5ELNS1_11target_archE942ELNS1_3gpuE9ELNS1_3repE0EEENS1_30default_config_static_selectorELNS0_4arch9wavefront6targetE1EEEvT1_
    .private_segment_fixed_size: 0
    .sgpr_count:     6
    .sgpr_spill_count: 0
    .symbol:         _ZN7rocprim17ROCPRIM_400000_NS6detail17trampoline_kernelINS0_14default_configENS1_27scan_by_key_config_selectorIiiEEZZNS1_16scan_by_key_implILNS1_25lookback_scan_determinismE0ELb0ES3_PKiN6hipcub16HIPCUB_304000_NS21ConstantInputIteratorIilEEPiiNSB_3SumENSB_8EqualityEiEE10hipError_tPvRmT2_T3_T4_T5_mT6_T7_P12ihipStream_tbENKUlT_T0_E_clISt17integral_constantIbLb1EESW_IbLb0EEEEDaSS_ST_EUlSS_E_NS1_11comp_targetILNS1_3genE5ELNS1_11target_archE942ELNS1_3gpuE9ELNS1_3repE0EEENS1_30default_config_static_selectorELNS0_4arch9wavefront6targetE1EEEvT1_.kd
    .uniform_work_group_size: 1
    .uses_dynamic_stack: false
    .vgpr_count:     0
    .vgpr_spill_count: 0
    .wavefront_size: 64
  - .agpr_count:     0
    .args:
      - .offset:         0
        .size:           120
        .value_kind:     by_value
    .group_segment_fixed_size: 0
    .kernarg_segment_align: 8
    .kernarg_segment_size: 120
    .language:       OpenCL C
    .language_version:
      - 2
      - 0
    .max_flat_workgroup_size: 256
    .name:           _ZN7rocprim17ROCPRIM_400000_NS6detail17trampoline_kernelINS0_14default_configENS1_27scan_by_key_config_selectorIiiEEZZNS1_16scan_by_key_implILNS1_25lookback_scan_determinismE0ELb0ES3_PKiN6hipcub16HIPCUB_304000_NS21ConstantInputIteratorIilEEPiiNSB_3SumENSB_8EqualityEiEE10hipError_tPvRmT2_T3_T4_T5_mT6_T7_P12ihipStream_tbENKUlT_T0_E_clISt17integral_constantIbLb1EESW_IbLb0EEEEDaSS_ST_EUlSS_E_NS1_11comp_targetILNS1_3genE4ELNS1_11target_archE910ELNS1_3gpuE8ELNS1_3repE0EEENS1_30default_config_static_selectorELNS0_4arch9wavefront6targetE1EEEvT1_
    .private_segment_fixed_size: 0
    .sgpr_count:     6
    .sgpr_spill_count: 0
    .symbol:         _ZN7rocprim17ROCPRIM_400000_NS6detail17trampoline_kernelINS0_14default_configENS1_27scan_by_key_config_selectorIiiEEZZNS1_16scan_by_key_implILNS1_25lookback_scan_determinismE0ELb0ES3_PKiN6hipcub16HIPCUB_304000_NS21ConstantInputIteratorIilEEPiiNSB_3SumENSB_8EqualityEiEE10hipError_tPvRmT2_T3_T4_T5_mT6_T7_P12ihipStream_tbENKUlT_T0_E_clISt17integral_constantIbLb1EESW_IbLb0EEEEDaSS_ST_EUlSS_E_NS1_11comp_targetILNS1_3genE4ELNS1_11target_archE910ELNS1_3gpuE8ELNS1_3repE0EEENS1_30default_config_static_selectorELNS0_4arch9wavefront6targetE1EEEvT1_.kd
    .uniform_work_group_size: 1
    .uses_dynamic_stack: false
    .vgpr_count:     0
    .vgpr_spill_count: 0
    .wavefront_size: 64
  - .agpr_count:     0
    .args:
      - .offset:         0
        .size:           120
        .value_kind:     by_value
    .group_segment_fixed_size: 0
    .kernarg_segment_align: 8
    .kernarg_segment_size: 120
    .language:       OpenCL C
    .language_version:
      - 2
      - 0
    .max_flat_workgroup_size: 256
    .name:           _ZN7rocprim17ROCPRIM_400000_NS6detail17trampoline_kernelINS0_14default_configENS1_27scan_by_key_config_selectorIiiEEZZNS1_16scan_by_key_implILNS1_25lookback_scan_determinismE0ELb0ES3_PKiN6hipcub16HIPCUB_304000_NS21ConstantInputIteratorIilEEPiiNSB_3SumENSB_8EqualityEiEE10hipError_tPvRmT2_T3_T4_T5_mT6_T7_P12ihipStream_tbENKUlT_T0_E_clISt17integral_constantIbLb1EESW_IbLb0EEEEDaSS_ST_EUlSS_E_NS1_11comp_targetILNS1_3genE3ELNS1_11target_archE908ELNS1_3gpuE7ELNS1_3repE0EEENS1_30default_config_static_selectorELNS0_4arch9wavefront6targetE1EEEvT1_
    .private_segment_fixed_size: 0
    .sgpr_count:     6
    .sgpr_spill_count: 0
    .symbol:         _ZN7rocprim17ROCPRIM_400000_NS6detail17trampoline_kernelINS0_14default_configENS1_27scan_by_key_config_selectorIiiEEZZNS1_16scan_by_key_implILNS1_25lookback_scan_determinismE0ELb0ES3_PKiN6hipcub16HIPCUB_304000_NS21ConstantInputIteratorIilEEPiiNSB_3SumENSB_8EqualityEiEE10hipError_tPvRmT2_T3_T4_T5_mT6_T7_P12ihipStream_tbENKUlT_T0_E_clISt17integral_constantIbLb1EESW_IbLb0EEEEDaSS_ST_EUlSS_E_NS1_11comp_targetILNS1_3genE3ELNS1_11target_archE908ELNS1_3gpuE7ELNS1_3repE0EEENS1_30default_config_static_selectorELNS0_4arch9wavefront6targetE1EEEvT1_.kd
    .uniform_work_group_size: 1
    .uses_dynamic_stack: false
    .vgpr_count:     0
    .vgpr_spill_count: 0
    .wavefront_size: 64
  - .agpr_count:     0
    .args:
      - .offset:         0
        .size:           120
        .value_kind:     by_value
    .group_segment_fixed_size: 0
    .kernarg_segment_align: 8
    .kernarg_segment_size: 120
    .language:       OpenCL C
    .language_version:
      - 2
      - 0
    .max_flat_workgroup_size: 256
    .name:           _ZN7rocprim17ROCPRIM_400000_NS6detail17trampoline_kernelINS0_14default_configENS1_27scan_by_key_config_selectorIiiEEZZNS1_16scan_by_key_implILNS1_25lookback_scan_determinismE0ELb0ES3_PKiN6hipcub16HIPCUB_304000_NS21ConstantInputIteratorIilEEPiiNSB_3SumENSB_8EqualityEiEE10hipError_tPvRmT2_T3_T4_T5_mT6_T7_P12ihipStream_tbENKUlT_T0_E_clISt17integral_constantIbLb1EESW_IbLb0EEEEDaSS_ST_EUlSS_E_NS1_11comp_targetILNS1_3genE2ELNS1_11target_archE906ELNS1_3gpuE6ELNS1_3repE0EEENS1_30default_config_static_selectorELNS0_4arch9wavefront6targetE1EEEvT1_
    .private_segment_fixed_size: 0
    .sgpr_count:     6
    .sgpr_spill_count: 0
    .symbol:         _ZN7rocprim17ROCPRIM_400000_NS6detail17trampoline_kernelINS0_14default_configENS1_27scan_by_key_config_selectorIiiEEZZNS1_16scan_by_key_implILNS1_25lookback_scan_determinismE0ELb0ES3_PKiN6hipcub16HIPCUB_304000_NS21ConstantInputIteratorIilEEPiiNSB_3SumENSB_8EqualityEiEE10hipError_tPvRmT2_T3_T4_T5_mT6_T7_P12ihipStream_tbENKUlT_T0_E_clISt17integral_constantIbLb1EESW_IbLb0EEEEDaSS_ST_EUlSS_E_NS1_11comp_targetILNS1_3genE2ELNS1_11target_archE906ELNS1_3gpuE6ELNS1_3repE0EEENS1_30default_config_static_selectorELNS0_4arch9wavefront6targetE1EEEvT1_.kd
    .uniform_work_group_size: 1
    .uses_dynamic_stack: false
    .vgpr_count:     0
    .vgpr_spill_count: 0
    .wavefront_size: 64
  - .agpr_count:     0
    .args:
      - .offset:         0
        .size:           120
        .value_kind:     by_value
    .group_segment_fixed_size: 0
    .kernarg_segment_align: 8
    .kernarg_segment_size: 120
    .language:       OpenCL C
    .language_version:
      - 2
      - 0
    .max_flat_workgroup_size: 256
    .name:           _ZN7rocprim17ROCPRIM_400000_NS6detail17trampoline_kernelINS0_14default_configENS1_27scan_by_key_config_selectorIiiEEZZNS1_16scan_by_key_implILNS1_25lookback_scan_determinismE0ELb0ES3_PKiN6hipcub16HIPCUB_304000_NS21ConstantInputIteratorIilEEPiiNSB_3SumENSB_8EqualityEiEE10hipError_tPvRmT2_T3_T4_T5_mT6_T7_P12ihipStream_tbENKUlT_T0_E_clISt17integral_constantIbLb1EESW_IbLb0EEEEDaSS_ST_EUlSS_E_NS1_11comp_targetILNS1_3genE10ELNS1_11target_archE1200ELNS1_3gpuE4ELNS1_3repE0EEENS1_30default_config_static_selectorELNS0_4arch9wavefront6targetE1EEEvT1_
    .private_segment_fixed_size: 0
    .sgpr_count:     6
    .sgpr_spill_count: 0
    .symbol:         _ZN7rocprim17ROCPRIM_400000_NS6detail17trampoline_kernelINS0_14default_configENS1_27scan_by_key_config_selectorIiiEEZZNS1_16scan_by_key_implILNS1_25lookback_scan_determinismE0ELb0ES3_PKiN6hipcub16HIPCUB_304000_NS21ConstantInputIteratorIilEEPiiNSB_3SumENSB_8EqualityEiEE10hipError_tPvRmT2_T3_T4_T5_mT6_T7_P12ihipStream_tbENKUlT_T0_E_clISt17integral_constantIbLb1EESW_IbLb0EEEEDaSS_ST_EUlSS_E_NS1_11comp_targetILNS1_3genE10ELNS1_11target_archE1200ELNS1_3gpuE4ELNS1_3repE0EEENS1_30default_config_static_selectorELNS0_4arch9wavefront6targetE1EEEvT1_.kd
    .uniform_work_group_size: 1
    .uses_dynamic_stack: false
    .vgpr_count:     0
    .vgpr_spill_count: 0
    .wavefront_size: 64
  - .agpr_count:     0
    .args:
      - .offset:         0
        .size:           120
        .value_kind:     by_value
    .group_segment_fixed_size: 0
    .kernarg_segment_align: 8
    .kernarg_segment_size: 120
    .language:       OpenCL C
    .language_version:
      - 2
      - 0
    .max_flat_workgroup_size: 256
    .name:           _ZN7rocprim17ROCPRIM_400000_NS6detail17trampoline_kernelINS0_14default_configENS1_27scan_by_key_config_selectorIiiEEZZNS1_16scan_by_key_implILNS1_25lookback_scan_determinismE0ELb0ES3_PKiN6hipcub16HIPCUB_304000_NS21ConstantInputIteratorIilEEPiiNSB_3SumENSB_8EqualityEiEE10hipError_tPvRmT2_T3_T4_T5_mT6_T7_P12ihipStream_tbENKUlT_T0_E_clISt17integral_constantIbLb1EESW_IbLb0EEEEDaSS_ST_EUlSS_E_NS1_11comp_targetILNS1_3genE9ELNS1_11target_archE1100ELNS1_3gpuE3ELNS1_3repE0EEENS1_30default_config_static_selectorELNS0_4arch9wavefront6targetE1EEEvT1_
    .private_segment_fixed_size: 0
    .sgpr_count:     6
    .sgpr_spill_count: 0
    .symbol:         _ZN7rocprim17ROCPRIM_400000_NS6detail17trampoline_kernelINS0_14default_configENS1_27scan_by_key_config_selectorIiiEEZZNS1_16scan_by_key_implILNS1_25lookback_scan_determinismE0ELb0ES3_PKiN6hipcub16HIPCUB_304000_NS21ConstantInputIteratorIilEEPiiNSB_3SumENSB_8EqualityEiEE10hipError_tPvRmT2_T3_T4_T5_mT6_T7_P12ihipStream_tbENKUlT_T0_E_clISt17integral_constantIbLb1EESW_IbLb0EEEEDaSS_ST_EUlSS_E_NS1_11comp_targetILNS1_3genE9ELNS1_11target_archE1100ELNS1_3gpuE3ELNS1_3repE0EEENS1_30default_config_static_selectorELNS0_4arch9wavefront6targetE1EEEvT1_.kd
    .uniform_work_group_size: 1
    .uses_dynamic_stack: false
    .vgpr_count:     0
    .vgpr_spill_count: 0
    .wavefront_size: 64
  - .agpr_count:     0
    .args:
      - .offset:         0
        .size:           120
        .value_kind:     by_value
    .group_segment_fixed_size: 0
    .kernarg_segment_align: 8
    .kernarg_segment_size: 120
    .language:       OpenCL C
    .language_version:
      - 2
      - 0
    .max_flat_workgroup_size: 256
    .name:           _ZN7rocprim17ROCPRIM_400000_NS6detail17trampoline_kernelINS0_14default_configENS1_27scan_by_key_config_selectorIiiEEZZNS1_16scan_by_key_implILNS1_25lookback_scan_determinismE0ELb0ES3_PKiN6hipcub16HIPCUB_304000_NS21ConstantInputIteratorIilEEPiiNSB_3SumENSB_8EqualityEiEE10hipError_tPvRmT2_T3_T4_T5_mT6_T7_P12ihipStream_tbENKUlT_T0_E_clISt17integral_constantIbLb1EESW_IbLb0EEEEDaSS_ST_EUlSS_E_NS1_11comp_targetILNS1_3genE8ELNS1_11target_archE1030ELNS1_3gpuE2ELNS1_3repE0EEENS1_30default_config_static_selectorELNS0_4arch9wavefront6targetE1EEEvT1_
    .private_segment_fixed_size: 0
    .sgpr_count:     6
    .sgpr_spill_count: 0
    .symbol:         _ZN7rocprim17ROCPRIM_400000_NS6detail17trampoline_kernelINS0_14default_configENS1_27scan_by_key_config_selectorIiiEEZZNS1_16scan_by_key_implILNS1_25lookback_scan_determinismE0ELb0ES3_PKiN6hipcub16HIPCUB_304000_NS21ConstantInputIteratorIilEEPiiNSB_3SumENSB_8EqualityEiEE10hipError_tPvRmT2_T3_T4_T5_mT6_T7_P12ihipStream_tbENKUlT_T0_E_clISt17integral_constantIbLb1EESW_IbLb0EEEEDaSS_ST_EUlSS_E_NS1_11comp_targetILNS1_3genE8ELNS1_11target_archE1030ELNS1_3gpuE2ELNS1_3repE0EEENS1_30default_config_static_selectorELNS0_4arch9wavefront6targetE1EEEvT1_.kd
    .uniform_work_group_size: 1
    .uses_dynamic_stack: false
    .vgpr_count:     0
    .vgpr_spill_count: 0
    .wavefront_size: 64
  - .agpr_count:     0
    .args:
      - .address_space:  global
        .offset:         0
        .size:           8
        .value_kind:     global_buffer
      - .offset:         8
        .size:           4
        .value_kind:     by_value
      - .offset:         12
        .size:           4
        .value_kind:     by_value
      - .address_space:  global
        .offset:         16
        .size:           8
        .value_kind:     global_buffer
      - .address_space:  global
        .offset:         24
        .size:           8
        .value_kind:     global_buffer
      - .actual_access:  write_only
        .address_space:  global
        .offset:         32
        .size:           8
        .value_kind:     global_buffer
      - .offset:         40
        .size:           8
        .value_kind:     by_value
      - .offset:         48
        .size:           4
        .value_kind:     by_value
      - .address_space:  global
        .offset:         56
        .size:           8
        .value_kind:     global_buffer
      - .offset:         64
        .size:           4
        .value_kind:     hidden_block_count_x
      - .offset:         68
        .size:           4
        .value_kind:     hidden_block_count_y
      - .offset:         72
        .size:           4
        .value_kind:     hidden_block_count_z
      - .offset:         76
        .size:           2
        .value_kind:     hidden_group_size_x
      - .offset:         78
        .size:           2
        .value_kind:     hidden_group_size_y
      - .offset:         80
        .size:           2
        .value_kind:     hidden_group_size_z
      - .offset:         82
        .size:           2
        .value_kind:     hidden_remainder_x
      - .offset:         84
        .size:           2
        .value_kind:     hidden_remainder_y
      - .offset:         86
        .size:           2
        .value_kind:     hidden_remainder_z
      - .offset:         104
        .size:           8
        .value_kind:     hidden_global_offset_x
      - .offset:         112
        .size:           8
        .value_kind:     hidden_global_offset_y
      - .offset:         120
        .size:           8
        .value_kind:     hidden_global_offset_z
      - .offset:         128
        .size:           2
        .value_kind:     hidden_grid_dims
    .group_segment_fixed_size: 0
    .kernarg_segment_align: 8
    .kernarg_segment_size: 320
    .language:       OpenCL C
    .language_version:
      - 2
      - 0
    .max_flat_workgroup_size: 256
    .name:           _ZN7rocprim17ROCPRIM_400000_NS6detail30init_device_scan_by_key_kernelINS1_19lookback_scan_stateINS0_5tupleIJibEEELb0ELb1EEEPKijNS1_16block_id_wrapperIjLb1EEEEEvT_jjPNSB_10value_typeET0_PNSt15iterator_traitsISE_E10value_typeEmT1_T2_
    .private_segment_fixed_size: 0
    .sgpr_count:     26
    .sgpr_spill_count: 0
    .symbol:         _ZN7rocprim17ROCPRIM_400000_NS6detail30init_device_scan_by_key_kernelINS1_19lookback_scan_stateINS0_5tupleIJibEEELb0ELb1EEEPKijNS1_16block_id_wrapperIjLb1EEEEEvT_jjPNSB_10value_typeET0_PNSt15iterator_traitsISE_E10value_typeEmT1_T2_.kd
    .uniform_work_group_size: 1
    .uses_dynamic_stack: false
    .vgpr_count:     10
    .vgpr_spill_count: 0
    .wavefront_size: 64
  - .agpr_count:     0
    .args:
      - .address_space:  global
        .offset:         0
        .size:           8
        .value_kind:     global_buffer
      - .offset:         8
        .size:           4
        .value_kind:     by_value
      - .offset:         12
        .size:           4
        .value_kind:     by_value
      - .address_space:  global
        .offset:         16
        .size:           8
        .value_kind:     global_buffer
      - .address_space:  global
        .offset:         24
        .size:           8
        .value_kind:     global_buffer
      - .offset:         32
        .size:           4
        .value_kind:     hidden_block_count_x
      - .offset:         36
        .size:           4
        .value_kind:     hidden_block_count_y
      - .offset:         40
        .size:           4
        .value_kind:     hidden_block_count_z
      - .offset:         44
        .size:           2
        .value_kind:     hidden_group_size_x
      - .offset:         46
        .size:           2
        .value_kind:     hidden_group_size_y
      - .offset:         48
        .size:           2
        .value_kind:     hidden_group_size_z
      - .offset:         50
        .size:           2
        .value_kind:     hidden_remainder_x
      - .offset:         52
        .size:           2
        .value_kind:     hidden_remainder_y
      - .offset:         54
        .size:           2
        .value_kind:     hidden_remainder_z
      - .offset:         72
        .size:           8
        .value_kind:     hidden_global_offset_x
      - .offset:         80
        .size:           8
        .value_kind:     hidden_global_offset_y
      - .offset:         88
        .size:           8
        .value_kind:     hidden_global_offset_z
      - .offset:         96
        .size:           2
        .value_kind:     hidden_grid_dims
    .group_segment_fixed_size: 0
    .kernarg_segment_align: 8
    .kernarg_segment_size: 288
    .language:       OpenCL C
    .language_version:
      - 2
      - 0
    .max_flat_workgroup_size: 256
    .name:           _ZN7rocprim17ROCPRIM_400000_NS6detail30init_device_scan_by_key_kernelINS1_19lookback_scan_stateINS0_5tupleIJibEEELb0ELb1EEENS1_16block_id_wrapperIjLb1EEEEEvT_jjPNS9_10value_typeET0_
    .private_segment_fixed_size: 0
    .sgpr_count:     22
    .sgpr_spill_count: 0
    .symbol:         _ZN7rocprim17ROCPRIM_400000_NS6detail30init_device_scan_by_key_kernelINS1_19lookback_scan_stateINS0_5tupleIJibEEELb0ELb1EEENS1_16block_id_wrapperIjLb1EEEEEvT_jjPNS9_10value_typeET0_.kd
    .uniform_work_group_size: 1
    .uses_dynamic_stack: false
    .vgpr_count:     10
    .vgpr_spill_count: 0
    .wavefront_size: 64
  - .agpr_count:     0
    .args:
      - .offset:         0
        .size:           120
        .value_kind:     by_value
    .group_segment_fixed_size: 14336
    .kernarg_segment_align: 8
    .kernarg_segment_size: 120
    .language:       OpenCL C
    .language_version:
      - 2
      - 0
    .max_flat_workgroup_size: 256
    .name:           _ZN7rocprim17ROCPRIM_400000_NS6detail17trampoline_kernelINS0_14default_configENS1_27scan_by_key_config_selectorIiiEEZZNS1_16scan_by_key_implILNS1_25lookback_scan_determinismE0ELb0ES3_PKiN6hipcub16HIPCUB_304000_NS21ConstantInputIteratorIilEEPiiNSB_3SumENSB_8EqualityEiEE10hipError_tPvRmT2_T3_T4_T5_mT6_T7_P12ihipStream_tbENKUlT_T0_E_clISt17integral_constantIbLb0EESW_IbLb1EEEEDaSS_ST_EUlSS_E_NS1_11comp_targetILNS1_3genE0ELNS1_11target_archE4294967295ELNS1_3gpuE0ELNS1_3repE0EEENS1_30default_config_static_selectorELNS0_4arch9wavefront6targetE1EEEvT1_
    .private_segment_fixed_size: 0
    .sgpr_count:     66
    .sgpr_spill_count: 0
    .symbol:         _ZN7rocprim17ROCPRIM_400000_NS6detail17trampoline_kernelINS0_14default_configENS1_27scan_by_key_config_selectorIiiEEZZNS1_16scan_by_key_implILNS1_25lookback_scan_determinismE0ELb0ES3_PKiN6hipcub16HIPCUB_304000_NS21ConstantInputIteratorIilEEPiiNSB_3SumENSB_8EqualityEiEE10hipError_tPvRmT2_T3_T4_T5_mT6_T7_P12ihipStream_tbENKUlT_T0_E_clISt17integral_constantIbLb0EESW_IbLb1EEEEDaSS_ST_EUlSS_E_NS1_11comp_targetILNS1_3genE0ELNS1_11target_archE4294967295ELNS1_3gpuE0ELNS1_3repE0EEENS1_30default_config_static_selectorELNS0_4arch9wavefront6targetE1EEEvT1_.kd
    .uniform_work_group_size: 1
    .uses_dynamic_stack: false
    .vgpr_count:     62
    .vgpr_spill_count: 0
    .wavefront_size: 64
  - .agpr_count:     0
    .args:
      - .offset:         0
        .size:           120
        .value_kind:     by_value
    .group_segment_fixed_size: 0
    .kernarg_segment_align: 8
    .kernarg_segment_size: 120
    .language:       OpenCL C
    .language_version:
      - 2
      - 0
    .max_flat_workgroup_size: 256
    .name:           _ZN7rocprim17ROCPRIM_400000_NS6detail17trampoline_kernelINS0_14default_configENS1_27scan_by_key_config_selectorIiiEEZZNS1_16scan_by_key_implILNS1_25lookback_scan_determinismE0ELb0ES3_PKiN6hipcub16HIPCUB_304000_NS21ConstantInputIteratorIilEEPiiNSB_3SumENSB_8EqualityEiEE10hipError_tPvRmT2_T3_T4_T5_mT6_T7_P12ihipStream_tbENKUlT_T0_E_clISt17integral_constantIbLb0EESW_IbLb1EEEEDaSS_ST_EUlSS_E_NS1_11comp_targetILNS1_3genE10ELNS1_11target_archE1201ELNS1_3gpuE5ELNS1_3repE0EEENS1_30default_config_static_selectorELNS0_4arch9wavefront6targetE1EEEvT1_
    .private_segment_fixed_size: 0
    .sgpr_count:     6
    .sgpr_spill_count: 0
    .symbol:         _ZN7rocprim17ROCPRIM_400000_NS6detail17trampoline_kernelINS0_14default_configENS1_27scan_by_key_config_selectorIiiEEZZNS1_16scan_by_key_implILNS1_25lookback_scan_determinismE0ELb0ES3_PKiN6hipcub16HIPCUB_304000_NS21ConstantInputIteratorIilEEPiiNSB_3SumENSB_8EqualityEiEE10hipError_tPvRmT2_T3_T4_T5_mT6_T7_P12ihipStream_tbENKUlT_T0_E_clISt17integral_constantIbLb0EESW_IbLb1EEEEDaSS_ST_EUlSS_E_NS1_11comp_targetILNS1_3genE10ELNS1_11target_archE1201ELNS1_3gpuE5ELNS1_3repE0EEENS1_30default_config_static_selectorELNS0_4arch9wavefront6targetE1EEEvT1_.kd
    .uniform_work_group_size: 1
    .uses_dynamic_stack: false
    .vgpr_count:     0
    .vgpr_spill_count: 0
    .wavefront_size: 64
  - .agpr_count:     0
    .args:
      - .offset:         0
        .size:           120
        .value_kind:     by_value
    .group_segment_fixed_size: 0
    .kernarg_segment_align: 8
    .kernarg_segment_size: 120
    .language:       OpenCL C
    .language_version:
      - 2
      - 0
    .max_flat_workgroup_size: 256
    .name:           _ZN7rocprim17ROCPRIM_400000_NS6detail17trampoline_kernelINS0_14default_configENS1_27scan_by_key_config_selectorIiiEEZZNS1_16scan_by_key_implILNS1_25lookback_scan_determinismE0ELb0ES3_PKiN6hipcub16HIPCUB_304000_NS21ConstantInputIteratorIilEEPiiNSB_3SumENSB_8EqualityEiEE10hipError_tPvRmT2_T3_T4_T5_mT6_T7_P12ihipStream_tbENKUlT_T0_E_clISt17integral_constantIbLb0EESW_IbLb1EEEEDaSS_ST_EUlSS_E_NS1_11comp_targetILNS1_3genE5ELNS1_11target_archE942ELNS1_3gpuE9ELNS1_3repE0EEENS1_30default_config_static_selectorELNS0_4arch9wavefront6targetE1EEEvT1_
    .private_segment_fixed_size: 0
    .sgpr_count:     6
    .sgpr_spill_count: 0
    .symbol:         _ZN7rocprim17ROCPRIM_400000_NS6detail17trampoline_kernelINS0_14default_configENS1_27scan_by_key_config_selectorIiiEEZZNS1_16scan_by_key_implILNS1_25lookback_scan_determinismE0ELb0ES3_PKiN6hipcub16HIPCUB_304000_NS21ConstantInputIteratorIilEEPiiNSB_3SumENSB_8EqualityEiEE10hipError_tPvRmT2_T3_T4_T5_mT6_T7_P12ihipStream_tbENKUlT_T0_E_clISt17integral_constantIbLb0EESW_IbLb1EEEEDaSS_ST_EUlSS_E_NS1_11comp_targetILNS1_3genE5ELNS1_11target_archE942ELNS1_3gpuE9ELNS1_3repE0EEENS1_30default_config_static_selectorELNS0_4arch9wavefront6targetE1EEEvT1_.kd
    .uniform_work_group_size: 1
    .uses_dynamic_stack: false
    .vgpr_count:     0
    .vgpr_spill_count: 0
    .wavefront_size: 64
  - .agpr_count:     0
    .args:
      - .offset:         0
        .size:           120
        .value_kind:     by_value
    .group_segment_fixed_size: 0
    .kernarg_segment_align: 8
    .kernarg_segment_size: 120
    .language:       OpenCL C
    .language_version:
      - 2
      - 0
    .max_flat_workgroup_size: 256
    .name:           _ZN7rocprim17ROCPRIM_400000_NS6detail17trampoline_kernelINS0_14default_configENS1_27scan_by_key_config_selectorIiiEEZZNS1_16scan_by_key_implILNS1_25lookback_scan_determinismE0ELb0ES3_PKiN6hipcub16HIPCUB_304000_NS21ConstantInputIteratorIilEEPiiNSB_3SumENSB_8EqualityEiEE10hipError_tPvRmT2_T3_T4_T5_mT6_T7_P12ihipStream_tbENKUlT_T0_E_clISt17integral_constantIbLb0EESW_IbLb1EEEEDaSS_ST_EUlSS_E_NS1_11comp_targetILNS1_3genE4ELNS1_11target_archE910ELNS1_3gpuE8ELNS1_3repE0EEENS1_30default_config_static_selectorELNS0_4arch9wavefront6targetE1EEEvT1_
    .private_segment_fixed_size: 0
    .sgpr_count:     6
    .sgpr_spill_count: 0
    .symbol:         _ZN7rocprim17ROCPRIM_400000_NS6detail17trampoline_kernelINS0_14default_configENS1_27scan_by_key_config_selectorIiiEEZZNS1_16scan_by_key_implILNS1_25lookback_scan_determinismE0ELb0ES3_PKiN6hipcub16HIPCUB_304000_NS21ConstantInputIteratorIilEEPiiNSB_3SumENSB_8EqualityEiEE10hipError_tPvRmT2_T3_T4_T5_mT6_T7_P12ihipStream_tbENKUlT_T0_E_clISt17integral_constantIbLb0EESW_IbLb1EEEEDaSS_ST_EUlSS_E_NS1_11comp_targetILNS1_3genE4ELNS1_11target_archE910ELNS1_3gpuE8ELNS1_3repE0EEENS1_30default_config_static_selectorELNS0_4arch9wavefront6targetE1EEEvT1_.kd
    .uniform_work_group_size: 1
    .uses_dynamic_stack: false
    .vgpr_count:     0
    .vgpr_spill_count: 0
    .wavefront_size: 64
  - .agpr_count:     0
    .args:
      - .offset:         0
        .size:           120
        .value_kind:     by_value
    .group_segment_fixed_size: 0
    .kernarg_segment_align: 8
    .kernarg_segment_size: 120
    .language:       OpenCL C
    .language_version:
      - 2
      - 0
    .max_flat_workgroup_size: 256
    .name:           _ZN7rocprim17ROCPRIM_400000_NS6detail17trampoline_kernelINS0_14default_configENS1_27scan_by_key_config_selectorIiiEEZZNS1_16scan_by_key_implILNS1_25lookback_scan_determinismE0ELb0ES3_PKiN6hipcub16HIPCUB_304000_NS21ConstantInputIteratorIilEEPiiNSB_3SumENSB_8EqualityEiEE10hipError_tPvRmT2_T3_T4_T5_mT6_T7_P12ihipStream_tbENKUlT_T0_E_clISt17integral_constantIbLb0EESW_IbLb1EEEEDaSS_ST_EUlSS_E_NS1_11comp_targetILNS1_3genE3ELNS1_11target_archE908ELNS1_3gpuE7ELNS1_3repE0EEENS1_30default_config_static_selectorELNS0_4arch9wavefront6targetE1EEEvT1_
    .private_segment_fixed_size: 0
    .sgpr_count:     6
    .sgpr_spill_count: 0
    .symbol:         _ZN7rocprim17ROCPRIM_400000_NS6detail17trampoline_kernelINS0_14default_configENS1_27scan_by_key_config_selectorIiiEEZZNS1_16scan_by_key_implILNS1_25lookback_scan_determinismE0ELb0ES3_PKiN6hipcub16HIPCUB_304000_NS21ConstantInputIteratorIilEEPiiNSB_3SumENSB_8EqualityEiEE10hipError_tPvRmT2_T3_T4_T5_mT6_T7_P12ihipStream_tbENKUlT_T0_E_clISt17integral_constantIbLb0EESW_IbLb1EEEEDaSS_ST_EUlSS_E_NS1_11comp_targetILNS1_3genE3ELNS1_11target_archE908ELNS1_3gpuE7ELNS1_3repE0EEENS1_30default_config_static_selectorELNS0_4arch9wavefront6targetE1EEEvT1_.kd
    .uniform_work_group_size: 1
    .uses_dynamic_stack: false
    .vgpr_count:     0
    .vgpr_spill_count: 0
    .wavefront_size: 64
  - .agpr_count:     0
    .args:
      - .offset:         0
        .size:           120
        .value_kind:     by_value
    .group_segment_fixed_size: 0
    .kernarg_segment_align: 8
    .kernarg_segment_size: 120
    .language:       OpenCL C
    .language_version:
      - 2
      - 0
    .max_flat_workgroup_size: 256
    .name:           _ZN7rocprim17ROCPRIM_400000_NS6detail17trampoline_kernelINS0_14default_configENS1_27scan_by_key_config_selectorIiiEEZZNS1_16scan_by_key_implILNS1_25lookback_scan_determinismE0ELb0ES3_PKiN6hipcub16HIPCUB_304000_NS21ConstantInputIteratorIilEEPiiNSB_3SumENSB_8EqualityEiEE10hipError_tPvRmT2_T3_T4_T5_mT6_T7_P12ihipStream_tbENKUlT_T0_E_clISt17integral_constantIbLb0EESW_IbLb1EEEEDaSS_ST_EUlSS_E_NS1_11comp_targetILNS1_3genE2ELNS1_11target_archE906ELNS1_3gpuE6ELNS1_3repE0EEENS1_30default_config_static_selectorELNS0_4arch9wavefront6targetE1EEEvT1_
    .private_segment_fixed_size: 0
    .sgpr_count:     6
    .sgpr_spill_count: 0
    .symbol:         _ZN7rocprim17ROCPRIM_400000_NS6detail17trampoline_kernelINS0_14default_configENS1_27scan_by_key_config_selectorIiiEEZZNS1_16scan_by_key_implILNS1_25lookback_scan_determinismE0ELb0ES3_PKiN6hipcub16HIPCUB_304000_NS21ConstantInputIteratorIilEEPiiNSB_3SumENSB_8EqualityEiEE10hipError_tPvRmT2_T3_T4_T5_mT6_T7_P12ihipStream_tbENKUlT_T0_E_clISt17integral_constantIbLb0EESW_IbLb1EEEEDaSS_ST_EUlSS_E_NS1_11comp_targetILNS1_3genE2ELNS1_11target_archE906ELNS1_3gpuE6ELNS1_3repE0EEENS1_30default_config_static_selectorELNS0_4arch9wavefront6targetE1EEEvT1_.kd
    .uniform_work_group_size: 1
    .uses_dynamic_stack: false
    .vgpr_count:     0
    .vgpr_spill_count: 0
    .wavefront_size: 64
  - .agpr_count:     0
    .args:
      - .offset:         0
        .size:           120
        .value_kind:     by_value
    .group_segment_fixed_size: 0
    .kernarg_segment_align: 8
    .kernarg_segment_size: 120
    .language:       OpenCL C
    .language_version:
      - 2
      - 0
    .max_flat_workgroup_size: 256
    .name:           _ZN7rocprim17ROCPRIM_400000_NS6detail17trampoline_kernelINS0_14default_configENS1_27scan_by_key_config_selectorIiiEEZZNS1_16scan_by_key_implILNS1_25lookback_scan_determinismE0ELb0ES3_PKiN6hipcub16HIPCUB_304000_NS21ConstantInputIteratorIilEEPiiNSB_3SumENSB_8EqualityEiEE10hipError_tPvRmT2_T3_T4_T5_mT6_T7_P12ihipStream_tbENKUlT_T0_E_clISt17integral_constantIbLb0EESW_IbLb1EEEEDaSS_ST_EUlSS_E_NS1_11comp_targetILNS1_3genE10ELNS1_11target_archE1200ELNS1_3gpuE4ELNS1_3repE0EEENS1_30default_config_static_selectorELNS0_4arch9wavefront6targetE1EEEvT1_
    .private_segment_fixed_size: 0
    .sgpr_count:     6
    .sgpr_spill_count: 0
    .symbol:         _ZN7rocprim17ROCPRIM_400000_NS6detail17trampoline_kernelINS0_14default_configENS1_27scan_by_key_config_selectorIiiEEZZNS1_16scan_by_key_implILNS1_25lookback_scan_determinismE0ELb0ES3_PKiN6hipcub16HIPCUB_304000_NS21ConstantInputIteratorIilEEPiiNSB_3SumENSB_8EqualityEiEE10hipError_tPvRmT2_T3_T4_T5_mT6_T7_P12ihipStream_tbENKUlT_T0_E_clISt17integral_constantIbLb0EESW_IbLb1EEEEDaSS_ST_EUlSS_E_NS1_11comp_targetILNS1_3genE10ELNS1_11target_archE1200ELNS1_3gpuE4ELNS1_3repE0EEENS1_30default_config_static_selectorELNS0_4arch9wavefront6targetE1EEEvT1_.kd
    .uniform_work_group_size: 1
    .uses_dynamic_stack: false
    .vgpr_count:     0
    .vgpr_spill_count: 0
    .wavefront_size: 64
  - .agpr_count:     0
    .args:
      - .offset:         0
        .size:           120
        .value_kind:     by_value
    .group_segment_fixed_size: 0
    .kernarg_segment_align: 8
    .kernarg_segment_size: 120
    .language:       OpenCL C
    .language_version:
      - 2
      - 0
    .max_flat_workgroup_size: 256
    .name:           _ZN7rocprim17ROCPRIM_400000_NS6detail17trampoline_kernelINS0_14default_configENS1_27scan_by_key_config_selectorIiiEEZZNS1_16scan_by_key_implILNS1_25lookback_scan_determinismE0ELb0ES3_PKiN6hipcub16HIPCUB_304000_NS21ConstantInputIteratorIilEEPiiNSB_3SumENSB_8EqualityEiEE10hipError_tPvRmT2_T3_T4_T5_mT6_T7_P12ihipStream_tbENKUlT_T0_E_clISt17integral_constantIbLb0EESW_IbLb1EEEEDaSS_ST_EUlSS_E_NS1_11comp_targetILNS1_3genE9ELNS1_11target_archE1100ELNS1_3gpuE3ELNS1_3repE0EEENS1_30default_config_static_selectorELNS0_4arch9wavefront6targetE1EEEvT1_
    .private_segment_fixed_size: 0
    .sgpr_count:     6
    .sgpr_spill_count: 0
    .symbol:         _ZN7rocprim17ROCPRIM_400000_NS6detail17trampoline_kernelINS0_14default_configENS1_27scan_by_key_config_selectorIiiEEZZNS1_16scan_by_key_implILNS1_25lookback_scan_determinismE0ELb0ES3_PKiN6hipcub16HIPCUB_304000_NS21ConstantInputIteratorIilEEPiiNSB_3SumENSB_8EqualityEiEE10hipError_tPvRmT2_T3_T4_T5_mT6_T7_P12ihipStream_tbENKUlT_T0_E_clISt17integral_constantIbLb0EESW_IbLb1EEEEDaSS_ST_EUlSS_E_NS1_11comp_targetILNS1_3genE9ELNS1_11target_archE1100ELNS1_3gpuE3ELNS1_3repE0EEENS1_30default_config_static_selectorELNS0_4arch9wavefront6targetE1EEEvT1_.kd
    .uniform_work_group_size: 1
    .uses_dynamic_stack: false
    .vgpr_count:     0
    .vgpr_spill_count: 0
    .wavefront_size: 64
  - .agpr_count:     0
    .args:
      - .offset:         0
        .size:           120
        .value_kind:     by_value
    .group_segment_fixed_size: 0
    .kernarg_segment_align: 8
    .kernarg_segment_size: 120
    .language:       OpenCL C
    .language_version:
      - 2
      - 0
    .max_flat_workgroup_size: 256
    .name:           _ZN7rocprim17ROCPRIM_400000_NS6detail17trampoline_kernelINS0_14default_configENS1_27scan_by_key_config_selectorIiiEEZZNS1_16scan_by_key_implILNS1_25lookback_scan_determinismE0ELb0ES3_PKiN6hipcub16HIPCUB_304000_NS21ConstantInputIteratorIilEEPiiNSB_3SumENSB_8EqualityEiEE10hipError_tPvRmT2_T3_T4_T5_mT6_T7_P12ihipStream_tbENKUlT_T0_E_clISt17integral_constantIbLb0EESW_IbLb1EEEEDaSS_ST_EUlSS_E_NS1_11comp_targetILNS1_3genE8ELNS1_11target_archE1030ELNS1_3gpuE2ELNS1_3repE0EEENS1_30default_config_static_selectorELNS0_4arch9wavefront6targetE1EEEvT1_
    .private_segment_fixed_size: 0
    .sgpr_count:     6
    .sgpr_spill_count: 0
    .symbol:         _ZN7rocprim17ROCPRIM_400000_NS6detail17trampoline_kernelINS0_14default_configENS1_27scan_by_key_config_selectorIiiEEZZNS1_16scan_by_key_implILNS1_25lookback_scan_determinismE0ELb0ES3_PKiN6hipcub16HIPCUB_304000_NS21ConstantInputIteratorIilEEPiiNSB_3SumENSB_8EqualityEiEE10hipError_tPvRmT2_T3_T4_T5_mT6_T7_P12ihipStream_tbENKUlT_T0_E_clISt17integral_constantIbLb0EESW_IbLb1EEEEDaSS_ST_EUlSS_E_NS1_11comp_targetILNS1_3genE8ELNS1_11target_archE1030ELNS1_3gpuE2ELNS1_3repE0EEENS1_30default_config_static_selectorELNS0_4arch9wavefront6targetE1EEEvT1_.kd
    .uniform_work_group_size: 1
    .uses_dynamic_stack: false
    .vgpr_count:     0
    .vgpr_spill_count: 0
    .wavefront_size: 64
  - .agpr_count:     0
    .args:
      - .address_space:  global
        .offset:         0
        .size:           8
        .value_kind:     global_buffer
      - .offset:         8
        .size:           4
        .value_kind:     by_value
      - .offset:         12
        .size:           4
        .value_kind:     by_value
      - .address_space:  global
        .offset:         16
        .size:           8
        .value_kind:     global_buffer
      - .address_space:  global
        .offset:         24
        .size:           8
        .value_kind:     global_buffer
      - .actual_access:  write_only
        .address_space:  global
        .offset:         32
        .size:           8
        .value_kind:     global_buffer
      - .offset:         40
        .size:           8
        .value_kind:     by_value
      - .offset:         48
        .size:           4
        .value_kind:     by_value
      - .offset:         52
        .size:           1
        .value_kind:     by_value
      - .offset:         56
        .size:           4
        .value_kind:     hidden_block_count_x
      - .offset:         60
        .size:           4
        .value_kind:     hidden_block_count_y
      - .offset:         64
        .size:           4
        .value_kind:     hidden_block_count_z
      - .offset:         68
        .size:           2
        .value_kind:     hidden_group_size_x
      - .offset:         70
        .size:           2
        .value_kind:     hidden_group_size_y
      - .offset:         72
        .size:           2
        .value_kind:     hidden_group_size_z
      - .offset:         74
        .size:           2
        .value_kind:     hidden_remainder_x
      - .offset:         76
        .size:           2
        .value_kind:     hidden_remainder_y
      - .offset:         78
        .size:           2
        .value_kind:     hidden_remainder_z
      - .offset:         96
        .size:           8
        .value_kind:     hidden_global_offset_x
      - .offset:         104
        .size:           8
        .value_kind:     hidden_global_offset_y
      - .offset:         112
        .size:           8
        .value_kind:     hidden_global_offset_z
      - .offset:         120
        .size:           2
        .value_kind:     hidden_grid_dims
    .group_segment_fixed_size: 0
    .kernarg_segment_align: 8
    .kernarg_segment_size: 312
    .language:       OpenCL C
    .language_version:
      - 2
      - 0
    .max_flat_workgroup_size: 256
    .name:           _ZN7rocprim17ROCPRIM_400000_NS6detail30init_device_scan_by_key_kernelINS1_19lookback_scan_stateINS0_5tupleIJibEEELb0ELb1EEEN6thrust23THRUST_200600_302600_NS16reverse_iteratorIPKiEEjNS1_16block_id_wrapperIjLb0EEEEEvT_jjPNSF_10value_typeET0_PNSt15iterator_traitsISI_E10value_typeEmT1_T2_
    .private_segment_fixed_size: 0
    .sgpr_count:     26
    .sgpr_spill_count: 0
    .symbol:         _ZN7rocprim17ROCPRIM_400000_NS6detail30init_device_scan_by_key_kernelINS1_19lookback_scan_stateINS0_5tupleIJibEEELb0ELb1EEEN6thrust23THRUST_200600_302600_NS16reverse_iteratorIPKiEEjNS1_16block_id_wrapperIjLb0EEEEEvT_jjPNSF_10value_typeET0_PNSt15iterator_traitsISI_E10value_typeEmT1_T2_.kd
    .uniform_work_group_size: 1
    .uses_dynamic_stack: false
    .vgpr_count:     10
    .vgpr_spill_count: 0
    .wavefront_size: 64
  - .agpr_count:     0
    .args:
      - .offset:         0
        .size:           112
        .value_kind:     by_value
    .group_segment_fixed_size: 14336
    .kernarg_segment_align: 8
    .kernarg_segment_size: 112
    .language:       OpenCL C
    .language_version:
      - 2
      - 0
    .max_flat_workgroup_size: 256
    .name:           _ZN7rocprim17ROCPRIM_400000_NS6detail17trampoline_kernelINS0_14default_configENS1_27scan_by_key_config_selectorIiiEEZZNS1_16scan_by_key_implILNS1_25lookback_scan_determinismE0ELb0ES3_N6thrust23THRUST_200600_302600_NS16reverse_iteratorIPKiEESD_NSA_IPiEEiN6hipcub16HIPCUB_304000_NS3MaxENSH_8EqualityEiEE10hipError_tPvRmT2_T3_T4_T5_mT6_T7_P12ihipStream_tbENKUlT_T0_E_clISt17integral_constantIbLb0EES10_EEDaSV_SW_EUlSV_E_NS1_11comp_targetILNS1_3genE0ELNS1_11target_archE4294967295ELNS1_3gpuE0ELNS1_3repE0EEENS1_30default_config_static_selectorELNS0_4arch9wavefront6targetE1EEEvT1_
    .private_segment_fixed_size: 0
    .sgpr_count:     66
    .sgpr_spill_count: 0
    .symbol:         _ZN7rocprim17ROCPRIM_400000_NS6detail17trampoline_kernelINS0_14default_configENS1_27scan_by_key_config_selectorIiiEEZZNS1_16scan_by_key_implILNS1_25lookback_scan_determinismE0ELb0ES3_N6thrust23THRUST_200600_302600_NS16reverse_iteratorIPKiEESD_NSA_IPiEEiN6hipcub16HIPCUB_304000_NS3MaxENSH_8EqualityEiEE10hipError_tPvRmT2_T3_T4_T5_mT6_T7_P12ihipStream_tbENKUlT_T0_E_clISt17integral_constantIbLb0EES10_EEDaSV_SW_EUlSV_E_NS1_11comp_targetILNS1_3genE0ELNS1_11target_archE4294967295ELNS1_3gpuE0ELNS1_3repE0EEENS1_30default_config_static_selectorELNS0_4arch9wavefront6targetE1EEEvT1_.kd
    .uniform_work_group_size: 1
    .uses_dynamic_stack: false
    .vgpr_count:     60
    .vgpr_spill_count: 0
    .wavefront_size: 64
  - .agpr_count:     0
    .args:
      - .offset:         0
        .size:           112
        .value_kind:     by_value
    .group_segment_fixed_size: 0
    .kernarg_segment_align: 8
    .kernarg_segment_size: 112
    .language:       OpenCL C
    .language_version:
      - 2
      - 0
    .max_flat_workgroup_size: 256
    .name:           _ZN7rocprim17ROCPRIM_400000_NS6detail17trampoline_kernelINS0_14default_configENS1_27scan_by_key_config_selectorIiiEEZZNS1_16scan_by_key_implILNS1_25lookback_scan_determinismE0ELb0ES3_N6thrust23THRUST_200600_302600_NS16reverse_iteratorIPKiEESD_NSA_IPiEEiN6hipcub16HIPCUB_304000_NS3MaxENSH_8EqualityEiEE10hipError_tPvRmT2_T3_T4_T5_mT6_T7_P12ihipStream_tbENKUlT_T0_E_clISt17integral_constantIbLb0EES10_EEDaSV_SW_EUlSV_E_NS1_11comp_targetILNS1_3genE10ELNS1_11target_archE1201ELNS1_3gpuE5ELNS1_3repE0EEENS1_30default_config_static_selectorELNS0_4arch9wavefront6targetE1EEEvT1_
    .private_segment_fixed_size: 0
    .sgpr_count:     6
    .sgpr_spill_count: 0
    .symbol:         _ZN7rocprim17ROCPRIM_400000_NS6detail17trampoline_kernelINS0_14default_configENS1_27scan_by_key_config_selectorIiiEEZZNS1_16scan_by_key_implILNS1_25lookback_scan_determinismE0ELb0ES3_N6thrust23THRUST_200600_302600_NS16reverse_iteratorIPKiEESD_NSA_IPiEEiN6hipcub16HIPCUB_304000_NS3MaxENSH_8EqualityEiEE10hipError_tPvRmT2_T3_T4_T5_mT6_T7_P12ihipStream_tbENKUlT_T0_E_clISt17integral_constantIbLb0EES10_EEDaSV_SW_EUlSV_E_NS1_11comp_targetILNS1_3genE10ELNS1_11target_archE1201ELNS1_3gpuE5ELNS1_3repE0EEENS1_30default_config_static_selectorELNS0_4arch9wavefront6targetE1EEEvT1_.kd
    .uniform_work_group_size: 1
    .uses_dynamic_stack: false
    .vgpr_count:     0
    .vgpr_spill_count: 0
    .wavefront_size: 64
  - .agpr_count:     0
    .args:
      - .offset:         0
        .size:           112
        .value_kind:     by_value
    .group_segment_fixed_size: 0
    .kernarg_segment_align: 8
    .kernarg_segment_size: 112
    .language:       OpenCL C
    .language_version:
      - 2
      - 0
    .max_flat_workgroup_size: 256
    .name:           _ZN7rocprim17ROCPRIM_400000_NS6detail17trampoline_kernelINS0_14default_configENS1_27scan_by_key_config_selectorIiiEEZZNS1_16scan_by_key_implILNS1_25lookback_scan_determinismE0ELb0ES3_N6thrust23THRUST_200600_302600_NS16reverse_iteratorIPKiEESD_NSA_IPiEEiN6hipcub16HIPCUB_304000_NS3MaxENSH_8EqualityEiEE10hipError_tPvRmT2_T3_T4_T5_mT6_T7_P12ihipStream_tbENKUlT_T0_E_clISt17integral_constantIbLb0EES10_EEDaSV_SW_EUlSV_E_NS1_11comp_targetILNS1_3genE5ELNS1_11target_archE942ELNS1_3gpuE9ELNS1_3repE0EEENS1_30default_config_static_selectorELNS0_4arch9wavefront6targetE1EEEvT1_
    .private_segment_fixed_size: 0
    .sgpr_count:     6
    .sgpr_spill_count: 0
    .symbol:         _ZN7rocprim17ROCPRIM_400000_NS6detail17trampoline_kernelINS0_14default_configENS1_27scan_by_key_config_selectorIiiEEZZNS1_16scan_by_key_implILNS1_25lookback_scan_determinismE0ELb0ES3_N6thrust23THRUST_200600_302600_NS16reverse_iteratorIPKiEESD_NSA_IPiEEiN6hipcub16HIPCUB_304000_NS3MaxENSH_8EqualityEiEE10hipError_tPvRmT2_T3_T4_T5_mT6_T7_P12ihipStream_tbENKUlT_T0_E_clISt17integral_constantIbLb0EES10_EEDaSV_SW_EUlSV_E_NS1_11comp_targetILNS1_3genE5ELNS1_11target_archE942ELNS1_3gpuE9ELNS1_3repE0EEENS1_30default_config_static_selectorELNS0_4arch9wavefront6targetE1EEEvT1_.kd
    .uniform_work_group_size: 1
    .uses_dynamic_stack: false
    .vgpr_count:     0
    .vgpr_spill_count: 0
    .wavefront_size: 64
  - .agpr_count:     0
    .args:
      - .offset:         0
        .size:           112
        .value_kind:     by_value
    .group_segment_fixed_size: 0
    .kernarg_segment_align: 8
    .kernarg_segment_size: 112
    .language:       OpenCL C
    .language_version:
      - 2
      - 0
    .max_flat_workgroup_size: 256
    .name:           _ZN7rocprim17ROCPRIM_400000_NS6detail17trampoline_kernelINS0_14default_configENS1_27scan_by_key_config_selectorIiiEEZZNS1_16scan_by_key_implILNS1_25lookback_scan_determinismE0ELb0ES3_N6thrust23THRUST_200600_302600_NS16reverse_iteratorIPKiEESD_NSA_IPiEEiN6hipcub16HIPCUB_304000_NS3MaxENSH_8EqualityEiEE10hipError_tPvRmT2_T3_T4_T5_mT6_T7_P12ihipStream_tbENKUlT_T0_E_clISt17integral_constantIbLb0EES10_EEDaSV_SW_EUlSV_E_NS1_11comp_targetILNS1_3genE4ELNS1_11target_archE910ELNS1_3gpuE8ELNS1_3repE0EEENS1_30default_config_static_selectorELNS0_4arch9wavefront6targetE1EEEvT1_
    .private_segment_fixed_size: 0
    .sgpr_count:     6
    .sgpr_spill_count: 0
    .symbol:         _ZN7rocprim17ROCPRIM_400000_NS6detail17trampoline_kernelINS0_14default_configENS1_27scan_by_key_config_selectorIiiEEZZNS1_16scan_by_key_implILNS1_25lookback_scan_determinismE0ELb0ES3_N6thrust23THRUST_200600_302600_NS16reverse_iteratorIPKiEESD_NSA_IPiEEiN6hipcub16HIPCUB_304000_NS3MaxENSH_8EqualityEiEE10hipError_tPvRmT2_T3_T4_T5_mT6_T7_P12ihipStream_tbENKUlT_T0_E_clISt17integral_constantIbLb0EES10_EEDaSV_SW_EUlSV_E_NS1_11comp_targetILNS1_3genE4ELNS1_11target_archE910ELNS1_3gpuE8ELNS1_3repE0EEENS1_30default_config_static_selectorELNS0_4arch9wavefront6targetE1EEEvT1_.kd
    .uniform_work_group_size: 1
    .uses_dynamic_stack: false
    .vgpr_count:     0
    .vgpr_spill_count: 0
    .wavefront_size: 64
  - .agpr_count:     0
    .args:
      - .offset:         0
        .size:           112
        .value_kind:     by_value
    .group_segment_fixed_size: 0
    .kernarg_segment_align: 8
    .kernarg_segment_size: 112
    .language:       OpenCL C
    .language_version:
      - 2
      - 0
    .max_flat_workgroup_size: 256
    .name:           _ZN7rocprim17ROCPRIM_400000_NS6detail17trampoline_kernelINS0_14default_configENS1_27scan_by_key_config_selectorIiiEEZZNS1_16scan_by_key_implILNS1_25lookback_scan_determinismE0ELb0ES3_N6thrust23THRUST_200600_302600_NS16reverse_iteratorIPKiEESD_NSA_IPiEEiN6hipcub16HIPCUB_304000_NS3MaxENSH_8EqualityEiEE10hipError_tPvRmT2_T3_T4_T5_mT6_T7_P12ihipStream_tbENKUlT_T0_E_clISt17integral_constantIbLb0EES10_EEDaSV_SW_EUlSV_E_NS1_11comp_targetILNS1_3genE3ELNS1_11target_archE908ELNS1_3gpuE7ELNS1_3repE0EEENS1_30default_config_static_selectorELNS0_4arch9wavefront6targetE1EEEvT1_
    .private_segment_fixed_size: 0
    .sgpr_count:     6
    .sgpr_spill_count: 0
    .symbol:         _ZN7rocprim17ROCPRIM_400000_NS6detail17trampoline_kernelINS0_14default_configENS1_27scan_by_key_config_selectorIiiEEZZNS1_16scan_by_key_implILNS1_25lookback_scan_determinismE0ELb0ES3_N6thrust23THRUST_200600_302600_NS16reverse_iteratorIPKiEESD_NSA_IPiEEiN6hipcub16HIPCUB_304000_NS3MaxENSH_8EqualityEiEE10hipError_tPvRmT2_T3_T4_T5_mT6_T7_P12ihipStream_tbENKUlT_T0_E_clISt17integral_constantIbLb0EES10_EEDaSV_SW_EUlSV_E_NS1_11comp_targetILNS1_3genE3ELNS1_11target_archE908ELNS1_3gpuE7ELNS1_3repE0EEENS1_30default_config_static_selectorELNS0_4arch9wavefront6targetE1EEEvT1_.kd
    .uniform_work_group_size: 1
    .uses_dynamic_stack: false
    .vgpr_count:     0
    .vgpr_spill_count: 0
    .wavefront_size: 64
  - .agpr_count:     0
    .args:
      - .offset:         0
        .size:           112
        .value_kind:     by_value
    .group_segment_fixed_size: 0
    .kernarg_segment_align: 8
    .kernarg_segment_size: 112
    .language:       OpenCL C
    .language_version:
      - 2
      - 0
    .max_flat_workgroup_size: 256
    .name:           _ZN7rocprim17ROCPRIM_400000_NS6detail17trampoline_kernelINS0_14default_configENS1_27scan_by_key_config_selectorIiiEEZZNS1_16scan_by_key_implILNS1_25lookback_scan_determinismE0ELb0ES3_N6thrust23THRUST_200600_302600_NS16reverse_iteratorIPKiEESD_NSA_IPiEEiN6hipcub16HIPCUB_304000_NS3MaxENSH_8EqualityEiEE10hipError_tPvRmT2_T3_T4_T5_mT6_T7_P12ihipStream_tbENKUlT_T0_E_clISt17integral_constantIbLb0EES10_EEDaSV_SW_EUlSV_E_NS1_11comp_targetILNS1_3genE2ELNS1_11target_archE906ELNS1_3gpuE6ELNS1_3repE0EEENS1_30default_config_static_selectorELNS0_4arch9wavefront6targetE1EEEvT1_
    .private_segment_fixed_size: 0
    .sgpr_count:     6
    .sgpr_spill_count: 0
    .symbol:         _ZN7rocprim17ROCPRIM_400000_NS6detail17trampoline_kernelINS0_14default_configENS1_27scan_by_key_config_selectorIiiEEZZNS1_16scan_by_key_implILNS1_25lookback_scan_determinismE0ELb0ES3_N6thrust23THRUST_200600_302600_NS16reverse_iteratorIPKiEESD_NSA_IPiEEiN6hipcub16HIPCUB_304000_NS3MaxENSH_8EqualityEiEE10hipError_tPvRmT2_T3_T4_T5_mT6_T7_P12ihipStream_tbENKUlT_T0_E_clISt17integral_constantIbLb0EES10_EEDaSV_SW_EUlSV_E_NS1_11comp_targetILNS1_3genE2ELNS1_11target_archE906ELNS1_3gpuE6ELNS1_3repE0EEENS1_30default_config_static_selectorELNS0_4arch9wavefront6targetE1EEEvT1_.kd
    .uniform_work_group_size: 1
    .uses_dynamic_stack: false
    .vgpr_count:     0
    .vgpr_spill_count: 0
    .wavefront_size: 64
  - .agpr_count:     0
    .args:
      - .offset:         0
        .size:           112
        .value_kind:     by_value
    .group_segment_fixed_size: 0
    .kernarg_segment_align: 8
    .kernarg_segment_size: 112
    .language:       OpenCL C
    .language_version:
      - 2
      - 0
    .max_flat_workgroup_size: 256
    .name:           _ZN7rocprim17ROCPRIM_400000_NS6detail17trampoline_kernelINS0_14default_configENS1_27scan_by_key_config_selectorIiiEEZZNS1_16scan_by_key_implILNS1_25lookback_scan_determinismE0ELb0ES3_N6thrust23THRUST_200600_302600_NS16reverse_iteratorIPKiEESD_NSA_IPiEEiN6hipcub16HIPCUB_304000_NS3MaxENSH_8EqualityEiEE10hipError_tPvRmT2_T3_T4_T5_mT6_T7_P12ihipStream_tbENKUlT_T0_E_clISt17integral_constantIbLb0EES10_EEDaSV_SW_EUlSV_E_NS1_11comp_targetILNS1_3genE10ELNS1_11target_archE1200ELNS1_3gpuE4ELNS1_3repE0EEENS1_30default_config_static_selectorELNS0_4arch9wavefront6targetE1EEEvT1_
    .private_segment_fixed_size: 0
    .sgpr_count:     6
    .sgpr_spill_count: 0
    .symbol:         _ZN7rocprim17ROCPRIM_400000_NS6detail17trampoline_kernelINS0_14default_configENS1_27scan_by_key_config_selectorIiiEEZZNS1_16scan_by_key_implILNS1_25lookback_scan_determinismE0ELb0ES3_N6thrust23THRUST_200600_302600_NS16reverse_iteratorIPKiEESD_NSA_IPiEEiN6hipcub16HIPCUB_304000_NS3MaxENSH_8EqualityEiEE10hipError_tPvRmT2_T3_T4_T5_mT6_T7_P12ihipStream_tbENKUlT_T0_E_clISt17integral_constantIbLb0EES10_EEDaSV_SW_EUlSV_E_NS1_11comp_targetILNS1_3genE10ELNS1_11target_archE1200ELNS1_3gpuE4ELNS1_3repE0EEENS1_30default_config_static_selectorELNS0_4arch9wavefront6targetE1EEEvT1_.kd
    .uniform_work_group_size: 1
    .uses_dynamic_stack: false
    .vgpr_count:     0
    .vgpr_spill_count: 0
    .wavefront_size: 64
  - .agpr_count:     0
    .args:
      - .offset:         0
        .size:           112
        .value_kind:     by_value
    .group_segment_fixed_size: 0
    .kernarg_segment_align: 8
    .kernarg_segment_size: 112
    .language:       OpenCL C
    .language_version:
      - 2
      - 0
    .max_flat_workgroup_size: 256
    .name:           _ZN7rocprim17ROCPRIM_400000_NS6detail17trampoline_kernelINS0_14default_configENS1_27scan_by_key_config_selectorIiiEEZZNS1_16scan_by_key_implILNS1_25lookback_scan_determinismE0ELb0ES3_N6thrust23THRUST_200600_302600_NS16reverse_iteratorIPKiEESD_NSA_IPiEEiN6hipcub16HIPCUB_304000_NS3MaxENSH_8EqualityEiEE10hipError_tPvRmT2_T3_T4_T5_mT6_T7_P12ihipStream_tbENKUlT_T0_E_clISt17integral_constantIbLb0EES10_EEDaSV_SW_EUlSV_E_NS1_11comp_targetILNS1_3genE9ELNS1_11target_archE1100ELNS1_3gpuE3ELNS1_3repE0EEENS1_30default_config_static_selectorELNS0_4arch9wavefront6targetE1EEEvT1_
    .private_segment_fixed_size: 0
    .sgpr_count:     6
    .sgpr_spill_count: 0
    .symbol:         _ZN7rocprim17ROCPRIM_400000_NS6detail17trampoline_kernelINS0_14default_configENS1_27scan_by_key_config_selectorIiiEEZZNS1_16scan_by_key_implILNS1_25lookback_scan_determinismE0ELb0ES3_N6thrust23THRUST_200600_302600_NS16reverse_iteratorIPKiEESD_NSA_IPiEEiN6hipcub16HIPCUB_304000_NS3MaxENSH_8EqualityEiEE10hipError_tPvRmT2_T3_T4_T5_mT6_T7_P12ihipStream_tbENKUlT_T0_E_clISt17integral_constantIbLb0EES10_EEDaSV_SW_EUlSV_E_NS1_11comp_targetILNS1_3genE9ELNS1_11target_archE1100ELNS1_3gpuE3ELNS1_3repE0EEENS1_30default_config_static_selectorELNS0_4arch9wavefront6targetE1EEEvT1_.kd
    .uniform_work_group_size: 1
    .uses_dynamic_stack: false
    .vgpr_count:     0
    .vgpr_spill_count: 0
    .wavefront_size: 64
  - .agpr_count:     0
    .args:
      - .offset:         0
        .size:           112
        .value_kind:     by_value
    .group_segment_fixed_size: 0
    .kernarg_segment_align: 8
    .kernarg_segment_size: 112
    .language:       OpenCL C
    .language_version:
      - 2
      - 0
    .max_flat_workgroup_size: 256
    .name:           _ZN7rocprim17ROCPRIM_400000_NS6detail17trampoline_kernelINS0_14default_configENS1_27scan_by_key_config_selectorIiiEEZZNS1_16scan_by_key_implILNS1_25lookback_scan_determinismE0ELb0ES3_N6thrust23THRUST_200600_302600_NS16reverse_iteratorIPKiEESD_NSA_IPiEEiN6hipcub16HIPCUB_304000_NS3MaxENSH_8EqualityEiEE10hipError_tPvRmT2_T3_T4_T5_mT6_T7_P12ihipStream_tbENKUlT_T0_E_clISt17integral_constantIbLb0EES10_EEDaSV_SW_EUlSV_E_NS1_11comp_targetILNS1_3genE8ELNS1_11target_archE1030ELNS1_3gpuE2ELNS1_3repE0EEENS1_30default_config_static_selectorELNS0_4arch9wavefront6targetE1EEEvT1_
    .private_segment_fixed_size: 0
    .sgpr_count:     6
    .sgpr_spill_count: 0
    .symbol:         _ZN7rocprim17ROCPRIM_400000_NS6detail17trampoline_kernelINS0_14default_configENS1_27scan_by_key_config_selectorIiiEEZZNS1_16scan_by_key_implILNS1_25lookback_scan_determinismE0ELb0ES3_N6thrust23THRUST_200600_302600_NS16reverse_iteratorIPKiEESD_NSA_IPiEEiN6hipcub16HIPCUB_304000_NS3MaxENSH_8EqualityEiEE10hipError_tPvRmT2_T3_T4_T5_mT6_T7_P12ihipStream_tbENKUlT_T0_E_clISt17integral_constantIbLb0EES10_EEDaSV_SW_EUlSV_E_NS1_11comp_targetILNS1_3genE8ELNS1_11target_archE1030ELNS1_3gpuE2ELNS1_3repE0EEENS1_30default_config_static_selectorELNS0_4arch9wavefront6targetE1EEEvT1_.kd
    .uniform_work_group_size: 1
    .uses_dynamic_stack: false
    .vgpr_count:     0
    .vgpr_spill_count: 0
    .wavefront_size: 64
  - .agpr_count:     0
    .args:
      - .address_space:  global
        .offset:         0
        .size:           8
        .value_kind:     global_buffer
      - .offset:         8
        .size:           4
        .value_kind:     by_value
      - .offset:         12
        .size:           4
        .value_kind:     by_value
      - .address_space:  global
        .offset:         16
        .size:           8
        .value_kind:     global_buffer
      - .address_space:  global
        .offset:         24
        .size:           8
        .value_kind:     global_buffer
      - .actual_access:  write_only
        .address_space:  global
        .offset:         32
        .size:           8
        .value_kind:     global_buffer
      - .offset:         40
        .size:           8
        .value_kind:     by_value
      - .offset:         48
        .size:           4
        .value_kind:     by_value
      - .address_space:  global
        .offset:         56
        .size:           8
        .value_kind:     global_buffer
      - .offset:         64
        .size:           4
        .value_kind:     hidden_block_count_x
      - .offset:         68
        .size:           4
        .value_kind:     hidden_block_count_y
      - .offset:         72
        .size:           4
        .value_kind:     hidden_block_count_z
      - .offset:         76
        .size:           2
        .value_kind:     hidden_group_size_x
      - .offset:         78
        .size:           2
        .value_kind:     hidden_group_size_y
      - .offset:         80
        .size:           2
        .value_kind:     hidden_group_size_z
      - .offset:         82
        .size:           2
        .value_kind:     hidden_remainder_x
      - .offset:         84
        .size:           2
        .value_kind:     hidden_remainder_y
      - .offset:         86
        .size:           2
        .value_kind:     hidden_remainder_z
      - .offset:         104
        .size:           8
        .value_kind:     hidden_global_offset_x
      - .offset:         112
        .size:           8
        .value_kind:     hidden_global_offset_y
      - .offset:         120
        .size:           8
        .value_kind:     hidden_global_offset_z
      - .offset:         128
        .size:           2
        .value_kind:     hidden_grid_dims
    .group_segment_fixed_size: 0
    .kernarg_segment_align: 8
    .kernarg_segment_size: 320
    .language:       OpenCL C
    .language_version:
      - 2
      - 0
    .max_flat_workgroup_size: 256
    .name:           _ZN7rocprim17ROCPRIM_400000_NS6detail30init_device_scan_by_key_kernelINS1_19lookback_scan_stateINS0_5tupleIJibEEELb1ELb1EEEN6thrust23THRUST_200600_302600_NS16reverse_iteratorIPKiEEjNS1_16block_id_wrapperIjLb1EEEEEvT_jjPNSF_10value_typeET0_PNSt15iterator_traitsISI_E10value_typeEmT1_T2_
    .private_segment_fixed_size: 0
    .sgpr_count:     26
    .sgpr_spill_count: 0
    .symbol:         _ZN7rocprim17ROCPRIM_400000_NS6detail30init_device_scan_by_key_kernelINS1_19lookback_scan_stateINS0_5tupleIJibEEELb1ELb1EEEN6thrust23THRUST_200600_302600_NS16reverse_iteratorIPKiEEjNS1_16block_id_wrapperIjLb1EEEEEvT_jjPNSF_10value_typeET0_PNSt15iterator_traitsISI_E10value_typeEmT1_T2_.kd
    .uniform_work_group_size: 1
    .uses_dynamic_stack: false
    .vgpr_count:     10
    .vgpr_spill_count: 0
    .wavefront_size: 64
  - .agpr_count:     0
    .args:
      - .offset:         0
        .size:           112
        .value_kind:     by_value
    .group_segment_fixed_size: 0
    .kernarg_segment_align: 8
    .kernarg_segment_size: 112
    .language:       OpenCL C
    .language_version:
      - 2
      - 0
    .max_flat_workgroup_size: 256
    .name:           _ZN7rocprim17ROCPRIM_400000_NS6detail17trampoline_kernelINS0_14default_configENS1_27scan_by_key_config_selectorIiiEEZZNS1_16scan_by_key_implILNS1_25lookback_scan_determinismE0ELb0ES3_N6thrust23THRUST_200600_302600_NS16reverse_iteratorIPKiEESD_NSA_IPiEEiN6hipcub16HIPCUB_304000_NS3MaxENSH_8EqualityEiEE10hipError_tPvRmT2_T3_T4_T5_mT6_T7_P12ihipStream_tbENKUlT_T0_E_clISt17integral_constantIbLb1EES10_EEDaSV_SW_EUlSV_E_NS1_11comp_targetILNS1_3genE0ELNS1_11target_archE4294967295ELNS1_3gpuE0ELNS1_3repE0EEENS1_30default_config_static_selectorELNS0_4arch9wavefront6targetE1EEEvT1_
    .private_segment_fixed_size: 0
    .sgpr_count:     6
    .sgpr_spill_count: 0
    .symbol:         _ZN7rocprim17ROCPRIM_400000_NS6detail17trampoline_kernelINS0_14default_configENS1_27scan_by_key_config_selectorIiiEEZZNS1_16scan_by_key_implILNS1_25lookback_scan_determinismE0ELb0ES3_N6thrust23THRUST_200600_302600_NS16reverse_iteratorIPKiEESD_NSA_IPiEEiN6hipcub16HIPCUB_304000_NS3MaxENSH_8EqualityEiEE10hipError_tPvRmT2_T3_T4_T5_mT6_T7_P12ihipStream_tbENKUlT_T0_E_clISt17integral_constantIbLb1EES10_EEDaSV_SW_EUlSV_E_NS1_11comp_targetILNS1_3genE0ELNS1_11target_archE4294967295ELNS1_3gpuE0ELNS1_3repE0EEENS1_30default_config_static_selectorELNS0_4arch9wavefront6targetE1EEEvT1_.kd
    .uniform_work_group_size: 1
    .uses_dynamic_stack: false
    .vgpr_count:     0
    .vgpr_spill_count: 0
    .wavefront_size: 64
  - .agpr_count:     0
    .args:
      - .offset:         0
        .size:           112
        .value_kind:     by_value
    .group_segment_fixed_size: 0
    .kernarg_segment_align: 8
    .kernarg_segment_size: 112
    .language:       OpenCL C
    .language_version:
      - 2
      - 0
    .max_flat_workgroup_size: 256
    .name:           _ZN7rocprim17ROCPRIM_400000_NS6detail17trampoline_kernelINS0_14default_configENS1_27scan_by_key_config_selectorIiiEEZZNS1_16scan_by_key_implILNS1_25lookback_scan_determinismE0ELb0ES3_N6thrust23THRUST_200600_302600_NS16reverse_iteratorIPKiEESD_NSA_IPiEEiN6hipcub16HIPCUB_304000_NS3MaxENSH_8EqualityEiEE10hipError_tPvRmT2_T3_T4_T5_mT6_T7_P12ihipStream_tbENKUlT_T0_E_clISt17integral_constantIbLb1EES10_EEDaSV_SW_EUlSV_E_NS1_11comp_targetILNS1_3genE10ELNS1_11target_archE1201ELNS1_3gpuE5ELNS1_3repE0EEENS1_30default_config_static_selectorELNS0_4arch9wavefront6targetE1EEEvT1_
    .private_segment_fixed_size: 0
    .sgpr_count:     6
    .sgpr_spill_count: 0
    .symbol:         _ZN7rocprim17ROCPRIM_400000_NS6detail17trampoline_kernelINS0_14default_configENS1_27scan_by_key_config_selectorIiiEEZZNS1_16scan_by_key_implILNS1_25lookback_scan_determinismE0ELb0ES3_N6thrust23THRUST_200600_302600_NS16reverse_iteratorIPKiEESD_NSA_IPiEEiN6hipcub16HIPCUB_304000_NS3MaxENSH_8EqualityEiEE10hipError_tPvRmT2_T3_T4_T5_mT6_T7_P12ihipStream_tbENKUlT_T0_E_clISt17integral_constantIbLb1EES10_EEDaSV_SW_EUlSV_E_NS1_11comp_targetILNS1_3genE10ELNS1_11target_archE1201ELNS1_3gpuE5ELNS1_3repE0EEENS1_30default_config_static_selectorELNS0_4arch9wavefront6targetE1EEEvT1_.kd
    .uniform_work_group_size: 1
    .uses_dynamic_stack: false
    .vgpr_count:     0
    .vgpr_spill_count: 0
    .wavefront_size: 64
  - .agpr_count:     0
    .args:
      - .offset:         0
        .size:           112
        .value_kind:     by_value
    .group_segment_fixed_size: 0
    .kernarg_segment_align: 8
    .kernarg_segment_size: 112
    .language:       OpenCL C
    .language_version:
      - 2
      - 0
    .max_flat_workgroup_size: 256
    .name:           _ZN7rocprim17ROCPRIM_400000_NS6detail17trampoline_kernelINS0_14default_configENS1_27scan_by_key_config_selectorIiiEEZZNS1_16scan_by_key_implILNS1_25lookback_scan_determinismE0ELb0ES3_N6thrust23THRUST_200600_302600_NS16reverse_iteratorIPKiEESD_NSA_IPiEEiN6hipcub16HIPCUB_304000_NS3MaxENSH_8EqualityEiEE10hipError_tPvRmT2_T3_T4_T5_mT6_T7_P12ihipStream_tbENKUlT_T0_E_clISt17integral_constantIbLb1EES10_EEDaSV_SW_EUlSV_E_NS1_11comp_targetILNS1_3genE5ELNS1_11target_archE942ELNS1_3gpuE9ELNS1_3repE0EEENS1_30default_config_static_selectorELNS0_4arch9wavefront6targetE1EEEvT1_
    .private_segment_fixed_size: 0
    .sgpr_count:     6
    .sgpr_spill_count: 0
    .symbol:         _ZN7rocprim17ROCPRIM_400000_NS6detail17trampoline_kernelINS0_14default_configENS1_27scan_by_key_config_selectorIiiEEZZNS1_16scan_by_key_implILNS1_25lookback_scan_determinismE0ELb0ES3_N6thrust23THRUST_200600_302600_NS16reverse_iteratorIPKiEESD_NSA_IPiEEiN6hipcub16HIPCUB_304000_NS3MaxENSH_8EqualityEiEE10hipError_tPvRmT2_T3_T4_T5_mT6_T7_P12ihipStream_tbENKUlT_T0_E_clISt17integral_constantIbLb1EES10_EEDaSV_SW_EUlSV_E_NS1_11comp_targetILNS1_3genE5ELNS1_11target_archE942ELNS1_3gpuE9ELNS1_3repE0EEENS1_30default_config_static_selectorELNS0_4arch9wavefront6targetE1EEEvT1_.kd
    .uniform_work_group_size: 1
    .uses_dynamic_stack: false
    .vgpr_count:     0
    .vgpr_spill_count: 0
    .wavefront_size: 64
  - .agpr_count:     0
    .args:
      - .offset:         0
        .size:           112
        .value_kind:     by_value
    .group_segment_fixed_size: 0
    .kernarg_segment_align: 8
    .kernarg_segment_size: 112
    .language:       OpenCL C
    .language_version:
      - 2
      - 0
    .max_flat_workgroup_size: 256
    .name:           _ZN7rocprim17ROCPRIM_400000_NS6detail17trampoline_kernelINS0_14default_configENS1_27scan_by_key_config_selectorIiiEEZZNS1_16scan_by_key_implILNS1_25lookback_scan_determinismE0ELb0ES3_N6thrust23THRUST_200600_302600_NS16reverse_iteratorIPKiEESD_NSA_IPiEEiN6hipcub16HIPCUB_304000_NS3MaxENSH_8EqualityEiEE10hipError_tPvRmT2_T3_T4_T5_mT6_T7_P12ihipStream_tbENKUlT_T0_E_clISt17integral_constantIbLb1EES10_EEDaSV_SW_EUlSV_E_NS1_11comp_targetILNS1_3genE4ELNS1_11target_archE910ELNS1_3gpuE8ELNS1_3repE0EEENS1_30default_config_static_selectorELNS0_4arch9wavefront6targetE1EEEvT1_
    .private_segment_fixed_size: 0
    .sgpr_count:     6
    .sgpr_spill_count: 0
    .symbol:         _ZN7rocprim17ROCPRIM_400000_NS6detail17trampoline_kernelINS0_14default_configENS1_27scan_by_key_config_selectorIiiEEZZNS1_16scan_by_key_implILNS1_25lookback_scan_determinismE0ELb0ES3_N6thrust23THRUST_200600_302600_NS16reverse_iteratorIPKiEESD_NSA_IPiEEiN6hipcub16HIPCUB_304000_NS3MaxENSH_8EqualityEiEE10hipError_tPvRmT2_T3_T4_T5_mT6_T7_P12ihipStream_tbENKUlT_T0_E_clISt17integral_constantIbLb1EES10_EEDaSV_SW_EUlSV_E_NS1_11comp_targetILNS1_3genE4ELNS1_11target_archE910ELNS1_3gpuE8ELNS1_3repE0EEENS1_30default_config_static_selectorELNS0_4arch9wavefront6targetE1EEEvT1_.kd
    .uniform_work_group_size: 1
    .uses_dynamic_stack: false
    .vgpr_count:     0
    .vgpr_spill_count: 0
    .wavefront_size: 64
  - .agpr_count:     0
    .args:
      - .offset:         0
        .size:           112
        .value_kind:     by_value
    .group_segment_fixed_size: 0
    .kernarg_segment_align: 8
    .kernarg_segment_size: 112
    .language:       OpenCL C
    .language_version:
      - 2
      - 0
    .max_flat_workgroup_size: 256
    .name:           _ZN7rocprim17ROCPRIM_400000_NS6detail17trampoline_kernelINS0_14default_configENS1_27scan_by_key_config_selectorIiiEEZZNS1_16scan_by_key_implILNS1_25lookback_scan_determinismE0ELb0ES3_N6thrust23THRUST_200600_302600_NS16reverse_iteratorIPKiEESD_NSA_IPiEEiN6hipcub16HIPCUB_304000_NS3MaxENSH_8EqualityEiEE10hipError_tPvRmT2_T3_T4_T5_mT6_T7_P12ihipStream_tbENKUlT_T0_E_clISt17integral_constantIbLb1EES10_EEDaSV_SW_EUlSV_E_NS1_11comp_targetILNS1_3genE3ELNS1_11target_archE908ELNS1_3gpuE7ELNS1_3repE0EEENS1_30default_config_static_selectorELNS0_4arch9wavefront6targetE1EEEvT1_
    .private_segment_fixed_size: 0
    .sgpr_count:     6
    .sgpr_spill_count: 0
    .symbol:         _ZN7rocprim17ROCPRIM_400000_NS6detail17trampoline_kernelINS0_14default_configENS1_27scan_by_key_config_selectorIiiEEZZNS1_16scan_by_key_implILNS1_25lookback_scan_determinismE0ELb0ES3_N6thrust23THRUST_200600_302600_NS16reverse_iteratorIPKiEESD_NSA_IPiEEiN6hipcub16HIPCUB_304000_NS3MaxENSH_8EqualityEiEE10hipError_tPvRmT2_T3_T4_T5_mT6_T7_P12ihipStream_tbENKUlT_T0_E_clISt17integral_constantIbLb1EES10_EEDaSV_SW_EUlSV_E_NS1_11comp_targetILNS1_3genE3ELNS1_11target_archE908ELNS1_3gpuE7ELNS1_3repE0EEENS1_30default_config_static_selectorELNS0_4arch9wavefront6targetE1EEEvT1_.kd
    .uniform_work_group_size: 1
    .uses_dynamic_stack: false
    .vgpr_count:     0
    .vgpr_spill_count: 0
    .wavefront_size: 64
  - .agpr_count:     0
    .args:
      - .offset:         0
        .size:           112
        .value_kind:     by_value
    .group_segment_fixed_size: 0
    .kernarg_segment_align: 8
    .kernarg_segment_size: 112
    .language:       OpenCL C
    .language_version:
      - 2
      - 0
    .max_flat_workgroup_size: 256
    .name:           _ZN7rocprim17ROCPRIM_400000_NS6detail17trampoline_kernelINS0_14default_configENS1_27scan_by_key_config_selectorIiiEEZZNS1_16scan_by_key_implILNS1_25lookback_scan_determinismE0ELb0ES3_N6thrust23THRUST_200600_302600_NS16reverse_iteratorIPKiEESD_NSA_IPiEEiN6hipcub16HIPCUB_304000_NS3MaxENSH_8EqualityEiEE10hipError_tPvRmT2_T3_T4_T5_mT6_T7_P12ihipStream_tbENKUlT_T0_E_clISt17integral_constantIbLb1EES10_EEDaSV_SW_EUlSV_E_NS1_11comp_targetILNS1_3genE2ELNS1_11target_archE906ELNS1_3gpuE6ELNS1_3repE0EEENS1_30default_config_static_selectorELNS0_4arch9wavefront6targetE1EEEvT1_
    .private_segment_fixed_size: 0
    .sgpr_count:     6
    .sgpr_spill_count: 0
    .symbol:         _ZN7rocprim17ROCPRIM_400000_NS6detail17trampoline_kernelINS0_14default_configENS1_27scan_by_key_config_selectorIiiEEZZNS1_16scan_by_key_implILNS1_25lookback_scan_determinismE0ELb0ES3_N6thrust23THRUST_200600_302600_NS16reverse_iteratorIPKiEESD_NSA_IPiEEiN6hipcub16HIPCUB_304000_NS3MaxENSH_8EqualityEiEE10hipError_tPvRmT2_T3_T4_T5_mT6_T7_P12ihipStream_tbENKUlT_T0_E_clISt17integral_constantIbLb1EES10_EEDaSV_SW_EUlSV_E_NS1_11comp_targetILNS1_3genE2ELNS1_11target_archE906ELNS1_3gpuE6ELNS1_3repE0EEENS1_30default_config_static_selectorELNS0_4arch9wavefront6targetE1EEEvT1_.kd
    .uniform_work_group_size: 1
    .uses_dynamic_stack: false
    .vgpr_count:     0
    .vgpr_spill_count: 0
    .wavefront_size: 64
  - .agpr_count:     0
    .args:
      - .offset:         0
        .size:           112
        .value_kind:     by_value
    .group_segment_fixed_size: 0
    .kernarg_segment_align: 8
    .kernarg_segment_size: 112
    .language:       OpenCL C
    .language_version:
      - 2
      - 0
    .max_flat_workgroup_size: 256
    .name:           _ZN7rocprim17ROCPRIM_400000_NS6detail17trampoline_kernelINS0_14default_configENS1_27scan_by_key_config_selectorIiiEEZZNS1_16scan_by_key_implILNS1_25lookback_scan_determinismE0ELb0ES3_N6thrust23THRUST_200600_302600_NS16reverse_iteratorIPKiEESD_NSA_IPiEEiN6hipcub16HIPCUB_304000_NS3MaxENSH_8EqualityEiEE10hipError_tPvRmT2_T3_T4_T5_mT6_T7_P12ihipStream_tbENKUlT_T0_E_clISt17integral_constantIbLb1EES10_EEDaSV_SW_EUlSV_E_NS1_11comp_targetILNS1_3genE10ELNS1_11target_archE1200ELNS1_3gpuE4ELNS1_3repE0EEENS1_30default_config_static_selectorELNS0_4arch9wavefront6targetE1EEEvT1_
    .private_segment_fixed_size: 0
    .sgpr_count:     6
    .sgpr_spill_count: 0
    .symbol:         _ZN7rocprim17ROCPRIM_400000_NS6detail17trampoline_kernelINS0_14default_configENS1_27scan_by_key_config_selectorIiiEEZZNS1_16scan_by_key_implILNS1_25lookback_scan_determinismE0ELb0ES3_N6thrust23THRUST_200600_302600_NS16reverse_iteratorIPKiEESD_NSA_IPiEEiN6hipcub16HIPCUB_304000_NS3MaxENSH_8EqualityEiEE10hipError_tPvRmT2_T3_T4_T5_mT6_T7_P12ihipStream_tbENKUlT_T0_E_clISt17integral_constantIbLb1EES10_EEDaSV_SW_EUlSV_E_NS1_11comp_targetILNS1_3genE10ELNS1_11target_archE1200ELNS1_3gpuE4ELNS1_3repE0EEENS1_30default_config_static_selectorELNS0_4arch9wavefront6targetE1EEEvT1_.kd
    .uniform_work_group_size: 1
    .uses_dynamic_stack: false
    .vgpr_count:     0
    .vgpr_spill_count: 0
    .wavefront_size: 64
  - .agpr_count:     0
    .args:
      - .offset:         0
        .size:           112
        .value_kind:     by_value
    .group_segment_fixed_size: 0
    .kernarg_segment_align: 8
    .kernarg_segment_size: 112
    .language:       OpenCL C
    .language_version:
      - 2
      - 0
    .max_flat_workgroup_size: 256
    .name:           _ZN7rocprim17ROCPRIM_400000_NS6detail17trampoline_kernelINS0_14default_configENS1_27scan_by_key_config_selectorIiiEEZZNS1_16scan_by_key_implILNS1_25lookback_scan_determinismE0ELb0ES3_N6thrust23THRUST_200600_302600_NS16reverse_iteratorIPKiEESD_NSA_IPiEEiN6hipcub16HIPCUB_304000_NS3MaxENSH_8EqualityEiEE10hipError_tPvRmT2_T3_T4_T5_mT6_T7_P12ihipStream_tbENKUlT_T0_E_clISt17integral_constantIbLb1EES10_EEDaSV_SW_EUlSV_E_NS1_11comp_targetILNS1_3genE9ELNS1_11target_archE1100ELNS1_3gpuE3ELNS1_3repE0EEENS1_30default_config_static_selectorELNS0_4arch9wavefront6targetE1EEEvT1_
    .private_segment_fixed_size: 0
    .sgpr_count:     6
    .sgpr_spill_count: 0
    .symbol:         _ZN7rocprim17ROCPRIM_400000_NS6detail17trampoline_kernelINS0_14default_configENS1_27scan_by_key_config_selectorIiiEEZZNS1_16scan_by_key_implILNS1_25lookback_scan_determinismE0ELb0ES3_N6thrust23THRUST_200600_302600_NS16reverse_iteratorIPKiEESD_NSA_IPiEEiN6hipcub16HIPCUB_304000_NS3MaxENSH_8EqualityEiEE10hipError_tPvRmT2_T3_T4_T5_mT6_T7_P12ihipStream_tbENKUlT_T0_E_clISt17integral_constantIbLb1EES10_EEDaSV_SW_EUlSV_E_NS1_11comp_targetILNS1_3genE9ELNS1_11target_archE1100ELNS1_3gpuE3ELNS1_3repE0EEENS1_30default_config_static_selectorELNS0_4arch9wavefront6targetE1EEEvT1_.kd
    .uniform_work_group_size: 1
    .uses_dynamic_stack: false
    .vgpr_count:     0
    .vgpr_spill_count: 0
    .wavefront_size: 64
  - .agpr_count:     0
    .args:
      - .offset:         0
        .size:           112
        .value_kind:     by_value
    .group_segment_fixed_size: 0
    .kernarg_segment_align: 8
    .kernarg_segment_size: 112
    .language:       OpenCL C
    .language_version:
      - 2
      - 0
    .max_flat_workgroup_size: 256
    .name:           _ZN7rocprim17ROCPRIM_400000_NS6detail17trampoline_kernelINS0_14default_configENS1_27scan_by_key_config_selectorIiiEEZZNS1_16scan_by_key_implILNS1_25lookback_scan_determinismE0ELb0ES3_N6thrust23THRUST_200600_302600_NS16reverse_iteratorIPKiEESD_NSA_IPiEEiN6hipcub16HIPCUB_304000_NS3MaxENSH_8EqualityEiEE10hipError_tPvRmT2_T3_T4_T5_mT6_T7_P12ihipStream_tbENKUlT_T0_E_clISt17integral_constantIbLb1EES10_EEDaSV_SW_EUlSV_E_NS1_11comp_targetILNS1_3genE8ELNS1_11target_archE1030ELNS1_3gpuE2ELNS1_3repE0EEENS1_30default_config_static_selectorELNS0_4arch9wavefront6targetE1EEEvT1_
    .private_segment_fixed_size: 0
    .sgpr_count:     6
    .sgpr_spill_count: 0
    .symbol:         _ZN7rocprim17ROCPRIM_400000_NS6detail17trampoline_kernelINS0_14default_configENS1_27scan_by_key_config_selectorIiiEEZZNS1_16scan_by_key_implILNS1_25lookback_scan_determinismE0ELb0ES3_N6thrust23THRUST_200600_302600_NS16reverse_iteratorIPKiEESD_NSA_IPiEEiN6hipcub16HIPCUB_304000_NS3MaxENSH_8EqualityEiEE10hipError_tPvRmT2_T3_T4_T5_mT6_T7_P12ihipStream_tbENKUlT_T0_E_clISt17integral_constantIbLb1EES10_EEDaSV_SW_EUlSV_E_NS1_11comp_targetILNS1_3genE8ELNS1_11target_archE1030ELNS1_3gpuE2ELNS1_3repE0EEENS1_30default_config_static_selectorELNS0_4arch9wavefront6targetE1EEEvT1_.kd
    .uniform_work_group_size: 1
    .uses_dynamic_stack: false
    .vgpr_count:     0
    .vgpr_spill_count: 0
    .wavefront_size: 64
  - .agpr_count:     0
    .args:
      - .address_space:  global
        .offset:         0
        .size:           8
        .value_kind:     global_buffer
      - .offset:         8
        .size:           4
        .value_kind:     by_value
      - .offset:         12
        .size:           4
        .value_kind:     by_value
      - .address_space:  global
        .offset:         16
        .size:           8
        .value_kind:     global_buffer
      - .address_space:  global
        .offset:         24
        .size:           8
        .value_kind:     global_buffer
      - .actual_access:  write_only
        .address_space:  global
        .offset:         32
        .size:           8
        .value_kind:     global_buffer
      - .offset:         40
        .size:           8
        .value_kind:     by_value
      - .offset:         48
        .size:           4
        .value_kind:     by_value
      - .offset:         52
        .size:           1
        .value_kind:     by_value
      - .offset:         56
        .size:           4
        .value_kind:     hidden_block_count_x
      - .offset:         60
        .size:           4
        .value_kind:     hidden_block_count_y
      - .offset:         64
        .size:           4
        .value_kind:     hidden_block_count_z
      - .offset:         68
        .size:           2
        .value_kind:     hidden_group_size_x
      - .offset:         70
        .size:           2
        .value_kind:     hidden_group_size_y
      - .offset:         72
        .size:           2
        .value_kind:     hidden_group_size_z
      - .offset:         74
        .size:           2
        .value_kind:     hidden_remainder_x
      - .offset:         76
        .size:           2
        .value_kind:     hidden_remainder_y
      - .offset:         78
        .size:           2
        .value_kind:     hidden_remainder_z
      - .offset:         96
        .size:           8
        .value_kind:     hidden_global_offset_x
      - .offset:         104
        .size:           8
        .value_kind:     hidden_global_offset_y
      - .offset:         112
        .size:           8
        .value_kind:     hidden_global_offset_z
      - .offset:         120
        .size:           2
        .value_kind:     hidden_grid_dims
    .group_segment_fixed_size: 0
    .kernarg_segment_align: 8
    .kernarg_segment_size: 312
    .language:       OpenCL C
    .language_version:
      - 2
      - 0
    .max_flat_workgroup_size: 256
    .name:           _ZN7rocprim17ROCPRIM_400000_NS6detail30init_device_scan_by_key_kernelINS1_19lookback_scan_stateINS0_5tupleIJibEEELb1ELb1EEEN6thrust23THRUST_200600_302600_NS16reverse_iteratorIPKiEEjNS1_16block_id_wrapperIjLb0EEEEEvT_jjPNSF_10value_typeET0_PNSt15iterator_traitsISI_E10value_typeEmT1_T2_
    .private_segment_fixed_size: 0
    .sgpr_count:     26
    .sgpr_spill_count: 0
    .symbol:         _ZN7rocprim17ROCPRIM_400000_NS6detail30init_device_scan_by_key_kernelINS1_19lookback_scan_stateINS0_5tupleIJibEEELb1ELb1EEEN6thrust23THRUST_200600_302600_NS16reverse_iteratorIPKiEEjNS1_16block_id_wrapperIjLb0EEEEEvT_jjPNSF_10value_typeET0_PNSt15iterator_traitsISI_E10value_typeEmT1_T2_.kd
    .uniform_work_group_size: 1
    .uses_dynamic_stack: false
    .vgpr_count:     10
    .vgpr_spill_count: 0
    .wavefront_size: 64
  - .agpr_count:     0
    .args:
      - .offset:         0
        .size:           112
        .value_kind:     by_value
    .group_segment_fixed_size: 0
    .kernarg_segment_align: 8
    .kernarg_segment_size: 112
    .language:       OpenCL C
    .language_version:
      - 2
      - 0
    .max_flat_workgroup_size: 256
    .name:           _ZN7rocprim17ROCPRIM_400000_NS6detail17trampoline_kernelINS0_14default_configENS1_27scan_by_key_config_selectorIiiEEZZNS1_16scan_by_key_implILNS1_25lookback_scan_determinismE0ELb0ES3_N6thrust23THRUST_200600_302600_NS16reverse_iteratorIPKiEESD_NSA_IPiEEiN6hipcub16HIPCUB_304000_NS3MaxENSH_8EqualityEiEE10hipError_tPvRmT2_T3_T4_T5_mT6_T7_P12ihipStream_tbENKUlT_T0_E_clISt17integral_constantIbLb1EESZ_IbLb0EEEEDaSV_SW_EUlSV_E_NS1_11comp_targetILNS1_3genE0ELNS1_11target_archE4294967295ELNS1_3gpuE0ELNS1_3repE0EEENS1_30default_config_static_selectorELNS0_4arch9wavefront6targetE1EEEvT1_
    .private_segment_fixed_size: 0
    .sgpr_count:     6
    .sgpr_spill_count: 0
    .symbol:         _ZN7rocprim17ROCPRIM_400000_NS6detail17trampoline_kernelINS0_14default_configENS1_27scan_by_key_config_selectorIiiEEZZNS1_16scan_by_key_implILNS1_25lookback_scan_determinismE0ELb0ES3_N6thrust23THRUST_200600_302600_NS16reverse_iteratorIPKiEESD_NSA_IPiEEiN6hipcub16HIPCUB_304000_NS3MaxENSH_8EqualityEiEE10hipError_tPvRmT2_T3_T4_T5_mT6_T7_P12ihipStream_tbENKUlT_T0_E_clISt17integral_constantIbLb1EESZ_IbLb0EEEEDaSV_SW_EUlSV_E_NS1_11comp_targetILNS1_3genE0ELNS1_11target_archE4294967295ELNS1_3gpuE0ELNS1_3repE0EEENS1_30default_config_static_selectorELNS0_4arch9wavefront6targetE1EEEvT1_.kd
    .uniform_work_group_size: 1
    .uses_dynamic_stack: false
    .vgpr_count:     0
    .vgpr_spill_count: 0
    .wavefront_size: 64
  - .agpr_count:     0
    .args:
      - .offset:         0
        .size:           112
        .value_kind:     by_value
    .group_segment_fixed_size: 0
    .kernarg_segment_align: 8
    .kernarg_segment_size: 112
    .language:       OpenCL C
    .language_version:
      - 2
      - 0
    .max_flat_workgroup_size: 256
    .name:           _ZN7rocprim17ROCPRIM_400000_NS6detail17trampoline_kernelINS0_14default_configENS1_27scan_by_key_config_selectorIiiEEZZNS1_16scan_by_key_implILNS1_25lookback_scan_determinismE0ELb0ES3_N6thrust23THRUST_200600_302600_NS16reverse_iteratorIPKiEESD_NSA_IPiEEiN6hipcub16HIPCUB_304000_NS3MaxENSH_8EqualityEiEE10hipError_tPvRmT2_T3_T4_T5_mT6_T7_P12ihipStream_tbENKUlT_T0_E_clISt17integral_constantIbLb1EESZ_IbLb0EEEEDaSV_SW_EUlSV_E_NS1_11comp_targetILNS1_3genE10ELNS1_11target_archE1201ELNS1_3gpuE5ELNS1_3repE0EEENS1_30default_config_static_selectorELNS0_4arch9wavefront6targetE1EEEvT1_
    .private_segment_fixed_size: 0
    .sgpr_count:     6
    .sgpr_spill_count: 0
    .symbol:         _ZN7rocprim17ROCPRIM_400000_NS6detail17trampoline_kernelINS0_14default_configENS1_27scan_by_key_config_selectorIiiEEZZNS1_16scan_by_key_implILNS1_25lookback_scan_determinismE0ELb0ES3_N6thrust23THRUST_200600_302600_NS16reverse_iteratorIPKiEESD_NSA_IPiEEiN6hipcub16HIPCUB_304000_NS3MaxENSH_8EqualityEiEE10hipError_tPvRmT2_T3_T4_T5_mT6_T7_P12ihipStream_tbENKUlT_T0_E_clISt17integral_constantIbLb1EESZ_IbLb0EEEEDaSV_SW_EUlSV_E_NS1_11comp_targetILNS1_3genE10ELNS1_11target_archE1201ELNS1_3gpuE5ELNS1_3repE0EEENS1_30default_config_static_selectorELNS0_4arch9wavefront6targetE1EEEvT1_.kd
    .uniform_work_group_size: 1
    .uses_dynamic_stack: false
    .vgpr_count:     0
    .vgpr_spill_count: 0
    .wavefront_size: 64
  - .agpr_count:     0
    .args:
      - .offset:         0
        .size:           112
        .value_kind:     by_value
    .group_segment_fixed_size: 0
    .kernarg_segment_align: 8
    .kernarg_segment_size: 112
    .language:       OpenCL C
    .language_version:
      - 2
      - 0
    .max_flat_workgroup_size: 256
    .name:           _ZN7rocprim17ROCPRIM_400000_NS6detail17trampoline_kernelINS0_14default_configENS1_27scan_by_key_config_selectorIiiEEZZNS1_16scan_by_key_implILNS1_25lookback_scan_determinismE0ELb0ES3_N6thrust23THRUST_200600_302600_NS16reverse_iteratorIPKiEESD_NSA_IPiEEiN6hipcub16HIPCUB_304000_NS3MaxENSH_8EqualityEiEE10hipError_tPvRmT2_T3_T4_T5_mT6_T7_P12ihipStream_tbENKUlT_T0_E_clISt17integral_constantIbLb1EESZ_IbLb0EEEEDaSV_SW_EUlSV_E_NS1_11comp_targetILNS1_3genE5ELNS1_11target_archE942ELNS1_3gpuE9ELNS1_3repE0EEENS1_30default_config_static_selectorELNS0_4arch9wavefront6targetE1EEEvT1_
    .private_segment_fixed_size: 0
    .sgpr_count:     6
    .sgpr_spill_count: 0
    .symbol:         _ZN7rocprim17ROCPRIM_400000_NS6detail17trampoline_kernelINS0_14default_configENS1_27scan_by_key_config_selectorIiiEEZZNS1_16scan_by_key_implILNS1_25lookback_scan_determinismE0ELb0ES3_N6thrust23THRUST_200600_302600_NS16reverse_iteratorIPKiEESD_NSA_IPiEEiN6hipcub16HIPCUB_304000_NS3MaxENSH_8EqualityEiEE10hipError_tPvRmT2_T3_T4_T5_mT6_T7_P12ihipStream_tbENKUlT_T0_E_clISt17integral_constantIbLb1EESZ_IbLb0EEEEDaSV_SW_EUlSV_E_NS1_11comp_targetILNS1_3genE5ELNS1_11target_archE942ELNS1_3gpuE9ELNS1_3repE0EEENS1_30default_config_static_selectorELNS0_4arch9wavefront6targetE1EEEvT1_.kd
    .uniform_work_group_size: 1
    .uses_dynamic_stack: false
    .vgpr_count:     0
    .vgpr_spill_count: 0
    .wavefront_size: 64
  - .agpr_count:     0
    .args:
      - .offset:         0
        .size:           112
        .value_kind:     by_value
    .group_segment_fixed_size: 0
    .kernarg_segment_align: 8
    .kernarg_segment_size: 112
    .language:       OpenCL C
    .language_version:
      - 2
      - 0
    .max_flat_workgroup_size: 256
    .name:           _ZN7rocprim17ROCPRIM_400000_NS6detail17trampoline_kernelINS0_14default_configENS1_27scan_by_key_config_selectorIiiEEZZNS1_16scan_by_key_implILNS1_25lookback_scan_determinismE0ELb0ES3_N6thrust23THRUST_200600_302600_NS16reverse_iteratorIPKiEESD_NSA_IPiEEiN6hipcub16HIPCUB_304000_NS3MaxENSH_8EqualityEiEE10hipError_tPvRmT2_T3_T4_T5_mT6_T7_P12ihipStream_tbENKUlT_T0_E_clISt17integral_constantIbLb1EESZ_IbLb0EEEEDaSV_SW_EUlSV_E_NS1_11comp_targetILNS1_3genE4ELNS1_11target_archE910ELNS1_3gpuE8ELNS1_3repE0EEENS1_30default_config_static_selectorELNS0_4arch9wavefront6targetE1EEEvT1_
    .private_segment_fixed_size: 0
    .sgpr_count:     6
    .sgpr_spill_count: 0
    .symbol:         _ZN7rocprim17ROCPRIM_400000_NS6detail17trampoline_kernelINS0_14default_configENS1_27scan_by_key_config_selectorIiiEEZZNS1_16scan_by_key_implILNS1_25lookback_scan_determinismE0ELb0ES3_N6thrust23THRUST_200600_302600_NS16reverse_iteratorIPKiEESD_NSA_IPiEEiN6hipcub16HIPCUB_304000_NS3MaxENSH_8EqualityEiEE10hipError_tPvRmT2_T3_T4_T5_mT6_T7_P12ihipStream_tbENKUlT_T0_E_clISt17integral_constantIbLb1EESZ_IbLb0EEEEDaSV_SW_EUlSV_E_NS1_11comp_targetILNS1_3genE4ELNS1_11target_archE910ELNS1_3gpuE8ELNS1_3repE0EEENS1_30default_config_static_selectorELNS0_4arch9wavefront6targetE1EEEvT1_.kd
    .uniform_work_group_size: 1
    .uses_dynamic_stack: false
    .vgpr_count:     0
    .vgpr_spill_count: 0
    .wavefront_size: 64
  - .agpr_count:     0
    .args:
      - .offset:         0
        .size:           112
        .value_kind:     by_value
    .group_segment_fixed_size: 0
    .kernarg_segment_align: 8
    .kernarg_segment_size: 112
    .language:       OpenCL C
    .language_version:
      - 2
      - 0
    .max_flat_workgroup_size: 256
    .name:           _ZN7rocprim17ROCPRIM_400000_NS6detail17trampoline_kernelINS0_14default_configENS1_27scan_by_key_config_selectorIiiEEZZNS1_16scan_by_key_implILNS1_25lookback_scan_determinismE0ELb0ES3_N6thrust23THRUST_200600_302600_NS16reverse_iteratorIPKiEESD_NSA_IPiEEiN6hipcub16HIPCUB_304000_NS3MaxENSH_8EqualityEiEE10hipError_tPvRmT2_T3_T4_T5_mT6_T7_P12ihipStream_tbENKUlT_T0_E_clISt17integral_constantIbLb1EESZ_IbLb0EEEEDaSV_SW_EUlSV_E_NS1_11comp_targetILNS1_3genE3ELNS1_11target_archE908ELNS1_3gpuE7ELNS1_3repE0EEENS1_30default_config_static_selectorELNS0_4arch9wavefront6targetE1EEEvT1_
    .private_segment_fixed_size: 0
    .sgpr_count:     6
    .sgpr_spill_count: 0
    .symbol:         _ZN7rocprim17ROCPRIM_400000_NS6detail17trampoline_kernelINS0_14default_configENS1_27scan_by_key_config_selectorIiiEEZZNS1_16scan_by_key_implILNS1_25lookback_scan_determinismE0ELb0ES3_N6thrust23THRUST_200600_302600_NS16reverse_iteratorIPKiEESD_NSA_IPiEEiN6hipcub16HIPCUB_304000_NS3MaxENSH_8EqualityEiEE10hipError_tPvRmT2_T3_T4_T5_mT6_T7_P12ihipStream_tbENKUlT_T0_E_clISt17integral_constantIbLb1EESZ_IbLb0EEEEDaSV_SW_EUlSV_E_NS1_11comp_targetILNS1_3genE3ELNS1_11target_archE908ELNS1_3gpuE7ELNS1_3repE0EEENS1_30default_config_static_selectorELNS0_4arch9wavefront6targetE1EEEvT1_.kd
    .uniform_work_group_size: 1
    .uses_dynamic_stack: false
    .vgpr_count:     0
    .vgpr_spill_count: 0
    .wavefront_size: 64
  - .agpr_count:     0
    .args:
      - .offset:         0
        .size:           112
        .value_kind:     by_value
    .group_segment_fixed_size: 0
    .kernarg_segment_align: 8
    .kernarg_segment_size: 112
    .language:       OpenCL C
    .language_version:
      - 2
      - 0
    .max_flat_workgroup_size: 256
    .name:           _ZN7rocprim17ROCPRIM_400000_NS6detail17trampoline_kernelINS0_14default_configENS1_27scan_by_key_config_selectorIiiEEZZNS1_16scan_by_key_implILNS1_25lookback_scan_determinismE0ELb0ES3_N6thrust23THRUST_200600_302600_NS16reverse_iteratorIPKiEESD_NSA_IPiEEiN6hipcub16HIPCUB_304000_NS3MaxENSH_8EqualityEiEE10hipError_tPvRmT2_T3_T4_T5_mT6_T7_P12ihipStream_tbENKUlT_T0_E_clISt17integral_constantIbLb1EESZ_IbLb0EEEEDaSV_SW_EUlSV_E_NS1_11comp_targetILNS1_3genE2ELNS1_11target_archE906ELNS1_3gpuE6ELNS1_3repE0EEENS1_30default_config_static_selectorELNS0_4arch9wavefront6targetE1EEEvT1_
    .private_segment_fixed_size: 0
    .sgpr_count:     6
    .sgpr_spill_count: 0
    .symbol:         _ZN7rocprim17ROCPRIM_400000_NS6detail17trampoline_kernelINS0_14default_configENS1_27scan_by_key_config_selectorIiiEEZZNS1_16scan_by_key_implILNS1_25lookback_scan_determinismE0ELb0ES3_N6thrust23THRUST_200600_302600_NS16reverse_iteratorIPKiEESD_NSA_IPiEEiN6hipcub16HIPCUB_304000_NS3MaxENSH_8EqualityEiEE10hipError_tPvRmT2_T3_T4_T5_mT6_T7_P12ihipStream_tbENKUlT_T0_E_clISt17integral_constantIbLb1EESZ_IbLb0EEEEDaSV_SW_EUlSV_E_NS1_11comp_targetILNS1_3genE2ELNS1_11target_archE906ELNS1_3gpuE6ELNS1_3repE0EEENS1_30default_config_static_selectorELNS0_4arch9wavefront6targetE1EEEvT1_.kd
    .uniform_work_group_size: 1
    .uses_dynamic_stack: false
    .vgpr_count:     0
    .vgpr_spill_count: 0
    .wavefront_size: 64
  - .agpr_count:     0
    .args:
      - .offset:         0
        .size:           112
        .value_kind:     by_value
    .group_segment_fixed_size: 0
    .kernarg_segment_align: 8
    .kernarg_segment_size: 112
    .language:       OpenCL C
    .language_version:
      - 2
      - 0
    .max_flat_workgroup_size: 256
    .name:           _ZN7rocprim17ROCPRIM_400000_NS6detail17trampoline_kernelINS0_14default_configENS1_27scan_by_key_config_selectorIiiEEZZNS1_16scan_by_key_implILNS1_25lookback_scan_determinismE0ELb0ES3_N6thrust23THRUST_200600_302600_NS16reverse_iteratorIPKiEESD_NSA_IPiEEiN6hipcub16HIPCUB_304000_NS3MaxENSH_8EqualityEiEE10hipError_tPvRmT2_T3_T4_T5_mT6_T7_P12ihipStream_tbENKUlT_T0_E_clISt17integral_constantIbLb1EESZ_IbLb0EEEEDaSV_SW_EUlSV_E_NS1_11comp_targetILNS1_3genE10ELNS1_11target_archE1200ELNS1_3gpuE4ELNS1_3repE0EEENS1_30default_config_static_selectorELNS0_4arch9wavefront6targetE1EEEvT1_
    .private_segment_fixed_size: 0
    .sgpr_count:     6
    .sgpr_spill_count: 0
    .symbol:         _ZN7rocprim17ROCPRIM_400000_NS6detail17trampoline_kernelINS0_14default_configENS1_27scan_by_key_config_selectorIiiEEZZNS1_16scan_by_key_implILNS1_25lookback_scan_determinismE0ELb0ES3_N6thrust23THRUST_200600_302600_NS16reverse_iteratorIPKiEESD_NSA_IPiEEiN6hipcub16HIPCUB_304000_NS3MaxENSH_8EqualityEiEE10hipError_tPvRmT2_T3_T4_T5_mT6_T7_P12ihipStream_tbENKUlT_T0_E_clISt17integral_constantIbLb1EESZ_IbLb0EEEEDaSV_SW_EUlSV_E_NS1_11comp_targetILNS1_3genE10ELNS1_11target_archE1200ELNS1_3gpuE4ELNS1_3repE0EEENS1_30default_config_static_selectorELNS0_4arch9wavefront6targetE1EEEvT1_.kd
    .uniform_work_group_size: 1
    .uses_dynamic_stack: false
    .vgpr_count:     0
    .vgpr_spill_count: 0
    .wavefront_size: 64
  - .agpr_count:     0
    .args:
      - .offset:         0
        .size:           112
        .value_kind:     by_value
    .group_segment_fixed_size: 0
    .kernarg_segment_align: 8
    .kernarg_segment_size: 112
    .language:       OpenCL C
    .language_version:
      - 2
      - 0
    .max_flat_workgroup_size: 256
    .name:           _ZN7rocprim17ROCPRIM_400000_NS6detail17trampoline_kernelINS0_14default_configENS1_27scan_by_key_config_selectorIiiEEZZNS1_16scan_by_key_implILNS1_25lookback_scan_determinismE0ELb0ES3_N6thrust23THRUST_200600_302600_NS16reverse_iteratorIPKiEESD_NSA_IPiEEiN6hipcub16HIPCUB_304000_NS3MaxENSH_8EqualityEiEE10hipError_tPvRmT2_T3_T4_T5_mT6_T7_P12ihipStream_tbENKUlT_T0_E_clISt17integral_constantIbLb1EESZ_IbLb0EEEEDaSV_SW_EUlSV_E_NS1_11comp_targetILNS1_3genE9ELNS1_11target_archE1100ELNS1_3gpuE3ELNS1_3repE0EEENS1_30default_config_static_selectorELNS0_4arch9wavefront6targetE1EEEvT1_
    .private_segment_fixed_size: 0
    .sgpr_count:     6
    .sgpr_spill_count: 0
    .symbol:         _ZN7rocprim17ROCPRIM_400000_NS6detail17trampoline_kernelINS0_14default_configENS1_27scan_by_key_config_selectorIiiEEZZNS1_16scan_by_key_implILNS1_25lookback_scan_determinismE0ELb0ES3_N6thrust23THRUST_200600_302600_NS16reverse_iteratorIPKiEESD_NSA_IPiEEiN6hipcub16HIPCUB_304000_NS3MaxENSH_8EqualityEiEE10hipError_tPvRmT2_T3_T4_T5_mT6_T7_P12ihipStream_tbENKUlT_T0_E_clISt17integral_constantIbLb1EESZ_IbLb0EEEEDaSV_SW_EUlSV_E_NS1_11comp_targetILNS1_3genE9ELNS1_11target_archE1100ELNS1_3gpuE3ELNS1_3repE0EEENS1_30default_config_static_selectorELNS0_4arch9wavefront6targetE1EEEvT1_.kd
    .uniform_work_group_size: 1
    .uses_dynamic_stack: false
    .vgpr_count:     0
    .vgpr_spill_count: 0
    .wavefront_size: 64
  - .agpr_count:     0
    .args:
      - .offset:         0
        .size:           112
        .value_kind:     by_value
    .group_segment_fixed_size: 0
    .kernarg_segment_align: 8
    .kernarg_segment_size: 112
    .language:       OpenCL C
    .language_version:
      - 2
      - 0
    .max_flat_workgroup_size: 256
    .name:           _ZN7rocprim17ROCPRIM_400000_NS6detail17trampoline_kernelINS0_14default_configENS1_27scan_by_key_config_selectorIiiEEZZNS1_16scan_by_key_implILNS1_25lookback_scan_determinismE0ELb0ES3_N6thrust23THRUST_200600_302600_NS16reverse_iteratorIPKiEESD_NSA_IPiEEiN6hipcub16HIPCUB_304000_NS3MaxENSH_8EqualityEiEE10hipError_tPvRmT2_T3_T4_T5_mT6_T7_P12ihipStream_tbENKUlT_T0_E_clISt17integral_constantIbLb1EESZ_IbLb0EEEEDaSV_SW_EUlSV_E_NS1_11comp_targetILNS1_3genE8ELNS1_11target_archE1030ELNS1_3gpuE2ELNS1_3repE0EEENS1_30default_config_static_selectorELNS0_4arch9wavefront6targetE1EEEvT1_
    .private_segment_fixed_size: 0
    .sgpr_count:     6
    .sgpr_spill_count: 0
    .symbol:         _ZN7rocprim17ROCPRIM_400000_NS6detail17trampoline_kernelINS0_14default_configENS1_27scan_by_key_config_selectorIiiEEZZNS1_16scan_by_key_implILNS1_25lookback_scan_determinismE0ELb0ES3_N6thrust23THRUST_200600_302600_NS16reverse_iteratorIPKiEESD_NSA_IPiEEiN6hipcub16HIPCUB_304000_NS3MaxENSH_8EqualityEiEE10hipError_tPvRmT2_T3_T4_T5_mT6_T7_P12ihipStream_tbENKUlT_T0_E_clISt17integral_constantIbLb1EESZ_IbLb0EEEEDaSV_SW_EUlSV_E_NS1_11comp_targetILNS1_3genE8ELNS1_11target_archE1030ELNS1_3gpuE2ELNS1_3repE0EEENS1_30default_config_static_selectorELNS0_4arch9wavefront6targetE1EEEvT1_.kd
    .uniform_work_group_size: 1
    .uses_dynamic_stack: false
    .vgpr_count:     0
    .vgpr_spill_count: 0
    .wavefront_size: 64
  - .agpr_count:     0
    .args:
      - .address_space:  global
        .offset:         0
        .size:           8
        .value_kind:     global_buffer
      - .offset:         8
        .size:           4
        .value_kind:     by_value
      - .offset:         12
        .size:           4
        .value_kind:     by_value
      - .address_space:  global
        .offset:         16
        .size:           8
        .value_kind:     global_buffer
      - .address_space:  global
        .offset:         24
        .size:           8
        .value_kind:     global_buffer
      - .actual_access:  write_only
        .address_space:  global
        .offset:         32
        .size:           8
        .value_kind:     global_buffer
      - .offset:         40
        .size:           8
        .value_kind:     by_value
      - .offset:         48
        .size:           4
        .value_kind:     by_value
      - .address_space:  global
        .offset:         56
        .size:           8
        .value_kind:     global_buffer
      - .offset:         64
        .size:           4
        .value_kind:     hidden_block_count_x
      - .offset:         68
        .size:           4
        .value_kind:     hidden_block_count_y
      - .offset:         72
        .size:           4
        .value_kind:     hidden_block_count_z
      - .offset:         76
        .size:           2
        .value_kind:     hidden_group_size_x
      - .offset:         78
        .size:           2
        .value_kind:     hidden_group_size_y
      - .offset:         80
        .size:           2
        .value_kind:     hidden_group_size_z
      - .offset:         82
        .size:           2
        .value_kind:     hidden_remainder_x
      - .offset:         84
        .size:           2
        .value_kind:     hidden_remainder_y
      - .offset:         86
        .size:           2
        .value_kind:     hidden_remainder_z
      - .offset:         104
        .size:           8
        .value_kind:     hidden_global_offset_x
      - .offset:         112
        .size:           8
        .value_kind:     hidden_global_offset_y
      - .offset:         120
        .size:           8
        .value_kind:     hidden_global_offset_z
      - .offset:         128
        .size:           2
        .value_kind:     hidden_grid_dims
    .group_segment_fixed_size: 0
    .kernarg_segment_align: 8
    .kernarg_segment_size: 320
    .language:       OpenCL C
    .language_version:
      - 2
      - 0
    .max_flat_workgroup_size: 256
    .name:           _ZN7rocprim17ROCPRIM_400000_NS6detail30init_device_scan_by_key_kernelINS1_19lookback_scan_stateINS0_5tupleIJibEEELb0ELb1EEEN6thrust23THRUST_200600_302600_NS16reverse_iteratorIPKiEEjNS1_16block_id_wrapperIjLb1EEEEEvT_jjPNSF_10value_typeET0_PNSt15iterator_traitsISI_E10value_typeEmT1_T2_
    .private_segment_fixed_size: 0
    .sgpr_count:     26
    .sgpr_spill_count: 0
    .symbol:         _ZN7rocprim17ROCPRIM_400000_NS6detail30init_device_scan_by_key_kernelINS1_19lookback_scan_stateINS0_5tupleIJibEEELb0ELb1EEEN6thrust23THRUST_200600_302600_NS16reverse_iteratorIPKiEEjNS1_16block_id_wrapperIjLb1EEEEEvT_jjPNSF_10value_typeET0_PNSt15iterator_traitsISI_E10value_typeEmT1_T2_.kd
    .uniform_work_group_size: 1
    .uses_dynamic_stack: false
    .vgpr_count:     10
    .vgpr_spill_count: 0
    .wavefront_size: 64
  - .agpr_count:     0
    .args:
      - .offset:         0
        .size:           112
        .value_kind:     by_value
    .group_segment_fixed_size: 14336
    .kernarg_segment_align: 8
    .kernarg_segment_size: 112
    .language:       OpenCL C
    .language_version:
      - 2
      - 0
    .max_flat_workgroup_size: 256
    .name:           _ZN7rocprim17ROCPRIM_400000_NS6detail17trampoline_kernelINS0_14default_configENS1_27scan_by_key_config_selectorIiiEEZZNS1_16scan_by_key_implILNS1_25lookback_scan_determinismE0ELb0ES3_N6thrust23THRUST_200600_302600_NS16reverse_iteratorIPKiEESD_NSA_IPiEEiN6hipcub16HIPCUB_304000_NS3MaxENSH_8EqualityEiEE10hipError_tPvRmT2_T3_T4_T5_mT6_T7_P12ihipStream_tbENKUlT_T0_E_clISt17integral_constantIbLb0EESZ_IbLb1EEEEDaSV_SW_EUlSV_E_NS1_11comp_targetILNS1_3genE0ELNS1_11target_archE4294967295ELNS1_3gpuE0ELNS1_3repE0EEENS1_30default_config_static_selectorELNS0_4arch9wavefront6targetE1EEEvT1_
    .private_segment_fixed_size: 0
    .sgpr_count:     67
    .sgpr_spill_count: 0
    .symbol:         _ZN7rocprim17ROCPRIM_400000_NS6detail17trampoline_kernelINS0_14default_configENS1_27scan_by_key_config_selectorIiiEEZZNS1_16scan_by_key_implILNS1_25lookback_scan_determinismE0ELb0ES3_N6thrust23THRUST_200600_302600_NS16reverse_iteratorIPKiEESD_NSA_IPiEEiN6hipcub16HIPCUB_304000_NS3MaxENSH_8EqualityEiEE10hipError_tPvRmT2_T3_T4_T5_mT6_T7_P12ihipStream_tbENKUlT_T0_E_clISt17integral_constantIbLb0EESZ_IbLb1EEEEDaSV_SW_EUlSV_E_NS1_11comp_targetILNS1_3genE0ELNS1_11target_archE4294967295ELNS1_3gpuE0ELNS1_3repE0EEENS1_30default_config_static_selectorELNS0_4arch9wavefront6targetE1EEEvT1_.kd
    .uniform_work_group_size: 1
    .uses_dynamic_stack: false
    .vgpr_count:     60
    .vgpr_spill_count: 0
    .wavefront_size: 64
  - .agpr_count:     0
    .args:
      - .offset:         0
        .size:           112
        .value_kind:     by_value
    .group_segment_fixed_size: 0
    .kernarg_segment_align: 8
    .kernarg_segment_size: 112
    .language:       OpenCL C
    .language_version:
      - 2
      - 0
    .max_flat_workgroup_size: 256
    .name:           _ZN7rocprim17ROCPRIM_400000_NS6detail17trampoline_kernelINS0_14default_configENS1_27scan_by_key_config_selectorIiiEEZZNS1_16scan_by_key_implILNS1_25lookback_scan_determinismE0ELb0ES3_N6thrust23THRUST_200600_302600_NS16reverse_iteratorIPKiEESD_NSA_IPiEEiN6hipcub16HIPCUB_304000_NS3MaxENSH_8EqualityEiEE10hipError_tPvRmT2_T3_T4_T5_mT6_T7_P12ihipStream_tbENKUlT_T0_E_clISt17integral_constantIbLb0EESZ_IbLb1EEEEDaSV_SW_EUlSV_E_NS1_11comp_targetILNS1_3genE10ELNS1_11target_archE1201ELNS1_3gpuE5ELNS1_3repE0EEENS1_30default_config_static_selectorELNS0_4arch9wavefront6targetE1EEEvT1_
    .private_segment_fixed_size: 0
    .sgpr_count:     6
    .sgpr_spill_count: 0
    .symbol:         _ZN7rocprim17ROCPRIM_400000_NS6detail17trampoline_kernelINS0_14default_configENS1_27scan_by_key_config_selectorIiiEEZZNS1_16scan_by_key_implILNS1_25lookback_scan_determinismE0ELb0ES3_N6thrust23THRUST_200600_302600_NS16reverse_iteratorIPKiEESD_NSA_IPiEEiN6hipcub16HIPCUB_304000_NS3MaxENSH_8EqualityEiEE10hipError_tPvRmT2_T3_T4_T5_mT6_T7_P12ihipStream_tbENKUlT_T0_E_clISt17integral_constantIbLb0EESZ_IbLb1EEEEDaSV_SW_EUlSV_E_NS1_11comp_targetILNS1_3genE10ELNS1_11target_archE1201ELNS1_3gpuE5ELNS1_3repE0EEENS1_30default_config_static_selectorELNS0_4arch9wavefront6targetE1EEEvT1_.kd
    .uniform_work_group_size: 1
    .uses_dynamic_stack: false
    .vgpr_count:     0
    .vgpr_spill_count: 0
    .wavefront_size: 64
  - .agpr_count:     0
    .args:
      - .offset:         0
        .size:           112
        .value_kind:     by_value
    .group_segment_fixed_size: 0
    .kernarg_segment_align: 8
    .kernarg_segment_size: 112
    .language:       OpenCL C
    .language_version:
      - 2
      - 0
    .max_flat_workgroup_size: 256
    .name:           _ZN7rocprim17ROCPRIM_400000_NS6detail17trampoline_kernelINS0_14default_configENS1_27scan_by_key_config_selectorIiiEEZZNS1_16scan_by_key_implILNS1_25lookback_scan_determinismE0ELb0ES3_N6thrust23THRUST_200600_302600_NS16reverse_iteratorIPKiEESD_NSA_IPiEEiN6hipcub16HIPCUB_304000_NS3MaxENSH_8EqualityEiEE10hipError_tPvRmT2_T3_T4_T5_mT6_T7_P12ihipStream_tbENKUlT_T0_E_clISt17integral_constantIbLb0EESZ_IbLb1EEEEDaSV_SW_EUlSV_E_NS1_11comp_targetILNS1_3genE5ELNS1_11target_archE942ELNS1_3gpuE9ELNS1_3repE0EEENS1_30default_config_static_selectorELNS0_4arch9wavefront6targetE1EEEvT1_
    .private_segment_fixed_size: 0
    .sgpr_count:     6
    .sgpr_spill_count: 0
    .symbol:         _ZN7rocprim17ROCPRIM_400000_NS6detail17trampoline_kernelINS0_14default_configENS1_27scan_by_key_config_selectorIiiEEZZNS1_16scan_by_key_implILNS1_25lookback_scan_determinismE0ELb0ES3_N6thrust23THRUST_200600_302600_NS16reverse_iteratorIPKiEESD_NSA_IPiEEiN6hipcub16HIPCUB_304000_NS3MaxENSH_8EqualityEiEE10hipError_tPvRmT2_T3_T4_T5_mT6_T7_P12ihipStream_tbENKUlT_T0_E_clISt17integral_constantIbLb0EESZ_IbLb1EEEEDaSV_SW_EUlSV_E_NS1_11comp_targetILNS1_3genE5ELNS1_11target_archE942ELNS1_3gpuE9ELNS1_3repE0EEENS1_30default_config_static_selectorELNS0_4arch9wavefront6targetE1EEEvT1_.kd
    .uniform_work_group_size: 1
    .uses_dynamic_stack: false
    .vgpr_count:     0
    .vgpr_spill_count: 0
    .wavefront_size: 64
  - .agpr_count:     0
    .args:
      - .offset:         0
        .size:           112
        .value_kind:     by_value
    .group_segment_fixed_size: 0
    .kernarg_segment_align: 8
    .kernarg_segment_size: 112
    .language:       OpenCL C
    .language_version:
      - 2
      - 0
    .max_flat_workgroup_size: 256
    .name:           _ZN7rocprim17ROCPRIM_400000_NS6detail17trampoline_kernelINS0_14default_configENS1_27scan_by_key_config_selectorIiiEEZZNS1_16scan_by_key_implILNS1_25lookback_scan_determinismE0ELb0ES3_N6thrust23THRUST_200600_302600_NS16reverse_iteratorIPKiEESD_NSA_IPiEEiN6hipcub16HIPCUB_304000_NS3MaxENSH_8EqualityEiEE10hipError_tPvRmT2_T3_T4_T5_mT6_T7_P12ihipStream_tbENKUlT_T0_E_clISt17integral_constantIbLb0EESZ_IbLb1EEEEDaSV_SW_EUlSV_E_NS1_11comp_targetILNS1_3genE4ELNS1_11target_archE910ELNS1_3gpuE8ELNS1_3repE0EEENS1_30default_config_static_selectorELNS0_4arch9wavefront6targetE1EEEvT1_
    .private_segment_fixed_size: 0
    .sgpr_count:     6
    .sgpr_spill_count: 0
    .symbol:         _ZN7rocprim17ROCPRIM_400000_NS6detail17trampoline_kernelINS0_14default_configENS1_27scan_by_key_config_selectorIiiEEZZNS1_16scan_by_key_implILNS1_25lookback_scan_determinismE0ELb0ES3_N6thrust23THRUST_200600_302600_NS16reverse_iteratorIPKiEESD_NSA_IPiEEiN6hipcub16HIPCUB_304000_NS3MaxENSH_8EqualityEiEE10hipError_tPvRmT2_T3_T4_T5_mT6_T7_P12ihipStream_tbENKUlT_T0_E_clISt17integral_constantIbLb0EESZ_IbLb1EEEEDaSV_SW_EUlSV_E_NS1_11comp_targetILNS1_3genE4ELNS1_11target_archE910ELNS1_3gpuE8ELNS1_3repE0EEENS1_30default_config_static_selectorELNS0_4arch9wavefront6targetE1EEEvT1_.kd
    .uniform_work_group_size: 1
    .uses_dynamic_stack: false
    .vgpr_count:     0
    .vgpr_spill_count: 0
    .wavefront_size: 64
  - .agpr_count:     0
    .args:
      - .offset:         0
        .size:           112
        .value_kind:     by_value
    .group_segment_fixed_size: 0
    .kernarg_segment_align: 8
    .kernarg_segment_size: 112
    .language:       OpenCL C
    .language_version:
      - 2
      - 0
    .max_flat_workgroup_size: 256
    .name:           _ZN7rocprim17ROCPRIM_400000_NS6detail17trampoline_kernelINS0_14default_configENS1_27scan_by_key_config_selectorIiiEEZZNS1_16scan_by_key_implILNS1_25lookback_scan_determinismE0ELb0ES3_N6thrust23THRUST_200600_302600_NS16reverse_iteratorIPKiEESD_NSA_IPiEEiN6hipcub16HIPCUB_304000_NS3MaxENSH_8EqualityEiEE10hipError_tPvRmT2_T3_T4_T5_mT6_T7_P12ihipStream_tbENKUlT_T0_E_clISt17integral_constantIbLb0EESZ_IbLb1EEEEDaSV_SW_EUlSV_E_NS1_11comp_targetILNS1_3genE3ELNS1_11target_archE908ELNS1_3gpuE7ELNS1_3repE0EEENS1_30default_config_static_selectorELNS0_4arch9wavefront6targetE1EEEvT1_
    .private_segment_fixed_size: 0
    .sgpr_count:     6
    .sgpr_spill_count: 0
    .symbol:         _ZN7rocprim17ROCPRIM_400000_NS6detail17trampoline_kernelINS0_14default_configENS1_27scan_by_key_config_selectorIiiEEZZNS1_16scan_by_key_implILNS1_25lookback_scan_determinismE0ELb0ES3_N6thrust23THRUST_200600_302600_NS16reverse_iteratorIPKiEESD_NSA_IPiEEiN6hipcub16HIPCUB_304000_NS3MaxENSH_8EqualityEiEE10hipError_tPvRmT2_T3_T4_T5_mT6_T7_P12ihipStream_tbENKUlT_T0_E_clISt17integral_constantIbLb0EESZ_IbLb1EEEEDaSV_SW_EUlSV_E_NS1_11comp_targetILNS1_3genE3ELNS1_11target_archE908ELNS1_3gpuE7ELNS1_3repE0EEENS1_30default_config_static_selectorELNS0_4arch9wavefront6targetE1EEEvT1_.kd
    .uniform_work_group_size: 1
    .uses_dynamic_stack: false
    .vgpr_count:     0
    .vgpr_spill_count: 0
    .wavefront_size: 64
  - .agpr_count:     0
    .args:
      - .offset:         0
        .size:           112
        .value_kind:     by_value
    .group_segment_fixed_size: 0
    .kernarg_segment_align: 8
    .kernarg_segment_size: 112
    .language:       OpenCL C
    .language_version:
      - 2
      - 0
    .max_flat_workgroup_size: 256
    .name:           _ZN7rocprim17ROCPRIM_400000_NS6detail17trampoline_kernelINS0_14default_configENS1_27scan_by_key_config_selectorIiiEEZZNS1_16scan_by_key_implILNS1_25lookback_scan_determinismE0ELb0ES3_N6thrust23THRUST_200600_302600_NS16reverse_iteratorIPKiEESD_NSA_IPiEEiN6hipcub16HIPCUB_304000_NS3MaxENSH_8EqualityEiEE10hipError_tPvRmT2_T3_T4_T5_mT6_T7_P12ihipStream_tbENKUlT_T0_E_clISt17integral_constantIbLb0EESZ_IbLb1EEEEDaSV_SW_EUlSV_E_NS1_11comp_targetILNS1_3genE2ELNS1_11target_archE906ELNS1_3gpuE6ELNS1_3repE0EEENS1_30default_config_static_selectorELNS0_4arch9wavefront6targetE1EEEvT1_
    .private_segment_fixed_size: 0
    .sgpr_count:     6
    .sgpr_spill_count: 0
    .symbol:         _ZN7rocprim17ROCPRIM_400000_NS6detail17trampoline_kernelINS0_14default_configENS1_27scan_by_key_config_selectorIiiEEZZNS1_16scan_by_key_implILNS1_25lookback_scan_determinismE0ELb0ES3_N6thrust23THRUST_200600_302600_NS16reverse_iteratorIPKiEESD_NSA_IPiEEiN6hipcub16HIPCUB_304000_NS3MaxENSH_8EqualityEiEE10hipError_tPvRmT2_T3_T4_T5_mT6_T7_P12ihipStream_tbENKUlT_T0_E_clISt17integral_constantIbLb0EESZ_IbLb1EEEEDaSV_SW_EUlSV_E_NS1_11comp_targetILNS1_3genE2ELNS1_11target_archE906ELNS1_3gpuE6ELNS1_3repE0EEENS1_30default_config_static_selectorELNS0_4arch9wavefront6targetE1EEEvT1_.kd
    .uniform_work_group_size: 1
    .uses_dynamic_stack: false
    .vgpr_count:     0
    .vgpr_spill_count: 0
    .wavefront_size: 64
  - .agpr_count:     0
    .args:
      - .offset:         0
        .size:           112
        .value_kind:     by_value
    .group_segment_fixed_size: 0
    .kernarg_segment_align: 8
    .kernarg_segment_size: 112
    .language:       OpenCL C
    .language_version:
      - 2
      - 0
    .max_flat_workgroup_size: 256
    .name:           _ZN7rocprim17ROCPRIM_400000_NS6detail17trampoline_kernelINS0_14default_configENS1_27scan_by_key_config_selectorIiiEEZZNS1_16scan_by_key_implILNS1_25lookback_scan_determinismE0ELb0ES3_N6thrust23THRUST_200600_302600_NS16reverse_iteratorIPKiEESD_NSA_IPiEEiN6hipcub16HIPCUB_304000_NS3MaxENSH_8EqualityEiEE10hipError_tPvRmT2_T3_T4_T5_mT6_T7_P12ihipStream_tbENKUlT_T0_E_clISt17integral_constantIbLb0EESZ_IbLb1EEEEDaSV_SW_EUlSV_E_NS1_11comp_targetILNS1_3genE10ELNS1_11target_archE1200ELNS1_3gpuE4ELNS1_3repE0EEENS1_30default_config_static_selectorELNS0_4arch9wavefront6targetE1EEEvT1_
    .private_segment_fixed_size: 0
    .sgpr_count:     6
    .sgpr_spill_count: 0
    .symbol:         _ZN7rocprim17ROCPRIM_400000_NS6detail17trampoline_kernelINS0_14default_configENS1_27scan_by_key_config_selectorIiiEEZZNS1_16scan_by_key_implILNS1_25lookback_scan_determinismE0ELb0ES3_N6thrust23THRUST_200600_302600_NS16reverse_iteratorIPKiEESD_NSA_IPiEEiN6hipcub16HIPCUB_304000_NS3MaxENSH_8EqualityEiEE10hipError_tPvRmT2_T3_T4_T5_mT6_T7_P12ihipStream_tbENKUlT_T0_E_clISt17integral_constantIbLb0EESZ_IbLb1EEEEDaSV_SW_EUlSV_E_NS1_11comp_targetILNS1_3genE10ELNS1_11target_archE1200ELNS1_3gpuE4ELNS1_3repE0EEENS1_30default_config_static_selectorELNS0_4arch9wavefront6targetE1EEEvT1_.kd
    .uniform_work_group_size: 1
    .uses_dynamic_stack: false
    .vgpr_count:     0
    .vgpr_spill_count: 0
    .wavefront_size: 64
  - .agpr_count:     0
    .args:
      - .offset:         0
        .size:           112
        .value_kind:     by_value
    .group_segment_fixed_size: 0
    .kernarg_segment_align: 8
    .kernarg_segment_size: 112
    .language:       OpenCL C
    .language_version:
      - 2
      - 0
    .max_flat_workgroup_size: 256
    .name:           _ZN7rocprim17ROCPRIM_400000_NS6detail17trampoline_kernelINS0_14default_configENS1_27scan_by_key_config_selectorIiiEEZZNS1_16scan_by_key_implILNS1_25lookback_scan_determinismE0ELb0ES3_N6thrust23THRUST_200600_302600_NS16reverse_iteratorIPKiEESD_NSA_IPiEEiN6hipcub16HIPCUB_304000_NS3MaxENSH_8EqualityEiEE10hipError_tPvRmT2_T3_T4_T5_mT6_T7_P12ihipStream_tbENKUlT_T0_E_clISt17integral_constantIbLb0EESZ_IbLb1EEEEDaSV_SW_EUlSV_E_NS1_11comp_targetILNS1_3genE9ELNS1_11target_archE1100ELNS1_3gpuE3ELNS1_3repE0EEENS1_30default_config_static_selectorELNS0_4arch9wavefront6targetE1EEEvT1_
    .private_segment_fixed_size: 0
    .sgpr_count:     6
    .sgpr_spill_count: 0
    .symbol:         _ZN7rocprim17ROCPRIM_400000_NS6detail17trampoline_kernelINS0_14default_configENS1_27scan_by_key_config_selectorIiiEEZZNS1_16scan_by_key_implILNS1_25lookback_scan_determinismE0ELb0ES3_N6thrust23THRUST_200600_302600_NS16reverse_iteratorIPKiEESD_NSA_IPiEEiN6hipcub16HIPCUB_304000_NS3MaxENSH_8EqualityEiEE10hipError_tPvRmT2_T3_T4_T5_mT6_T7_P12ihipStream_tbENKUlT_T0_E_clISt17integral_constantIbLb0EESZ_IbLb1EEEEDaSV_SW_EUlSV_E_NS1_11comp_targetILNS1_3genE9ELNS1_11target_archE1100ELNS1_3gpuE3ELNS1_3repE0EEENS1_30default_config_static_selectorELNS0_4arch9wavefront6targetE1EEEvT1_.kd
    .uniform_work_group_size: 1
    .uses_dynamic_stack: false
    .vgpr_count:     0
    .vgpr_spill_count: 0
    .wavefront_size: 64
  - .agpr_count:     0
    .args:
      - .offset:         0
        .size:           112
        .value_kind:     by_value
    .group_segment_fixed_size: 0
    .kernarg_segment_align: 8
    .kernarg_segment_size: 112
    .language:       OpenCL C
    .language_version:
      - 2
      - 0
    .max_flat_workgroup_size: 256
    .name:           _ZN7rocprim17ROCPRIM_400000_NS6detail17trampoline_kernelINS0_14default_configENS1_27scan_by_key_config_selectorIiiEEZZNS1_16scan_by_key_implILNS1_25lookback_scan_determinismE0ELb0ES3_N6thrust23THRUST_200600_302600_NS16reverse_iteratorIPKiEESD_NSA_IPiEEiN6hipcub16HIPCUB_304000_NS3MaxENSH_8EqualityEiEE10hipError_tPvRmT2_T3_T4_T5_mT6_T7_P12ihipStream_tbENKUlT_T0_E_clISt17integral_constantIbLb0EESZ_IbLb1EEEEDaSV_SW_EUlSV_E_NS1_11comp_targetILNS1_3genE8ELNS1_11target_archE1030ELNS1_3gpuE2ELNS1_3repE0EEENS1_30default_config_static_selectorELNS0_4arch9wavefront6targetE1EEEvT1_
    .private_segment_fixed_size: 0
    .sgpr_count:     6
    .sgpr_spill_count: 0
    .symbol:         _ZN7rocprim17ROCPRIM_400000_NS6detail17trampoline_kernelINS0_14default_configENS1_27scan_by_key_config_selectorIiiEEZZNS1_16scan_by_key_implILNS1_25lookback_scan_determinismE0ELb0ES3_N6thrust23THRUST_200600_302600_NS16reverse_iteratorIPKiEESD_NSA_IPiEEiN6hipcub16HIPCUB_304000_NS3MaxENSH_8EqualityEiEE10hipError_tPvRmT2_T3_T4_T5_mT6_T7_P12ihipStream_tbENKUlT_T0_E_clISt17integral_constantIbLb0EESZ_IbLb1EEEEDaSV_SW_EUlSV_E_NS1_11comp_targetILNS1_3genE8ELNS1_11target_archE1030ELNS1_3gpuE2ELNS1_3repE0EEENS1_30default_config_static_selectorELNS0_4arch9wavefront6targetE1EEEvT1_.kd
    .uniform_work_group_size: 1
    .uses_dynamic_stack: false
    .vgpr_count:     0
    .vgpr_spill_count: 0
    .wavefront_size: 64
  - .agpr_count:     0
    .args:
      - .offset:         0
        .size:           24
        .value_kind:     by_value
      - .offset:         24
        .size:           4
        .value_kind:     by_value
      - .offset:         28
        .size:           4
        .value_kind:     by_value
      - .address_space:  global
        .offset:         32
        .size:           8
        .value_kind:     global_buffer
      - .address_space:  global
        .offset:         40
        .size:           8
        .value_kind:     global_buffer
      - .actual_access:  write_only
        .address_space:  global
        .offset:         48
        .size:           8
        .value_kind:     global_buffer
      - .offset:         56
        .size:           8
        .value_kind:     by_value
      - .offset:         64
        .size:           4
        .value_kind:     by_value
      - .offset:         68
        .size:           1
        .value_kind:     by_value
      - .offset:         72
        .size:           4
        .value_kind:     hidden_block_count_x
      - .offset:         76
        .size:           4
        .value_kind:     hidden_block_count_y
      - .offset:         80
        .size:           4
        .value_kind:     hidden_block_count_z
      - .offset:         84
        .size:           2
        .value_kind:     hidden_group_size_x
      - .offset:         86
        .size:           2
        .value_kind:     hidden_group_size_y
      - .offset:         88
        .size:           2
        .value_kind:     hidden_group_size_z
      - .offset:         90
        .size:           2
        .value_kind:     hidden_remainder_x
      - .offset:         92
        .size:           2
        .value_kind:     hidden_remainder_y
      - .offset:         94
        .size:           2
        .value_kind:     hidden_remainder_z
      - .offset:         112
        .size:           8
        .value_kind:     hidden_global_offset_x
      - .offset:         120
        .size:           8
        .value_kind:     hidden_global_offset_y
      - .offset:         128
        .size:           8
        .value_kind:     hidden_global_offset_z
      - .offset:         136
        .size:           2
        .value_kind:     hidden_grid_dims
    .group_segment_fixed_size: 0
    .kernarg_segment_align: 8
    .kernarg_segment_size: 328
    .language:       OpenCL C
    .language_version:
      - 2
      - 0
    .max_flat_workgroup_size: 256
    .name:           _ZN7rocprim17ROCPRIM_400000_NS6detail30init_device_scan_by_key_kernelINS1_19lookback_scan_stateINS0_5tupleIJlbEEELb0ELb0EEEPKljNS1_16block_id_wrapperIjLb0EEEEEvT_jjPNSB_10value_typeET0_PNSt15iterator_traitsISE_E10value_typeEmT1_T2_
    .private_segment_fixed_size: 0
    .sgpr_count:     30
    .sgpr_spill_count: 0
    .symbol:         _ZN7rocprim17ROCPRIM_400000_NS6detail30init_device_scan_by_key_kernelINS1_19lookback_scan_stateINS0_5tupleIJlbEEELb0ELb0EEEPKljNS1_16block_id_wrapperIjLb0EEEEEvT_jjPNSB_10value_typeET0_PNSt15iterator_traitsISE_E10value_typeEmT1_T2_.kd
    .uniform_work_group_size: 1
    .uses_dynamic_stack: false
    .vgpr_count:     8
    .vgpr_spill_count: 0
    .wavefront_size: 64
  - .agpr_count:     0
    .args:
      - .offset:         0
        .size:           24
        .value_kind:     by_value
      - .offset:         24
        .size:           4
        .value_kind:     by_value
      - .offset:         28
        .size:           4
        .value_kind:     by_value
      - .address_space:  global
        .offset:         32
        .size:           8
        .value_kind:     global_buffer
      - .offset:         40
        .size:           1
        .value_kind:     by_value
      - .offset:         48
        .size:           4
        .value_kind:     hidden_block_count_x
      - .offset:         52
        .size:           4
        .value_kind:     hidden_block_count_y
      - .offset:         56
        .size:           4
        .value_kind:     hidden_block_count_z
      - .offset:         60
        .size:           2
        .value_kind:     hidden_group_size_x
      - .offset:         62
        .size:           2
        .value_kind:     hidden_group_size_y
      - .offset:         64
        .size:           2
        .value_kind:     hidden_group_size_z
      - .offset:         66
        .size:           2
        .value_kind:     hidden_remainder_x
      - .offset:         68
        .size:           2
        .value_kind:     hidden_remainder_y
      - .offset:         70
        .size:           2
        .value_kind:     hidden_remainder_z
      - .offset:         88
        .size:           8
        .value_kind:     hidden_global_offset_x
      - .offset:         96
        .size:           8
        .value_kind:     hidden_global_offset_y
      - .offset:         104
        .size:           8
        .value_kind:     hidden_global_offset_z
      - .offset:         112
        .size:           2
        .value_kind:     hidden_grid_dims
    .group_segment_fixed_size: 0
    .kernarg_segment_align: 8
    .kernarg_segment_size: 304
    .language:       OpenCL C
    .language_version:
      - 2
      - 0
    .max_flat_workgroup_size: 256
    .name:           _ZN7rocprim17ROCPRIM_400000_NS6detail30init_device_scan_by_key_kernelINS1_19lookback_scan_stateINS0_5tupleIJlbEEELb0ELb0EEENS1_16block_id_wrapperIjLb0EEEEEvT_jjPNS9_10value_typeET0_
    .private_segment_fixed_size: 0
    .sgpr_count:     24
    .sgpr_spill_count: 0
    .symbol:         _ZN7rocprim17ROCPRIM_400000_NS6detail30init_device_scan_by_key_kernelINS1_19lookback_scan_stateINS0_5tupleIJlbEEELb0ELb0EEENS1_16block_id_wrapperIjLb0EEEEEvT_jjPNS9_10value_typeET0_.kd
    .uniform_work_group_size: 1
    .uses_dynamic_stack: false
    .vgpr_count:     6
    .vgpr_spill_count: 0
    .wavefront_size: 64
  - .agpr_count:     0
    .args:
      - .offset:         0
        .size:           144
        .value_kind:     by_value
    .group_segment_fixed_size: 32768
    .kernarg_segment_align: 8
    .kernarg_segment_size: 144
    .language:       OpenCL C
    .language_version:
      - 2
      - 0
    .max_flat_workgroup_size: 256
    .name:           _ZN7rocprim17ROCPRIM_400000_NS6detail17trampoline_kernelINS0_14default_configENS1_27scan_by_key_config_selectorIllEEZZNS1_16scan_by_key_implILNS1_25lookback_scan_determinismE0ELb0ES3_PKlN6hipcub16HIPCUB_304000_NS21ConstantInputIteratorIllEEPllNSB_3SumENSB_8EqualityElEE10hipError_tPvRmT2_T3_T4_T5_mT6_T7_P12ihipStream_tbENKUlT_T0_E_clISt17integral_constantIbLb0EESX_EEDaSS_ST_EUlSS_E_NS1_11comp_targetILNS1_3genE0ELNS1_11target_archE4294967295ELNS1_3gpuE0ELNS1_3repE0EEENS1_30default_config_static_selectorELNS0_4arch9wavefront6targetE1EEEvT1_
    .private_segment_fixed_size: 0
    .sgpr_count:     74
    .sgpr_spill_count: 0
    .symbol:         _ZN7rocprim17ROCPRIM_400000_NS6detail17trampoline_kernelINS0_14default_configENS1_27scan_by_key_config_selectorIllEEZZNS1_16scan_by_key_implILNS1_25lookback_scan_determinismE0ELb0ES3_PKlN6hipcub16HIPCUB_304000_NS21ConstantInputIteratorIllEEPllNSB_3SumENSB_8EqualityElEE10hipError_tPvRmT2_T3_T4_T5_mT6_T7_P12ihipStream_tbENKUlT_T0_E_clISt17integral_constantIbLb0EESX_EEDaSS_ST_EUlSS_E_NS1_11comp_targetILNS1_3genE0ELNS1_11target_archE4294967295ELNS1_3gpuE0ELNS1_3repE0EEENS1_30default_config_static_selectorELNS0_4arch9wavefront6targetE1EEEvT1_.kd
    .uniform_work_group_size: 1
    .uses_dynamic_stack: false
    .vgpr_count:     110
    .vgpr_spill_count: 0
    .wavefront_size: 64
  - .agpr_count:     0
    .args:
      - .offset:         0
        .size:           144
        .value_kind:     by_value
    .group_segment_fixed_size: 0
    .kernarg_segment_align: 8
    .kernarg_segment_size: 144
    .language:       OpenCL C
    .language_version:
      - 2
      - 0
    .max_flat_workgroup_size: 256
    .name:           _ZN7rocprim17ROCPRIM_400000_NS6detail17trampoline_kernelINS0_14default_configENS1_27scan_by_key_config_selectorIllEEZZNS1_16scan_by_key_implILNS1_25lookback_scan_determinismE0ELb0ES3_PKlN6hipcub16HIPCUB_304000_NS21ConstantInputIteratorIllEEPllNSB_3SumENSB_8EqualityElEE10hipError_tPvRmT2_T3_T4_T5_mT6_T7_P12ihipStream_tbENKUlT_T0_E_clISt17integral_constantIbLb0EESX_EEDaSS_ST_EUlSS_E_NS1_11comp_targetILNS1_3genE10ELNS1_11target_archE1201ELNS1_3gpuE5ELNS1_3repE0EEENS1_30default_config_static_selectorELNS0_4arch9wavefront6targetE1EEEvT1_
    .private_segment_fixed_size: 0
    .sgpr_count:     6
    .sgpr_spill_count: 0
    .symbol:         _ZN7rocprim17ROCPRIM_400000_NS6detail17trampoline_kernelINS0_14default_configENS1_27scan_by_key_config_selectorIllEEZZNS1_16scan_by_key_implILNS1_25lookback_scan_determinismE0ELb0ES3_PKlN6hipcub16HIPCUB_304000_NS21ConstantInputIteratorIllEEPllNSB_3SumENSB_8EqualityElEE10hipError_tPvRmT2_T3_T4_T5_mT6_T7_P12ihipStream_tbENKUlT_T0_E_clISt17integral_constantIbLb0EESX_EEDaSS_ST_EUlSS_E_NS1_11comp_targetILNS1_3genE10ELNS1_11target_archE1201ELNS1_3gpuE5ELNS1_3repE0EEENS1_30default_config_static_selectorELNS0_4arch9wavefront6targetE1EEEvT1_.kd
    .uniform_work_group_size: 1
    .uses_dynamic_stack: false
    .vgpr_count:     0
    .vgpr_spill_count: 0
    .wavefront_size: 64
  - .agpr_count:     0
    .args:
      - .offset:         0
        .size:           144
        .value_kind:     by_value
    .group_segment_fixed_size: 0
    .kernarg_segment_align: 8
    .kernarg_segment_size: 144
    .language:       OpenCL C
    .language_version:
      - 2
      - 0
    .max_flat_workgroup_size: 256
    .name:           _ZN7rocprim17ROCPRIM_400000_NS6detail17trampoline_kernelINS0_14default_configENS1_27scan_by_key_config_selectorIllEEZZNS1_16scan_by_key_implILNS1_25lookback_scan_determinismE0ELb0ES3_PKlN6hipcub16HIPCUB_304000_NS21ConstantInputIteratorIllEEPllNSB_3SumENSB_8EqualityElEE10hipError_tPvRmT2_T3_T4_T5_mT6_T7_P12ihipStream_tbENKUlT_T0_E_clISt17integral_constantIbLb0EESX_EEDaSS_ST_EUlSS_E_NS1_11comp_targetILNS1_3genE5ELNS1_11target_archE942ELNS1_3gpuE9ELNS1_3repE0EEENS1_30default_config_static_selectorELNS0_4arch9wavefront6targetE1EEEvT1_
    .private_segment_fixed_size: 0
    .sgpr_count:     6
    .sgpr_spill_count: 0
    .symbol:         _ZN7rocprim17ROCPRIM_400000_NS6detail17trampoline_kernelINS0_14default_configENS1_27scan_by_key_config_selectorIllEEZZNS1_16scan_by_key_implILNS1_25lookback_scan_determinismE0ELb0ES3_PKlN6hipcub16HIPCUB_304000_NS21ConstantInputIteratorIllEEPllNSB_3SumENSB_8EqualityElEE10hipError_tPvRmT2_T3_T4_T5_mT6_T7_P12ihipStream_tbENKUlT_T0_E_clISt17integral_constantIbLb0EESX_EEDaSS_ST_EUlSS_E_NS1_11comp_targetILNS1_3genE5ELNS1_11target_archE942ELNS1_3gpuE9ELNS1_3repE0EEENS1_30default_config_static_selectorELNS0_4arch9wavefront6targetE1EEEvT1_.kd
    .uniform_work_group_size: 1
    .uses_dynamic_stack: false
    .vgpr_count:     0
    .vgpr_spill_count: 0
    .wavefront_size: 64
  - .agpr_count:     0
    .args:
      - .offset:         0
        .size:           144
        .value_kind:     by_value
    .group_segment_fixed_size: 0
    .kernarg_segment_align: 8
    .kernarg_segment_size: 144
    .language:       OpenCL C
    .language_version:
      - 2
      - 0
    .max_flat_workgroup_size: 64
    .name:           _ZN7rocprim17ROCPRIM_400000_NS6detail17trampoline_kernelINS0_14default_configENS1_27scan_by_key_config_selectorIllEEZZNS1_16scan_by_key_implILNS1_25lookback_scan_determinismE0ELb0ES3_PKlN6hipcub16HIPCUB_304000_NS21ConstantInputIteratorIllEEPllNSB_3SumENSB_8EqualityElEE10hipError_tPvRmT2_T3_T4_T5_mT6_T7_P12ihipStream_tbENKUlT_T0_E_clISt17integral_constantIbLb0EESX_EEDaSS_ST_EUlSS_E_NS1_11comp_targetILNS1_3genE4ELNS1_11target_archE910ELNS1_3gpuE8ELNS1_3repE0EEENS1_30default_config_static_selectorELNS0_4arch9wavefront6targetE1EEEvT1_
    .private_segment_fixed_size: 0
    .sgpr_count:     6
    .sgpr_spill_count: 0
    .symbol:         _ZN7rocprim17ROCPRIM_400000_NS6detail17trampoline_kernelINS0_14default_configENS1_27scan_by_key_config_selectorIllEEZZNS1_16scan_by_key_implILNS1_25lookback_scan_determinismE0ELb0ES3_PKlN6hipcub16HIPCUB_304000_NS21ConstantInputIteratorIllEEPllNSB_3SumENSB_8EqualityElEE10hipError_tPvRmT2_T3_T4_T5_mT6_T7_P12ihipStream_tbENKUlT_T0_E_clISt17integral_constantIbLb0EESX_EEDaSS_ST_EUlSS_E_NS1_11comp_targetILNS1_3genE4ELNS1_11target_archE910ELNS1_3gpuE8ELNS1_3repE0EEENS1_30default_config_static_selectorELNS0_4arch9wavefront6targetE1EEEvT1_.kd
    .uniform_work_group_size: 1
    .uses_dynamic_stack: false
    .vgpr_count:     0
    .vgpr_spill_count: 0
    .wavefront_size: 64
  - .agpr_count:     0
    .args:
      - .offset:         0
        .size:           144
        .value_kind:     by_value
    .group_segment_fixed_size: 0
    .kernarg_segment_align: 8
    .kernarg_segment_size: 144
    .language:       OpenCL C
    .language_version:
      - 2
      - 0
    .max_flat_workgroup_size: 256
    .name:           _ZN7rocprim17ROCPRIM_400000_NS6detail17trampoline_kernelINS0_14default_configENS1_27scan_by_key_config_selectorIllEEZZNS1_16scan_by_key_implILNS1_25lookback_scan_determinismE0ELb0ES3_PKlN6hipcub16HIPCUB_304000_NS21ConstantInputIteratorIllEEPllNSB_3SumENSB_8EqualityElEE10hipError_tPvRmT2_T3_T4_T5_mT6_T7_P12ihipStream_tbENKUlT_T0_E_clISt17integral_constantIbLb0EESX_EEDaSS_ST_EUlSS_E_NS1_11comp_targetILNS1_3genE3ELNS1_11target_archE908ELNS1_3gpuE7ELNS1_3repE0EEENS1_30default_config_static_selectorELNS0_4arch9wavefront6targetE1EEEvT1_
    .private_segment_fixed_size: 0
    .sgpr_count:     6
    .sgpr_spill_count: 0
    .symbol:         _ZN7rocprim17ROCPRIM_400000_NS6detail17trampoline_kernelINS0_14default_configENS1_27scan_by_key_config_selectorIllEEZZNS1_16scan_by_key_implILNS1_25lookback_scan_determinismE0ELb0ES3_PKlN6hipcub16HIPCUB_304000_NS21ConstantInputIteratorIllEEPllNSB_3SumENSB_8EqualityElEE10hipError_tPvRmT2_T3_T4_T5_mT6_T7_P12ihipStream_tbENKUlT_T0_E_clISt17integral_constantIbLb0EESX_EEDaSS_ST_EUlSS_E_NS1_11comp_targetILNS1_3genE3ELNS1_11target_archE908ELNS1_3gpuE7ELNS1_3repE0EEENS1_30default_config_static_selectorELNS0_4arch9wavefront6targetE1EEEvT1_.kd
    .uniform_work_group_size: 1
    .uses_dynamic_stack: false
    .vgpr_count:     0
    .vgpr_spill_count: 0
    .wavefront_size: 64
  - .agpr_count:     0
    .args:
      - .offset:         0
        .size:           144
        .value_kind:     by_value
    .group_segment_fixed_size: 0
    .kernarg_segment_align: 8
    .kernarg_segment_size: 144
    .language:       OpenCL C
    .language_version:
      - 2
      - 0
    .max_flat_workgroup_size: 256
    .name:           _ZN7rocprim17ROCPRIM_400000_NS6detail17trampoline_kernelINS0_14default_configENS1_27scan_by_key_config_selectorIllEEZZNS1_16scan_by_key_implILNS1_25lookback_scan_determinismE0ELb0ES3_PKlN6hipcub16HIPCUB_304000_NS21ConstantInputIteratorIllEEPllNSB_3SumENSB_8EqualityElEE10hipError_tPvRmT2_T3_T4_T5_mT6_T7_P12ihipStream_tbENKUlT_T0_E_clISt17integral_constantIbLb0EESX_EEDaSS_ST_EUlSS_E_NS1_11comp_targetILNS1_3genE2ELNS1_11target_archE906ELNS1_3gpuE6ELNS1_3repE0EEENS1_30default_config_static_selectorELNS0_4arch9wavefront6targetE1EEEvT1_
    .private_segment_fixed_size: 0
    .sgpr_count:     6
    .sgpr_spill_count: 0
    .symbol:         _ZN7rocprim17ROCPRIM_400000_NS6detail17trampoline_kernelINS0_14default_configENS1_27scan_by_key_config_selectorIllEEZZNS1_16scan_by_key_implILNS1_25lookback_scan_determinismE0ELb0ES3_PKlN6hipcub16HIPCUB_304000_NS21ConstantInputIteratorIllEEPllNSB_3SumENSB_8EqualityElEE10hipError_tPvRmT2_T3_T4_T5_mT6_T7_P12ihipStream_tbENKUlT_T0_E_clISt17integral_constantIbLb0EESX_EEDaSS_ST_EUlSS_E_NS1_11comp_targetILNS1_3genE2ELNS1_11target_archE906ELNS1_3gpuE6ELNS1_3repE0EEENS1_30default_config_static_selectorELNS0_4arch9wavefront6targetE1EEEvT1_.kd
    .uniform_work_group_size: 1
    .uses_dynamic_stack: false
    .vgpr_count:     0
    .vgpr_spill_count: 0
    .wavefront_size: 64
  - .agpr_count:     0
    .args:
      - .offset:         0
        .size:           144
        .value_kind:     by_value
    .group_segment_fixed_size: 0
    .kernarg_segment_align: 8
    .kernarg_segment_size: 144
    .language:       OpenCL C
    .language_version:
      - 2
      - 0
    .max_flat_workgroup_size: 256
    .name:           _ZN7rocprim17ROCPRIM_400000_NS6detail17trampoline_kernelINS0_14default_configENS1_27scan_by_key_config_selectorIllEEZZNS1_16scan_by_key_implILNS1_25lookback_scan_determinismE0ELb0ES3_PKlN6hipcub16HIPCUB_304000_NS21ConstantInputIteratorIllEEPllNSB_3SumENSB_8EqualityElEE10hipError_tPvRmT2_T3_T4_T5_mT6_T7_P12ihipStream_tbENKUlT_T0_E_clISt17integral_constantIbLb0EESX_EEDaSS_ST_EUlSS_E_NS1_11comp_targetILNS1_3genE10ELNS1_11target_archE1200ELNS1_3gpuE4ELNS1_3repE0EEENS1_30default_config_static_selectorELNS0_4arch9wavefront6targetE1EEEvT1_
    .private_segment_fixed_size: 0
    .sgpr_count:     6
    .sgpr_spill_count: 0
    .symbol:         _ZN7rocprim17ROCPRIM_400000_NS6detail17trampoline_kernelINS0_14default_configENS1_27scan_by_key_config_selectorIllEEZZNS1_16scan_by_key_implILNS1_25lookback_scan_determinismE0ELb0ES3_PKlN6hipcub16HIPCUB_304000_NS21ConstantInputIteratorIllEEPllNSB_3SumENSB_8EqualityElEE10hipError_tPvRmT2_T3_T4_T5_mT6_T7_P12ihipStream_tbENKUlT_T0_E_clISt17integral_constantIbLb0EESX_EEDaSS_ST_EUlSS_E_NS1_11comp_targetILNS1_3genE10ELNS1_11target_archE1200ELNS1_3gpuE4ELNS1_3repE0EEENS1_30default_config_static_selectorELNS0_4arch9wavefront6targetE1EEEvT1_.kd
    .uniform_work_group_size: 1
    .uses_dynamic_stack: false
    .vgpr_count:     0
    .vgpr_spill_count: 0
    .wavefront_size: 64
  - .agpr_count:     0
    .args:
      - .offset:         0
        .size:           144
        .value_kind:     by_value
    .group_segment_fixed_size: 0
    .kernarg_segment_align: 8
    .kernarg_segment_size: 144
    .language:       OpenCL C
    .language_version:
      - 2
      - 0
    .max_flat_workgroup_size: 256
    .name:           _ZN7rocprim17ROCPRIM_400000_NS6detail17trampoline_kernelINS0_14default_configENS1_27scan_by_key_config_selectorIllEEZZNS1_16scan_by_key_implILNS1_25lookback_scan_determinismE0ELb0ES3_PKlN6hipcub16HIPCUB_304000_NS21ConstantInputIteratorIllEEPllNSB_3SumENSB_8EqualityElEE10hipError_tPvRmT2_T3_T4_T5_mT6_T7_P12ihipStream_tbENKUlT_T0_E_clISt17integral_constantIbLb0EESX_EEDaSS_ST_EUlSS_E_NS1_11comp_targetILNS1_3genE9ELNS1_11target_archE1100ELNS1_3gpuE3ELNS1_3repE0EEENS1_30default_config_static_selectorELNS0_4arch9wavefront6targetE1EEEvT1_
    .private_segment_fixed_size: 0
    .sgpr_count:     6
    .sgpr_spill_count: 0
    .symbol:         _ZN7rocprim17ROCPRIM_400000_NS6detail17trampoline_kernelINS0_14default_configENS1_27scan_by_key_config_selectorIllEEZZNS1_16scan_by_key_implILNS1_25lookback_scan_determinismE0ELb0ES3_PKlN6hipcub16HIPCUB_304000_NS21ConstantInputIteratorIllEEPllNSB_3SumENSB_8EqualityElEE10hipError_tPvRmT2_T3_T4_T5_mT6_T7_P12ihipStream_tbENKUlT_T0_E_clISt17integral_constantIbLb0EESX_EEDaSS_ST_EUlSS_E_NS1_11comp_targetILNS1_3genE9ELNS1_11target_archE1100ELNS1_3gpuE3ELNS1_3repE0EEENS1_30default_config_static_selectorELNS0_4arch9wavefront6targetE1EEEvT1_.kd
    .uniform_work_group_size: 1
    .uses_dynamic_stack: false
    .vgpr_count:     0
    .vgpr_spill_count: 0
    .wavefront_size: 64
  - .agpr_count:     0
    .args:
      - .offset:         0
        .size:           144
        .value_kind:     by_value
    .group_segment_fixed_size: 0
    .kernarg_segment_align: 8
    .kernarg_segment_size: 144
    .language:       OpenCL C
    .language_version:
      - 2
      - 0
    .max_flat_workgroup_size: 256
    .name:           _ZN7rocprim17ROCPRIM_400000_NS6detail17trampoline_kernelINS0_14default_configENS1_27scan_by_key_config_selectorIllEEZZNS1_16scan_by_key_implILNS1_25lookback_scan_determinismE0ELb0ES3_PKlN6hipcub16HIPCUB_304000_NS21ConstantInputIteratorIllEEPllNSB_3SumENSB_8EqualityElEE10hipError_tPvRmT2_T3_T4_T5_mT6_T7_P12ihipStream_tbENKUlT_T0_E_clISt17integral_constantIbLb0EESX_EEDaSS_ST_EUlSS_E_NS1_11comp_targetILNS1_3genE8ELNS1_11target_archE1030ELNS1_3gpuE2ELNS1_3repE0EEENS1_30default_config_static_selectorELNS0_4arch9wavefront6targetE1EEEvT1_
    .private_segment_fixed_size: 0
    .sgpr_count:     6
    .sgpr_spill_count: 0
    .symbol:         _ZN7rocprim17ROCPRIM_400000_NS6detail17trampoline_kernelINS0_14default_configENS1_27scan_by_key_config_selectorIllEEZZNS1_16scan_by_key_implILNS1_25lookback_scan_determinismE0ELb0ES3_PKlN6hipcub16HIPCUB_304000_NS21ConstantInputIteratorIllEEPllNSB_3SumENSB_8EqualityElEE10hipError_tPvRmT2_T3_T4_T5_mT6_T7_P12ihipStream_tbENKUlT_T0_E_clISt17integral_constantIbLb0EESX_EEDaSS_ST_EUlSS_E_NS1_11comp_targetILNS1_3genE8ELNS1_11target_archE1030ELNS1_3gpuE2ELNS1_3repE0EEENS1_30default_config_static_selectorELNS0_4arch9wavefront6targetE1EEEvT1_.kd
    .uniform_work_group_size: 1
    .uses_dynamic_stack: false
    .vgpr_count:     0
    .vgpr_spill_count: 0
    .wavefront_size: 64
  - .agpr_count:     0
    .args:
      - .offset:         0
        .size:           24
        .value_kind:     by_value
      - .offset:         24
        .size:           4
        .value_kind:     by_value
      - .offset:         28
        .size:           4
        .value_kind:     by_value
      - .address_space:  global
        .offset:         32
        .size:           8
        .value_kind:     global_buffer
      - .address_space:  global
        .offset:         40
        .size:           8
        .value_kind:     global_buffer
      - .actual_access:  write_only
        .address_space:  global
        .offset:         48
        .size:           8
        .value_kind:     global_buffer
      - .offset:         56
        .size:           8
        .value_kind:     by_value
      - .offset:         64
        .size:           4
        .value_kind:     by_value
      - .address_space:  global
        .offset:         72
        .size:           8
        .value_kind:     global_buffer
      - .offset:         80
        .size:           4
        .value_kind:     hidden_block_count_x
      - .offset:         84
        .size:           4
        .value_kind:     hidden_block_count_y
      - .offset:         88
        .size:           4
        .value_kind:     hidden_block_count_z
      - .offset:         92
        .size:           2
        .value_kind:     hidden_group_size_x
      - .offset:         94
        .size:           2
        .value_kind:     hidden_group_size_y
      - .offset:         96
        .size:           2
        .value_kind:     hidden_group_size_z
      - .offset:         98
        .size:           2
        .value_kind:     hidden_remainder_x
      - .offset:         100
        .size:           2
        .value_kind:     hidden_remainder_y
      - .offset:         102
        .size:           2
        .value_kind:     hidden_remainder_z
      - .offset:         120
        .size:           8
        .value_kind:     hidden_global_offset_x
      - .offset:         128
        .size:           8
        .value_kind:     hidden_global_offset_y
      - .offset:         136
        .size:           8
        .value_kind:     hidden_global_offset_z
      - .offset:         144
        .size:           2
        .value_kind:     hidden_grid_dims
    .group_segment_fixed_size: 0
    .kernarg_segment_align: 8
    .kernarg_segment_size: 336
    .language:       OpenCL C
    .language_version:
      - 2
      - 0
    .max_flat_workgroup_size: 256
    .name:           _ZN7rocprim17ROCPRIM_400000_NS6detail30init_device_scan_by_key_kernelINS1_19lookback_scan_stateINS0_5tupleIJlbEEELb1ELb0EEEPKljNS1_16block_id_wrapperIjLb1EEEEEvT_jjPNSB_10value_typeET0_PNSt15iterator_traitsISE_E10value_typeEmT1_T2_
    .private_segment_fixed_size: 0
    .sgpr_count:     30
    .sgpr_spill_count: 0
    .symbol:         _ZN7rocprim17ROCPRIM_400000_NS6detail30init_device_scan_by_key_kernelINS1_19lookback_scan_stateINS0_5tupleIJlbEEELb1ELb0EEEPKljNS1_16block_id_wrapperIjLb1EEEEEvT_jjPNSB_10value_typeET0_PNSt15iterator_traitsISE_E10value_typeEmT1_T2_.kd
    .uniform_work_group_size: 1
    .uses_dynamic_stack: false
    .vgpr_count:     8
    .vgpr_spill_count: 0
    .wavefront_size: 64
  - .agpr_count:     0
    .args:
      - .offset:         0
        .size:           24
        .value_kind:     by_value
      - .offset:         24
        .size:           4
        .value_kind:     by_value
      - .offset:         28
        .size:           4
        .value_kind:     by_value
      - .address_space:  global
        .offset:         32
        .size:           8
        .value_kind:     global_buffer
      - .address_space:  global
        .offset:         40
        .size:           8
        .value_kind:     global_buffer
      - .offset:         48
        .size:           4
        .value_kind:     hidden_block_count_x
      - .offset:         52
        .size:           4
        .value_kind:     hidden_block_count_y
      - .offset:         56
        .size:           4
        .value_kind:     hidden_block_count_z
      - .offset:         60
        .size:           2
        .value_kind:     hidden_group_size_x
      - .offset:         62
        .size:           2
        .value_kind:     hidden_group_size_y
      - .offset:         64
        .size:           2
        .value_kind:     hidden_group_size_z
      - .offset:         66
        .size:           2
        .value_kind:     hidden_remainder_x
      - .offset:         68
        .size:           2
        .value_kind:     hidden_remainder_y
      - .offset:         70
        .size:           2
        .value_kind:     hidden_remainder_z
      - .offset:         88
        .size:           8
        .value_kind:     hidden_global_offset_x
      - .offset:         96
        .size:           8
        .value_kind:     hidden_global_offset_y
      - .offset:         104
        .size:           8
        .value_kind:     hidden_global_offset_z
      - .offset:         112
        .size:           2
        .value_kind:     hidden_grid_dims
    .group_segment_fixed_size: 0
    .kernarg_segment_align: 8
    .kernarg_segment_size: 304
    .language:       OpenCL C
    .language_version:
      - 2
      - 0
    .max_flat_workgroup_size: 256
    .name:           _ZN7rocprim17ROCPRIM_400000_NS6detail30init_device_scan_by_key_kernelINS1_19lookback_scan_stateINS0_5tupleIJlbEEELb1ELb0EEENS1_16block_id_wrapperIjLb1EEEEEvT_jjPNS9_10value_typeET0_
    .private_segment_fixed_size: 0
    .sgpr_count:     26
    .sgpr_spill_count: 0
    .symbol:         _ZN7rocprim17ROCPRIM_400000_NS6detail30init_device_scan_by_key_kernelINS1_19lookback_scan_stateINS0_5tupleIJlbEEELb1ELb0EEENS1_16block_id_wrapperIjLb1EEEEEvT_jjPNS9_10value_typeET0_.kd
    .uniform_work_group_size: 1
    .uses_dynamic_stack: false
    .vgpr_count:     6
    .vgpr_spill_count: 0
    .wavefront_size: 64
  - .agpr_count:     0
    .args:
      - .offset:         0
        .size:           144
        .value_kind:     by_value
    .group_segment_fixed_size: 0
    .kernarg_segment_align: 8
    .kernarg_segment_size: 144
    .language:       OpenCL C
    .language_version:
      - 2
      - 0
    .max_flat_workgroup_size: 256
    .name:           _ZN7rocprim17ROCPRIM_400000_NS6detail17trampoline_kernelINS0_14default_configENS1_27scan_by_key_config_selectorIllEEZZNS1_16scan_by_key_implILNS1_25lookback_scan_determinismE0ELb0ES3_PKlN6hipcub16HIPCUB_304000_NS21ConstantInputIteratorIllEEPllNSB_3SumENSB_8EqualityElEE10hipError_tPvRmT2_T3_T4_T5_mT6_T7_P12ihipStream_tbENKUlT_T0_E_clISt17integral_constantIbLb1EESX_EEDaSS_ST_EUlSS_E_NS1_11comp_targetILNS1_3genE0ELNS1_11target_archE4294967295ELNS1_3gpuE0ELNS1_3repE0EEENS1_30default_config_static_selectorELNS0_4arch9wavefront6targetE1EEEvT1_
    .private_segment_fixed_size: 0
    .sgpr_count:     6
    .sgpr_spill_count: 0
    .symbol:         _ZN7rocprim17ROCPRIM_400000_NS6detail17trampoline_kernelINS0_14default_configENS1_27scan_by_key_config_selectorIllEEZZNS1_16scan_by_key_implILNS1_25lookback_scan_determinismE0ELb0ES3_PKlN6hipcub16HIPCUB_304000_NS21ConstantInputIteratorIllEEPllNSB_3SumENSB_8EqualityElEE10hipError_tPvRmT2_T3_T4_T5_mT6_T7_P12ihipStream_tbENKUlT_T0_E_clISt17integral_constantIbLb1EESX_EEDaSS_ST_EUlSS_E_NS1_11comp_targetILNS1_3genE0ELNS1_11target_archE4294967295ELNS1_3gpuE0ELNS1_3repE0EEENS1_30default_config_static_selectorELNS0_4arch9wavefront6targetE1EEEvT1_.kd
    .uniform_work_group_size: 1
    .uses_dynamic_stack: false
    .vgpr_count:     0
    .vgpr_spill_count: 0
    .wavefront_size: 64
  - .agpr_count:     0
    .args:
      - .offset:         0
        .size:           144
        .value_kind:     by_value
    .group_segment_fixed_size: 0
    .kernarg_segment_align: 8
    .kernarg_segment_size: 144
    .language:       OpenCL C
    .language_version:
      - 2
      - 0
    .max_flat_workgroup_size: 256
    .name:           _ZN7rocprim17ROCPRIM_400000_NS6detail17trampoline_kernelINS0_14default_configENS1_27scan_by_key_config_selectorIllEEZZNS1_16scan_by_key_implILNS1_25lookback_scan_determinismE0ELb0ES3_PKlN6hipcub16HIPCUB_304000_NS21ConstantInputIteratorIllEEPllNSB_3SumENSB_8EqualityElEE10hipError_tPvRmT2_T3_T4_T5_mT6_T7_P12ihipStream_tbENKUlT_T0_E_clISt17integral_constantIbLb1EESX_EEDaSS_ST_EUlSS_E_NS1_11comp_targetILNS1_3genE10ELNS1_11target_archE1201ELNS1_3gpuE5ELNS1_3repE0EEENS1_30default_config_static_selectorELNS0_4arch9wavefront6targetE1EEEvT1_
    .private_segment_fixed_size: 0
    .sgpr_count:     6
    .sgpr_spill_count: 0
    .symbol:         _ZN7rocprim17ROCPRIM_400000_NS6detail17trampoline_kernelINS0_14default_configENS1_27scan_by_key_config_selectorIllEEZZNS1_16scan_by_key_implILNS1_25lookback_scan_determinismE0ELb0ES3_PKlN6hipcub16HIPCUB_304000_NS21ConstantInputIteratorIllEEPllNSB_3SumENSB_8EqualityElEE10hipError_tPvRmT2_T3_T4_T5_mT6_T7_P12ihipStream_tbENKUlT_T0_E_clISt17integral_constantIbLb1EESX_EEDaSS_ST_EUlSS_E_NS1_11comp_targetILNS1_3genE10ELNS1_11target_archE1201ELNS1_3gpuE5ELNS1_3repE0EEENS1_30default_config_static_selectorELNS0_4arch9wavefront6targetE1EEEvT1_.kd
    .uniform_work_group_size: 1
    .uses_dynamic_stack: false
    .vgpr_count:     0
    .vgpr_spill_count: 0
    .wavefront_size: 64
  - .agpr_count:     0
    .args:
      - .offset:         0
        .size:           144
        .value_kind:     by_value
    .group_segment_fixed_size: 0
    .kernarg_segment_align: 8
    .kernarg_segment_size: 144
    .language:       OpenCL C
    .language_version:
      - 2
      - 0
    .max_flat_workgroup_size: 256
    .name:           _ZN7rocprim17ROCPRIM_400000_NS6detail17trampoline_kernelINS0_14default_configENS1_27scan_by_key_config_selectorIllEEZZNS1_16scan_by_key_implILNS1_25lookback_scan_determinismE0ELb0ES3_PKlN6hipcub16HIPCUB_304000_NS21ConstantInputIteratorIllEEPllNSB_3SumENSB_8EqualityElEE10hipError_tPvRmT2_T3_T4_T5_mT6_T7_P12ihipStream_tbENKUlT_T0_E_clISt17integral_constantIbLb1EESX_EEDaSS_ST_EUlSS_E_NS1_11comp_targetILNS1_3genE5ELNS1_11target_archE942ELNS1_3gpuE9ELNS1_3repE0EEENS1_30default_config_static_selectorELNS0_4arch9wavefront6targetE1EEEvT1_
    .private_segment_fixed_size: 0
    .sgpr_count:     6
    .sgpr_spill_count: 0
    .symbol:         _ZN7rocprim17ROCPRIM_400000_NS6detail17trampoline_kernelINS0_14default_configENS1_27scan_by_key_config_selectorIllEEZZNS1_16scan_by_key_implILNS1_25lookback_scan_determinismE0ELb0ES3_PKlN6hipcub16HIPCUB_304000_NS21ConstantInputIteratorIllEEPllNSB_3SumENSB_8EqualityElEE10hipError_tPvRmT2_T3_T4_T5_mT6_T7_P12ihipStream_tbENKUlT_T0_E_clISt17integral_constantIbLb1EESX_EEDaSS_ST_EUlSS_E_NS1_11comp_targetILNS1_3genE5ELNS1_11target_archE942ELNS1_3gpuE9ELNS1_3repE0EEENS1_30default_config_static_selectorELNS0_4arch9wavefront6targetE1EEEvT1_.kd
    .uniform_work_group_size: 1
    .uses_dynamic_stack: false
    .vgpr_count:     0
    .vgpr_spill_count: 0
    .wavefront_size: 64
  - .agpr_count:     0
    .args:
      - .offset:         0
        .size:           144
        .value_kind:     by_value
    .group_segment_fixed_size: 0
    .kernarg_segment_align: 8
    .kernarg_segment_size: 144
    .language:       OpenCL C
    .language_version:
      - 2
      - 0
    .max_flat_workgroup_size: 64
    .name:           _ZN7rocprim17ROCPRIM_400000_NS6detail17trampoline_kernelINS0_14default_configENS1_27scan_by_key_config_selectorIllEEZZNS1_16scan_by_key_implILNS1_25lookback_scan_determinismE0ELb0ES3_PKlN6hipcub16HIPCUB_304000_NS21ConstantInputIteratorIllEEPllNSB_3SumENSB_8EqualityElEE10hipError_tPvRmT2_T3_T4_T5_mT6_T7_P12ihipStream_tbENKUlT_T0_E_clISt17integral_constantIbLb1EESX_EEDaSS_ST_EUlSS_E_NS1_11comp_targetILNS1_3genE4ELNS1_11target_archE910ELNS1_3gpuE8ELNS1_3repE0EEENS1_30default_config_static_selectorELNS0_4arch9wavefront6targetE1EEEvT1_
    .private_segment_fixed_size: 0
    .sgpr_count:     6
    .sgpr_spill_count: 0
    .symbol:         _ZN7rocprim17ROCPRIM_400000_NS6detail17trampoline_kernelINS0_14default_configENS1_27scan_by_key_config_selectorIllEEZZNS1_16scan_by_key_implILNS1_25lookback_scan_determinismE0ELb0ES3_PKlN6hipcub16HIPCUB_304000_NS21ConstantInputIteratorIllEEPllNSB_3SumENSB_8EqualityElEE10hipError_tPvRmT2_T3_T4_T5_mT6_T7_P12ihipStream_tbENKUlT_T0_E_clISt17integral_constantIbLb1EESX_EEDaSS_ST_EUlSS_E_NS1_11comp_targetILNS1_3genE4ELNS1_11target_archE910ELNS1_3gpuE8ELNS1_3repE0EEENS1_30default_config_static_selectorELNS0_4arch9wavefront6targetE1EEEvT1_.kd
    .uniform_work_group_size: 1
    .uses_dynamic_stack: false
    .vgpr_count:     0
    .vgpr_spill_count: 0
    .wavefront_size: 64
  - .agpr_count:     0
    .args:
      - .offset:         0
        .size:           144
        .value_kind:     by_value
    .group_segment_fixed_size: 0
    .kernarg_segment_align: 8
    .kernarg_segment_size: 144
    .language:       OpenCL C
    .language_version:
      - 2
      - 0
    .max_flat_workgroup_size: 256
    .name:           _ZN7rocprim17ROCPRIM_400000_NS6detail17trampoline_kernelINS0_14default_configENS1_27scan_by_key_config_selectorIllEEZZNS1_16scan_by_key_implILNS1_25lookback_scan_determinismE0ELb0ES3_PKlN6hipcub16HIPCUB_304000_NS21ConstantInputIteratorIllEEPllNSB_3SumENSB_8EqualityElEE10hipError_tPvRmT2_T3_T4_T5_mT6_T7_P12ihipStream_tbENKUlT_T0_E_clISt17integral_constantIbLb1EESX_EEDaSS_ST_EUlSS_E_NS1_11comp_targetILNS1_3genE3ELNS1_11target_archE908ELNS1_3gpuE7ELNS1_3repE0EEENS1_30default_config_static_selectorELNS0_4arch9wavefront6targetE1EEEvT1_
    .private_segment_fixed_size: 0
    .sgpr_count:     6
    .sgpr_spill_count: 0
    .symbol:         _ZN7rocprim17ROCPRIM_400000_NS6detail17trampoline_kernelINS0_14default_configENS1_27scan_by_key_config_selectorIllEEZZNS1_16scan_by_key_implILNS1_25lookback_scan_determinismE0ELb0ES3_PKlN6hipcub16HIPCUB_304000_NS21ConstantInputIteratorIllEEPllNSB_3SumENSB_8EqualityElEE10hipError_tPvRmT2_T3_T4_T5_mT6_T7_P12ihipStream_tbENKUlT_T0_E_clISt17integral_constantIbLb1EESX_EEDaSS_ST_EUlSS_E_NS1_11comp_targetILNS1_3genE3ELNS1_11target_archE908ELNS1_3gpuE7ELNS1_3repE0EEENS1_30default_config_static_selectorELNS0_4arch9wavefront6targetE1EEEvT1_.kd
    .uniform_work_group_size: 1
    .uses_dynamic_stack: false
    .vgpr_count:     0
    .vgpr_spill_count: 0
    .wavefront_size: 64
  - .agpr_count:     0
    .args:
      - .offset:         0
        .size:           144
        .value_kind:     by_value
    .group_segment_fixed_size: 0
    .kernarg_segment_align: 8
    .kernarg_segment_size: 144
    .language:       OpenCL C
    .language_version:
      - 2
      - 0
    .max_flat_workgroup_size: 256
    .name:           _ZN7rocprim17ROCPRIM_400000_NS6detail17trampoline_kernelINS0_14default_configENS1_27scan_by_key_config_selectorIllEEZZNS1_16scan_by_key_implILNS1_25lookback_scan_determinismE0ELb0ES3_PKlN6hipcub16HIPCUB_304000_NS21ConstantInputIteratorIllEEPllNSB_3SumENSB_8EqualityElEE10hipError_tPvRmT2_T3_T4_T5_mT6_T7_P12ihipStream_tbENKUlT_T0_E_clISt17integral_constantIbLb1EESX_EEDaSS_ST_EUlSS_E_NS1_11comp_targetILNS1_3genE2ELNS1_11target_archE906ELNS1_3gpuE6ELNS1_3repE0EEENS1_30default_config_static_selectorELNS0_4arch9wavefront6targetE1EEEvT1_
    .private_segment_fixed_size: 0
    .sgpr_count:     6
    .sgpr_spill_count: 0
    .symbol:         _ZN7rocprim17ROCPRIM_400000_NS6detail17trampoline_kernelINS0_14default_configENS1_27scan_by_key_config_selectorIllEEZZNS1_16scan_by_key_implILNS1_25lookback_scan_determinismE0ELb0ES3_PKlN6hipcub16HIPCUB_304000_NS21ConstantInputIteratorIllEEPllNSB_3SumENSB_8EqualityElEE10hipError_tPvRmT2_T3_T4_T5_mT6_T7_P12ihipStream_tbENKUlT_T0_E_clISt17integral_constantIbLb1EESX_EEDaSS_ST_EUlSS_E_NS1_11comp_targetILNS1_3genE2ELNS1_11target_archE906ELNS1_3gpuE6ELNS1_3repE0EEENS1_30default_config_static_selectorELNS0_4arch9wavefront6targetE1EEEvT1_.kd
    .uniform_work_group_size: 1
    .uses_dynamic_stack: false
    .vgpr_count:     0
    .vgpr_spill_count: 0
    .wavefront_size: 64
  - .agpr_count:     0
    .args:
      - .offset:         0
        .size:           144
        .value_kind:     by_value
    .group_segment_fixed_size: 0
    .kernarg_segment_align: 8
    .kernarg_segment_size: 144
    .language:       OpenCL C
    .language_version:
      - 2
      - 0
    .max_flat_workgroup_size: 256
    .name:           _ZN7rocprim17ROCPRIM_400000_NS6detail17trampoline_kernelINS0_14default_configENS1_27scan_by_key_config_selectorIllEEZZNS1_16scan_by_key_implILNS1_25lookback_scan_determinismE0ELb0ES3_PKlN6hipcub16HIPCUB_304000_NS21ConstantInputIteratorIllEEPllNSB_3SumENSB_8EqualityElEE10hipError_tPvRmT2_T3_T4_T5_mT6_T7_P12ihipStream_tbENKUlT_T0_E_clISt17integral_constantIbLb1EESX_EEDaSS_ST_EUlSS_E_NS1_11comp_targetILNS1_3genE10ELNS1_11target_archE1200ELNS1_3gpuE4ELNS1_3repE0EEENS1_30default_config_static_selectorELNS0_4arch9wavefront6targetE1EEEvT1_
    .private_segment_fixed_size: 0
    .sgpr_count:     6
    .sgpr_spill_count: 0
    .symbol:         _ZN7rocprim17ROCPRIM_400000_NS6detail17trampoline_kernelINS0_14default_configENS1_27scan_by_key_config_selectorIllEEZZNS1_16scan_by_key_implILNS1_25lookback_scan_determinismE0ELb0ES3_PKlN6hipcub16HIPCUB_304000_NS21ConstantInputIteratorIllEEPllNSB_3SumENSB_8EqualityElEE10hipError_tPvRmT2_T3_T4_T5_mT6_T7_P12ihipStream_tbENKUlT_T0_E_clISt17integral_constantIbLb1EESX_EEDaSS_ST_EUlSS_E_NS1_11comp_targetILNS1_3genE10ELNS1_11target_archE1200ELNS1_3gpuE4ELNS1_3repE0EEENS1_30default_config_static_selectorELNS0_4arch9wavefront6targetE1EEEvT1_.kd
    .uniform_work_group_size: 1
    .uses_dynamic_stack: false
    .vgpr_count:     0
    .vgpr_spill_count: 0
    .wavefront_size: 64
  - .agpr_count:     0
    .args:
      - .offset:         0
        .size:           144
        .value_kind:     by_value
    .group_segment_fixed_size: 0
    .kernarg_segment_align: 8
    .kernarg_segment_size: 144
    .language:       OpenCL C
    .language_version:
      - 2
      - 0
    .max_flat_workgroup_size: 256
    .name:           _ZN7rocprim17ROCPRIM_400000_NS6detail17trampoline_kernelINS0_14default_configENS1_27scan_by_key_config_selectorIllEEZZNS1_16scan_by_key_implILNS1_25lookback_scan_determinismE0ELb0ES3_PKlN6hipcub16HIPCUB_304000_NS21ConstantInputIteratorIllEEPllNSB_3SumENSB_8EqualityElEE10hipError_tPvRmT2_T3_T4_T5_mT6_T7_P12ihipStream_tbENKUlT_T0_E_clISt17integral_constantIbLb1EESX_EEDaSS_ST_EUlSS_E_NS1_11comp_targetILNS1_3genE9ELNS1_11target_archE1100ELNS1_3gpuE3ELNS1_3repE0EEENS1_30default_config_static_selectorELNS0_4arch9wavefront6targetE1EEEvT1_
    .private_segment_fixed_size: 0
    .sgpr_count:     6
    .sgpr_spill_count: 0
    .symbol:         _ZN7rocprim17ROCPRIM_400000_NS6detail17trampoline_kernelINS0_14default_configENS1_27scan_by_key_config_selectorIllEEZZNS1_16scan_by_key_implILNS1_25lookback_scan_determinismE0ELb0ES3_PKlN6hipcub16HIPCUB_304000_NS21ConstantInputIteratorIllEEPllNSB_3SumENSB_8EqualityElEE10hipError_tPvRmT2_T3_T4_T5_mT6_T7_P12ihipStream_tbENKUlT_T0_E_clISt17integral_constantIbLb1EESX_EEDaSS_ST_EUlSS_E_NS1_11comp_targetILNS1_3genE9ELNS1_11target_archE1100ELNS1_3gpuE3ELNS1_3repE0EEENS1_30default_config_static_selectorELNS0_4arch9wavefront6targetE1EEEvT1_.kd
    .uniform_work_group_size: 1
    .uses_dynamic_stack: false
    .vgpr_count:     0
    .vgpr_spill_count: 0
    .wavefront_size: 64
  - .agpr_count:     0
    .args:
      - .offset:         0
        .size:           144
        .value_kind:     by_value
    .group_segment_fixed_size: 0
    .kernarg_segment_align: 8
    .kernarg_segment_size: 144
    .language:       OpenCL C
    .language_version:
      - 2
      - 0
    .max_flat_workgroup_size: 256
    .name:           _ZN7rocprim17ROCPRIM_400000_NS6detail17trampoline_kernelINS0_14default_configENS1_27scan_by_key_config_selectorIllEEZZNS1_16scan_by_key_implILNS1_25lookback_scan_determinismE0ELb0ES3_PKlN6hipcub16HIPCUB_304000_NS21ConstantInputIteratorIllEEPllNSB_3SumENSB_8EqualityElEE10hipError_tPvRmT2_T3_T4_T5_mT6_T7_P12ihipStream_tbENKUlT_T0_E_clISt17integral_constantIbLb1EESX_EEDaSS_ST_EUlSS_E_NS1_11comp_targetILNS1_3genE8ELNS1_11target_archE1030ELNS1_3gpuE2ELNS1_3repE0EEENS1_30default_config_static_selectorELNS0_4arch9wavefront6targetE1EEEvT1_
    .private_segment_fixed_size: 0
    .sgpr_count:     6
    .sgpr_spill_count: 0
    .symbol:         _ZN7rocprim17ROCPRIM_400000_NS6detail17trampoline_kernelINS0_14default_configENS1_27scan_by_key_config_selectorIllEEZZNS1_16scan_by_key_implILNS1_25lookback_scan_determinismE0ELb0ES3_PKlN6hipcub16HIPCUB_304000_NS21ConstantInputIteratorIllEEPllNSB_3SumENSB_8EqualityElEE10hipError_tPvRmT2_T3_T4_T5_mT6_T7_P12ihipStream_tbENKUlT_T0_E_clISt17integral_constantIbLb1EESX_EEDaSS_ST_EUlSS_E_NS1_11comp_targetILNS1_3genE8ELNS1_11target_archE1030ELNS1_3gpuE2ELNS1_3repE0EEENS1_30default_config_static_selectorELNS0_4arch9wavefront6targetE1EEEvT1_.kd
    .uniform_work_group_size: 1
    .uses_dynamic_stack: false
    .vgpr_count:     0
    .vgpr_spill_count: 0
    .wavefront_size: 64
  - .agpr_count:     0
    .args:
      - .offset:         0
        .size:           24
        .value_kind:     by_value
      - .offset:         24
        .size:           4
        .value_kind:     by_value
      - .offset:         28
        .size:           4
        .value_kind:     by_value
      - .address_space:  global
        .offset:         32
        .size:           8
        .value_kind:     global_buffer
      - .address_space:  global
        .offset:         40
        .size:           8
        .value_kind:     global_buffer
      - .actual_access:  write_only
        .address_space:  global
        .offset:         48
        .size:           8
        .value_kind:     global_buffer
      - .offset:         56
        .size:           8
        .value_kind:     by_value
      - .offset:         64
        .size:           4
        .value_kind:     by_value
      - .offset:         68
        .size:           1
        .value_kind:     by_value
      - .offset:         72
        .size:           4
        .value_kind:     hidden_block_count_x
      - .offset:         76
        .size:           4
        .value_kind:     hidden_block_count_y
      - .offset:         80
        .size:           4
        .value_kind:     hidden_block_count_z
      - .offset:         84
        .size:           2
        .value_kind:     hidden_group_size_x
      - .offset:         86
        .size:           2
        .value_kind:     hidden_group_size_y
      - .offset:         88
        .size:           2
        .value_kind:     hidden_group_size_z
      - .offset:         90
        .size:           2
        .value_kind:     hidden_remainder_x
      - .offset:         92
        .size:           2
        .value_kind:     hidden_remainder_y
      - .offset:         94
        .size:           2
        .value_kind:     hidden_remainder_z
      - .offset:         112
        .size:           8
        .value_kind:     hidden_global_offset_x
      - .offset:         120
        .size:           8
        .value_kind:     hidden_global_offset_y
      - .offset:         128
        .size:           8
        .value_kind:     hidden_global_offset_z
      - .offset:         136
        .size:           2
        .value_kind:     hidden_grid_dims
    .group_segment_fixed_size: 0
    .kernarg_segment_align: 8
    .kernarg_segment_size: 328
    .language:       OpenCL C
    .language_version:
      - 2
      - 0
    .max_flat_workgroup_size: 256
    .name:           _ZN7rocprim17ROCPRIM_400000_NS6detail30init_device_scan_by_key_kernelINS1_19lookback_scan_stateINS0_5tupleIJlbEEELb1ELb0EEEPKljNS1_16block_id_wrapperIjLb0EEEEEvT_jjPNSB_10value_typeET0_PNSt15iterator_traitsISE_E10value_typeEmT1_T2_
    .private_segment_fixed_size: 0
    .sgpr_count:     30
    .sgpr_spill_count: 0
    .symbol:         _ZN7rocprim17ROCPRIM_400000_NS6detail30init_device_scan_by_key_kernelINS1_19lookback_scan_stateINS0_5tupleIJlbEEELb1ELb0EEEPKljNS1_16block_id_wrapperIjLb0EEEEEvT_jjPNSB_10value_typeET0_PNSt15iterator_traitsISE_E10value_typeEmT1_T2_.kd
    .uniform_work_group_size: 1
    .uses_dynamic_stack: false
    .vgpr_count:     8
    .vgpr_spill_count: 0
    .wavefront_size: 64
  - .agpr_count:     0
    .args:
      - .offset:         0
        .size:           24
        .value_kind:     by_value
      - .offset:         24
        .size:           4
        .value_kind:     by_value
      - .offset:         28
        .size:           4
        .value_kind:     by_value
      - .address_space:  global
        .offset:         32
        .size:           8
        .value_kind:     global_buffer
      - .offset:         40
        .size:           1
        .value_kind:     by_value
      - .offset:         48
        .size:           4
        .value_kind:     hidden_block_count_x
      - .offset:         52
        .size:           4
        .value_kind:     hidden_block_count_y
      - .offset:         56
        .size:           4
        .value_kind:     hidden_block_count_z
      - .offset:         60
        .size:           2
        .value_kind:     hidden_group_size_x
      - .offset:         62
        .size:           2
        .value_kind:     hidden_group_size_y
      - .offset:         64
        .size:           2
        .value_kind:     hidden_group_size_z
      - .offset:         66
        .size:           2
        .value_kind:     hidden_remainder_x
      - .offset:         68
        .size:           2
        .value_kind:     hidden_remainder_y
      - .offset:         70
        .size:           2
        .value_kind:     hidden_remainder_z
      - .offset:         88
        .size:           8
        .value_kind:     hidden_global_offset_x
      - .offset:         96
        .size:           8
        .value_kind:     hidden_global_offset_y
      - .offset:         104
        .size:           8
        .value_kind:     hidden_global_offset_z
      - .offset:         112
        .size:           2
        .value_kind:     hidden_grid_dims
    .group_segment_fixed_size: 0
    .kernarg_segment_align: 8
    .kernarg_segment_size: 304
    .language:       OpenCL C
    .language_version:
      - 2
      - 0
    .max_flat_workgroup_size: 256
    .name:           _ZN7rocprim17ROCPRIM_400000_NS6detail30init_device_scan_by_key_kernelINS1_19lookback_scan_stateINS0_5tupleIJlbEEELb1ELb0EEENS1_16block_id_wrapperIjLb0EEEEEvT_jjPNS9_10value_typeET0_
    .private_segment_fixed_size: 0
    .sgpr_count:     24
    .sgpr_spill_count: 0
    .symbol:         _ZN7rocprim17ROCPRIM_400000_NS6detail30init_device_scan_by_key_kernelINS1_19lookback_scan_stateINS0_5tupleIJlbEEELb1ELb0EEENS1_16block_id_wrapperIjLb0EEEEEvT_jjPNS9_10value_typeET0_.kd
    .uniform_work_group_size: 1
    .uses_dynamic_stack: false
    .vgpr_count:     6
    .vgpr_spill_count: 0
    .wavefront_size: 64
  - .agpr_count:     0
    .args:
      - .offset:         0
        .size:           144
        .value_kind:     by_value
    .group_segment_fixed_size: 0
    .kernarg_segment_align: 8
    .kernarg_segment_size: 144
    .language:       OpenCL C
    .language_version:
      - 2
      - 0
    .max_flat_workgroup_size: 256
    .name:           _ZN7rocprim17ROCPRIM_400000_NS6detail17trampoline_kernelINS0_14default_configENS1_27scan_by_key_config_selectorIllEEZZNS1_16scan_by_key_implILNS1_25lookback_scan_determinismE0ELb0ES3_PKlN6hipcub16HIPCUB_304000_NS21ConstantInputIteratorIllEEPllNSB_3SumENSB_8EqualityElEE10hipError_tPvRmT2_T3_T4_T5_mT6_T7_P12ihipStream_tbENKUlT_T0_E_clISt17integral_constantIbLb1EESW_IbLb0EEEEDaSS_ST_EUlSS_E_NS1_11comp_targetILNS1_3genE0ELNS1_11target_archE4294967295ELNS1_3gpuE0ELNS1_3repE0EEENS1_30default_config_static_selectorELNS0_4arch9wavefront6targetE1EEEvT1_
    .private_segment_fixed_size: 0
    .sgpr_count:     6
    .sgpr_spill_count: 0
    .symbol:         _ZN7rocprim17ROCPRIM_400000_NS6detail17trampoline_kernelINS0_14default_configENS1_27scan_by_key_config_selectorIllEEZZNS1_16scan_by_key_implILNS1_25lookback_scan_determinismE0ELb0ES3_PKlN6hipcub16HIPCUB_304000_NS21ConstantInputIteratorIllEEPllNSB_3SumENSB_8EqualityElEE10hipError_tPvRmT2_T3_T4_T5_mT6_T7_P12ihipStream_tbENKUlT_T0_E_clISt17integral_constantIbLb1EESW_IbLb0EEEEDaSS_ST_EUlSS_E_NS1_11comp_targetILNS1_3genE0ELNS1_11target_archE4294967295ELNS1_3gpuE0ELNS1_3repE0EEENS1_30default_config_static_selectorELNS0_4arch9wavefront6targetE1EEEvT1_.kd
    .uniform_work_group_size: 1
    .uses_dynamic_stack: false
    .vgpr_count:     0
    .vgpr_spill_count: 0
    .wavefront_size: 64
  - .agpr_count:     0
    .args:
      - .offset:         0
        .size:           144
        .value_kind:     by_value
    .group_segment_fixed_size: 0
    .kernarg_segment_align: 8
    .kernarg_segment_size: 144
    .language:       OpenCL C
    .language_version:
      - 2
      - 0
    .max_flat_workgroup_size: 256
    .name:           _ZN7rocprim17ROCPRIM_400000_NS6detail17trampoline_kernelINS0_14default_configENS1_27scan_by_key_config_selectorIllEEZZNS1_16scan_by_key_implILNS1_25lookback_scan_determinismE0ELb0ES3_PKlN6hipcub16HIPCUB_304000_NS21ConstantInputIteratorIllEEPllNSB_3SumENSB_8EqualityElEE10hipError_tPvRmT2_T3_T4_T5_mT6_T7_P12ihipStream_tbENKUlT_T0_E_clISt17integral_constantIbLb1EESW_IbLb0EEEEDaSS_ST_EUlSS_E_NS1_11comp_targetILNS1_3genE10ELNS1_11target_archE1201ELNS1_3gpuE5ELNS1_3repE0EEENS1_30default_config_static_selectorELNS0_4arch9wavefront6targetE1EEEvT1_
    .private_segment_fixed_size: 0
    .sgpr_count:     6
    .sgpr_spill_count: 0
    .symbol:         _ZN7rocprim17ROCPRIM_400000_NS6detail17trampoline_kernelINS0_14default_configENS1_27scan_by_key_config_selectorIllEEZZNS1_16scan_by_key_implILNS1_25lookback_scan_determinismE0ELb0ES3_PKlN6hipcub16HIPCUB_304000_NS21ConstantInputIteratorIllEEPllNSB_3SumENSB_8EqualityElEE10hipError_tPvRmT2_T3_T4_T5_mT6_T7_P12ihipStream_tbENKUlT_T0_E_clISt17integral_constantIbLb1EESW_IbLb0EEEEDaSS_ST_EUlSS_E_NS1_11comp_targetILNS1_3genE10ELNS1_11target_archE1201ELNS1_3gpuE5ELNS1_3repE0EEENS1_30default_config_static_selectorELNS0_4arch9wavefront6targetE1EEEvT1_.kd
    .uniform_work_group_size: 1
    .uses_dynamic_stack: false
    .vgpr_count:     0
    .vgpr_spill_count: 0
    .wavefront_size: 64
  - .agpr_count:     0
    .args:
      - .offset:         0
        .size:           144
        .value_kind:     by_value
    .group_segment_fixed_size: 0
    .kernarg_segment_align: 8
    .kernarg_segment_size: 144
    .language:       OpenCL C
    .language_version:
      - 2
      - 0
    .max_flat_workgroup_size: 256
    .name:           _ZN7rocprim17ROCPRIM_400000_NS6detail17trampoline_kernelINS0_14default_configENS1_27scan_by_key_config_selectorIllEEZZNS1_16scan_by_key_implILNS1_25lookback_scan_determinismE0ELb0ES3_PKlN6hipcub16HIPCUB_304000_NS21ConstantInputIteratorIllEEPllNSB_3SumENSB_8EqualityElEE10hipError_tPvRmT2_T3_T4_T5_mT6_T7_P12ihipStream_tbENKUlT_T0_E_clISt17integral_constantIbLb1EESW_IbLb0EEEEDaSS_ST_EUlSS_E_NS1_11comp_targetILNS1_3genE5ELNS1_11target_archE942ELNS1_3gpuE9ELNS1_3repE0EEENS1_30default_config_static_selectorELNS0_4arch9wavefront6targetE1EEEvT1_
    .private_segment_fixed_size: 0
    .sgpr_count:     6
    .sgpr_spill_count: 0
    .symbol:         _ZN7rocprim17ROCPRIM_400000_NS6detail17trampoline_kernelINS0_14default_configENS1_27scan_by_key_config_selectorIllEEZZNS1_16scan_by_key_implILNS1_25lookback_scan_determinismE0ELb0ES3_PKlN6hipcub16HIPCUB_304000_NS21ConstantInputIteratorIllEEPllNSB_3SumENSB_8EqualityElEE10hipError_tPvRmT2_T3_T4_T5_mT6_T7_P12ihipStream_tbENKUlT_T0_E_clISt17integral_constantIbLb1EESW_IbLb0EEEEDaSS_ST_EUlSS_E_NS1_11comp_targetILNS1_3genE5ELNS1_11target_archE942ELNS1_3gpuE9ELNS1_3repE0EEENS1_30default_config_static_selectorELNS0_4arch9wavefront6targetE1EEEvT1_.kd
    .uniform_work_group_size: 1
    .uses_dynamic_stack: false
    .vgpr_count:     0
    .vgpr_spill_count: 0
    .wavefront_size: 64
  - .agpr_count:     0
    .args:
      - .offset:         0
        .size:           144
        .value_kind:     by_value
    .group_segment_fixed_size: 0
    .kernarg_segment_align: 8
    .kernarg_segment_size: 144
    .language:       OpenCL C
    .language_version:
      - 2
      - 0
    .max_flat_workgroup_size: 64
    .name:           _ZN7rocprim17ROCPRIM_400000_NS6detail17trampoline_kernelINS0_14default_configENS1_27scan_by_key_config_selectorIllEEZZNS1_16scan_by_key_implILNS1_25lookback_scan_determinismE0ELb0ES3_PKlN6hipcub16HIPCUB_304000_NS21ConstantInputIteratorIllEEPllNSB_3SumENSB_8EqualityElEE10hipError_tPvRmT2_T3_T4_T5_mT6_T7_P12ihipStream_tbENKUlT_T0_E_clISt17integral_constantIbLb1EESW_IbLb0EEEEDaSS_ST_EUlSS_E_NS1_11comp_targetILNS1_3genE4ELNS1_11target_archE910ELNS1_3gpuE8ELNS1_3repE0EEENS1_30default_config_static_selectorELNS0_4arch9wavefront6targetE1EEEvT1_
    .private_segment_fixed_size: 0
    .sgpr_count:     6
    .sgpr_spill_count: 0
    .symbol:         _ZN7rocprim17ROCPRIM_400000_NS6detail17trampoline_kernelINS0_14default_configENS1_27scan_by_key_config_selectorIllEEZZNS1_16scan_by_key_implILNS1_25lookback_scan_determinismE0ELb0ES3_PKlN6hipcub16HIPCUB_304000_NS21ConstantInputIteratorIllEEPllNSB_3SumENSB_8EqualityElEE10hipError_tPvRmT2_T3_T4_T5_mT6_T7_P12ihipStream_tbENKUlT_T0_E_clISt17integral_constantIbLb1EESW_IbLb0EEEEDaSS_ST_EUlSS_E_NS1_11comp_targetILNS1_3genE4ELNS1_11target_archE910ELNS1_3gpuE8ELNS1_3repE0EEENS1_30default_config_static_selectorELNS0_4arch9wavefront6targetE1EEEvT1_.kd
    .uniform_work_group_size: 1
    .uses_dynamic_stack: false
    .vgpr_count:     0
    .vgpr_spill_count: 0
    .wavefront_size: 64
  - .agpr_count:     0
    .args:
      - .offset:         0
        .size:           144
        .value_kind:     by_value
    .group_segment_fixed_size: 0
    .kernarg_segment_align: 8
    .kernarg_segment_size: 144
    .language:       OpenCL C
    .language_version:
      - 2
      - 0
    .max_flat_workgroup_size: 256
    .name:           _ZN7rocprim17ROCPRIM_400000_NS6detail17trampoline_kernelINS0_14default_configENS1_27scan_by_key_config_selectorIllEEZZNS1_16scan_by_key_implILNS1_25lookback_scan_determinismE0ELb0ES3_PKlN6hipcub16HIPCUB_304000_NS21ConstantInputIteratorIllEEPllNSB_3SumENSB_8EqualityElEE10hipError_tPvRmT2_T3_T4_T5_mT6_T7_P12ihipStream_tbENKUlT_T0_E_clISt17integral_constantIbLb1EESW_IbLb0EEEEDaSS_ST_EUlSS_E_NS1_11comp_targetILNS1_3genE3ELNS1_11target_archE908ELNS1_3gpuE7ELNS1_3repE0EEENS1_30default_config_static_selectorELNS0_4arch9wavefront6targetE1EEEvT1_
    .private_segment_fixed_size: 0
    .sgpr_count:     6
    .sgpr_spill_count: 0
    .symbol:         _ZN7rocprim17ROCPRIM_400000_NS6detail17trampoline_kernelINS0_14default_configENS1_27scan_by_key_config_selectorIllEEZZNS1_16scan_by_key_implILNS1_25lookback_scan_determinismE0ELb0ES3_PKlN6hipcub16HIPCUB_304000_NS21ConstantInputIteratorIllEEPllNSB_3SumENSB_8EqualityElEE10hipError_tPvRmT2_T3_T4_T5_mT6_T7_P12ihipStream_tbENKUlT_T0_E_clISt17integral_constantIbLb1EESW_IbLb0EEEEDaSS_ST_EUlSS_E_NS1_11comp_targetILNS1_3genE3ELNS1_11target_archE908ELNS1_3gpuE7ELNS1_3repE0EEENS1_30default_config_static_selectorELNS0_4arch9wavefront6targetE1EEEvT1_.kd
    .uniform_work_group_size: 1
    .uses_dynamic_stack: false
    .vgpr_count:     0
    .vgpr_spill_count: 0
    .wavefront_size: 64
  - .agpr_count:     0
    .args:
      - .offset:         0
        .size:           144
        .value_kind:     by_value
    .group_segment_fixed_size: 0
    .kernarg_segment_align: 8
    .kernarg_segment_size: 144
    .language:       OpenCL C
    .language_version:
      - 2
      - 0
    .max_flat_workgroup_size: 256
    .name:           _ZN7rocprim17ROCPRIM_400000_NS6detail17trampoline_kernelINS0_14default_configENS1_27scan_by_key_config_selectorIllEEZZNS1_16scan_by_key_implILNS1_25lookback_scan_determinismE0ELb0ES3_PKlN6hipcub16HIPCUB_304000_NS21ConstantInputIteratorIllEEPllNSB_3SumENSB_8EqualityElEE10hipError_tPvRmT2_T3_T4_T5_mT6_T7_P12ihipStream_tbENKUlT_T0_E_clISt17integral_constantIbLb1EESW_IbLb0EEEEDaSS_ST_EUlSS_E_NS1_11comp_targetILNS1_3genE2ELNS1_11target_archE906ELNS1_3gpuE6ELNS1_3repE0EEENS1_30default_config_static_selectorELNS0_4arch9wavefront6targetE1EEEvT1_
    .private_segment_fixed_size: 0
    .sgpr_count:     6
    .sgpr_spill_count: 0
    .symbol:         _ZN7rocprim17ROCPRIM_400000_NS6detail17trampoline_kernelINS0_14default_configENS1_27scan_by_key_config_selectorIllEEZZNS1_16scan_by_key_implILNS1_25lookback_scan_determinismE0ELb0ES3_PKlN6hipcub16HIPCUB_304000_NS21ConstantInputIteratorIllEEPllNSB_3SumENSB_8EqualityElEE10hipError_tPvRmT2_T3_T4_T5_mT6_T7_P12ihipStream_tbENKUlT_T0_E_clISt17integral_constantIbLb1EESW_IbLb0EEEEDaSS_ST_EUlSS_E_NS1_11comp_targetILNS1_3genE2ELNS1_11target_archE906ELNS1_3gpuE6ELNS1_3repE0EEENS1_30default_config_static_selectorELNS0_4arch9wavefront6targetE1EEEvT1_.kd
    .uniform_work_group_size: 1
    .uses_dynamic_stack: false
    .vgpr_count:     0
    .vgpr_spill_count: 0
    .wavefront_size: 64
  - .agpr_count:     0
    .args:
      - .offset:         0
        .size:           144
        .value_kind:     by_value
    .group_segment_fixed_size: 0
    .kernarg_segment_align: 8
    .kernarg_segment_size: 144
    .language:       OpenCL C
    .language_version:
      - 2
      - 0
    .max_flat_workgroup_size: 256
    .name:           _ZN7rocprim17ROCPRIM_400000_NS6detail17trampoline_kernelINS0_14default_configENS1_27scan_by_key_config_selectorIllEEZZNS1_16scan_by_key_implILNS1_25lookback_scan_determinismE0ELb0ES3_PKlN6hipcub16HIPCUB_304000_NS21ConstantInputIteratorIllEEPllNSB_3SumENSB_8EqualityElEE10hipError_tPvRmT2_T3_T4_T5_mT6_T7_P12ihipStream_tbENKUlT_T0_E_clISt17integral_constantIbLb1EESW_IbLb0EEEEDaSS_ST_EUlSS_E_NS1_11comp_targetILNS1_3genE10ELNS1_11target_archE1200ELNS1_3gpuE4ELNS1_3repE0EEENS1_30default_config_static_selectorELNS0_4arch9wavefront6targetE1EEEvT1_
    .private_segment_fixed_size: 0
    .sgpr_count:     6
    .sgpr_spill_count: 0
    .symbol:         _ZN7rocprim17ROCPRIM_400000_NS6detail17trampoline_kernelINS0_14default_configENS1_27scan_by_key_config_selectorIllEEZZNS1_16scan_by_key_implILNS1_25lookback_scan_determinismE0ELb0ES3_PKlN6hipcub16HIPCUB_304000_NS21ConstantInputIteratorIllEEPllNSB_3SumENSB_8EqualityElEE10hipError_tPvRmT2_T3_T4_T5_mT6_T7_P12ihipStream_tbENKUlT_T0_E_clISt17integral_constantIbLb1EESW_IbLb0EEEEDaSS_ST_EUlSS_E_NS1_11comp_targetILNS1_3genE10ELNS1_11target_archE1200ELNS1_3gpuE4ELNS1_3repE0EEENS1_30default_config_static_selectorELNS0_4arch9wavefront6targetE1EEEvT1_.kd
    .uniform_work_group_size: 1
    .uses_dynamic_stack: false
    .vgpr_count:     0
    .vgpr_spill_count: 0
    .wavefront_size: 64
  - .agpr_count:     0
    .args:
      - .offset:         0
        .size:           144
        .value_kind:     by_value
    .group_segment_fixed_size: 0
    .kernarg_segment_align: 8
    .kernarg_segment_size: 144
    .language:       OpenCL C
    .language_version:
      - 2
      - 0
    .max_flat_workgroup_size: 256
    .name:           _ZN7rocprim17ROCPRIM_400000_NS6detail17trampoline_kernelINS0_14default_configENS1_27scan_by_key_config_selectorIllEEZZNS1_16scan_by_key_implILNS1_25lookback_scan_determinismE0ELb0ES3_PKlN6hipcub16HIPCUB_304000_NS21ConstantInputIteratorIllEEPllNSB_3SumENSB_8EqualityElEE10hipError_tPvRmT2_T3_T4_T5_mT6_T7_P12ihipStream_tbENKUlT_T0_E_clISt17integral_constantIbLb1EESW_IbLb0EEEEDaSS_ST_EUlSS_E_NS1_11comp_targetILNS1_3genE9ELNS1_11target_archE1100ELNS1_3gpuE3ELNS1_3repE0EEENS1_30default_config_static_selectorELNS0_4arch9wavefront6targetE1EEEvT1_
    .private_segment_fixed_size: 0
    .sgpr_count:     6
    .sgpr_spill_count: 0
    .symbol:         _ZN7rocprim17ROCPRIM_400000_NS6detail17trampoline_kernelINS0_14default_configENS1_27scan_by_key_config_selectorIllEEZZNS1_16scan_by_key_implILNS1_25lookback_scan_determinismE0ELb0ES3_PKlN6hipcub16HIPCUB_304000_NS21ConstantInputIteratorIllEEPllNSB_3SumENSB_8EqualityElEE10hipError_tPvRmT2_T3_T4_T5_mT6_T7_P12ihipStream_tbENKUlT_T0_E_clISt17integral_constantIbLb1EESW_IbLb0EEEEDaSS_ST_EUlSS_E_NS1_11comp_targetILNS1_3genE9ELNS1_11target_archE1100ELNS1_3gpuE3ELNS1_3repE0EEENS1_30default_config_static_selectorELNS0_4arch9wavefront6targetE1EEEvT1_.kd
    .uniform_work_group_size: 1
    .uses_dynamic_stack: false
    .vgpr_count:     0
    .vgpr_spill_count: 0
    .wavefront_size: 64
  - .agpr_count:     0
    .args:
      - .offset:         0
        .size:           144
        .value_kind:     by_value
    .group_segment_fixed_size: 0
    .kernarg_segment_align: 8
    .kernarg_segment_size: 144
    .language:       OpenCL C
    .language_version:
      - 2
      - 0
    .max_flat_workgroup_size: 256
    .name:           _ZN7rocprim17ROCPRIM_400000_NS6detail17trampoline_kernelINS0_14default_configENS1_27scan_by_key_config_selectorIllEEZZNS1_16scan_by_key_implILNS1_25lookback_scan_determinismE0ELb0ES3_PKlN6hipcub16HIPCUB_304000_NS21ConstantInputIteratorIllEEPllNSB_3SumENSB_8EqualityElEE10hipError_tPvRmT2_T3_T4_T5_mT6_T7_P12ihipStream_tbENKUlT_T0_E_clISt17integral_constantIbLb1EESW_IbLb0EEEEDaSS_ST_EUlSS_E_NS1_11comp_targetILNS1_3genE8ELNS1_11target_archE1030ELNS1_3gpuE2ELNS1_3repE0EEENS1_30default_config_static_selectorELNS0_4arch9wavefront6targetE1EEEvT1_
    .private_segment_fixed_size: 0
    .sgpr_count:     6
    .sgpr_spill_count: 0
    .symbol:         _ZN7rocprim17ROCPRIM_400000_NS6detail17trampoline_kernelINS0_14default_configENS1_27scan_by_key_config_selectorIllEEZZNS1_16scan_by_key_implILNS1_25lookback_scan_determinismE0ELb0ES3_PKlN6hipcub16HIPCUB_304000_NS21ConstantInputIteratorIllEEPllNSB_3SumENSB_8EqualityElEE10hipError_tPvRmT2_T3_T4_T5_mT6_T7_P12ihipStream_tbENKUlT_T0_E_clISt17integral_constantIbLb1EESW_IbLb0EEEEDaSS_ST_EUlSS_E_NS1_11comp_targetILNS1_3genE8ELNS1_11target_archE1030ELNS1_3gpuE2ELNS1_3repE0EEENS1_30default_config_static_selectorELNS0_4arch9wavefront6targetE1EEEvT1_.kd
    .uniform_work_group_size: 1
    .uses_dynamic_stack: false
    .vgpr_count:     0
    .vgpr_spill_count: 0
    .wavefront_size: 64
  - .agpr_count:     0
    .args:
      - .offset:         0
        .size:           24
        .value_kind:     by_value
      - .offset:         24
        .size:           4
        .value_kind:     by_value
      - .offset:         28
        .size:           4
        .value_kind:     by_value
      - .address_space:  global
        .offset:         32
        .size:           8
        .value_kind:     global_buffer
      - .address_space:  global
        .offset:         40
        .size:           8
        .value_kind:     global_buffer
      - .actual_access:  write_only
        .address_space:  global
        .offset:         48
        .size:           8
        .value_kind:     global_buffer
      - .offset:         56
        .size:           8
        .value_kind:     by_value
      - .offset:         64
        .size:           4
        .value_kind:     by_value
      - .address_space:  global
        .offset:         72
        .size:           8
        .value_kind:     global_buffer
      - .offset:         80
        .size:           4
        .value_kind:     hidden_block_count_x
      - .offset:         84
        .size:           4
        .value_kind:     hidden_block_count_y
      - .offset:         88
        .size:           4
        .value_kind:     hidden_block_count_z
      - .offset:         92
        .size:           2
        .value_kind:     hidden_group_size_x
      - .offset:         94
        .size:           2
        .value_kind:     hidden_group_size_y
      - .offset:         96
        .size:           2
        .value_kind:     hidden_group_size_z
      - .offset:         98
        .size:           2
        .value_kind:     hidden_remainder_x
      - .offset:         100
        .size:           2
        .value_kind:     hidden_remainder_y
      - .offset:         102
        .size:           2
        .value_kind:     hidden_remainder_z
      - .offset:         120
        .size:           8
        .value_kind:     hidden_global_offset_x
      - .offset:         128
        .size:           8
        .value_kind:     hidden_global_offset_y
      - .offset:         136
        .size:           8
        .value_kind:     hidden_global_offset_z
      - .offset:         144
        .size:           2
        .value_kind:     hidden_grid_dims
    .group_segment_fixed_size: 0
    .kernarg_segment_align: 8
    .kernarg_segment_size: 336
    .language:       OpenCL C
    .language_version:
      - 2
      - 0
    .max_flat_workgroup_size: 256
    .name:           _ZN7rocprim17ROCPRIM_400000_NS6detail30init_device_scan_by_key_kernelINS1_19lookback_scan_stateINS0_5tupleIJlbEEELb0ELb0EEEPKljNS1_16block_id_wrapperIjLb1EEEEEvT_jjPNSB_10value_typeET0_PNSt15iterator_traitsISE_E10value_typeEmT1_T2_
    .private_segment_fixed_size: 0
    .sgpr_count:     30
    .sgpr_spill_count: 0
    .symbol:         _ZN7rocprim17ROCPRIM_400000_NS6detail30init_device_scan_by_key_kernelINS1_19lookback_scan_stateINS0_5tupleIJlbEEELb0ELb0EEEPKljNS1_16block_id_wrapperIjLb1EEEEEvT_jjPNSB_10value_typeET0_PNSt15iterator_traitsISE_E10value_typeEmT1_T2_.kd
    .uniform_work_group_size: 1
    .uses_dynamic_stack: false
    .vgpr_count:     8
    .vgpr_spill_count: 0
    .wavefront_size: 64
  - .agpr_count:     0
    .args:
      - .offset:         0
        .size:           24
        .value_kind:     by_value
      - .offset:         24
        .size:           4
        .value_kind:     by_value
      - .offset:         28
        .size:           4
        .value_kind:     by_value
      - .address_space:  global
        .offset:         32
        .size:           8
        .value_kind:     global_buffer
      - .address_space:  global
        .offset:         40
        .size:           8
        .value_kind:     global_buffer
      - .offset:         48
        .size:           4
        .value_kind:     hidden_block_count_x
      - .offset:         52
        .size:           4
        .value_kind:     hidden_block_count_y
      - .offset:         56
        .size:           4
        .value_kind:     hidden_block_count_z
      - .offset:         60
        .size:           2
        .value_kind:     hidden_group_size_x
      - .offset:         62
        .size:           2
        .value_kind:     hidden_group_size_y
      - .offset:         64
        .size:           2
        .value_kind:     hidden_group_size_z
      - .offset:         66
        .size:           2
        .value_kind:     hidden_remainder_x
      - .offset:         68
        .size:           2
        .value_kind:     hidden_remainder_y
      - .offset:         70
        .size:           2
        .value_kind:     hidden_remainder_z
      - .offset:         88
        .size:           8
        .value_kind:     hidden_global_offset_x
      - .offset:         96
        .size:           8
        .value_kind:     hidden_global_offset_y
      - .offset:         104
        .size:           8
        .value_kind:     hidden_global_offset_z
      - .offset:         112
        .size:           2
        .value_kind:     hidden_grid_dims
    .group_segment_fixed_size: 0
    .kernarg_segment_align: 8
    .kernarg_segment_size: 304
    .language:       OpenCL C
    .language_version:
      - 2
      - 0
    .max_flat_workgroup_size: 256
    .name:           _ZN7rocprim17ROCPRIM_400000_NS6detail30init_device_scan_by_key_kernelINS1_19lookback_scan_stateINS0_5tupleIJlbEEELb0ELb0EEENS1_16block_id_wrapperIjLb1EEEEEvT_jjPNS9_10value_typeET0_
    .private_segment_fixed_size: 0
    .sgpr_count:     26
    .sgpr_spill_count: 0
    .symbol:         _ZN7rocprim17ROCPRIM_400000_NS6detail30init_device_scan_by_key_kernelINS1_19lookback_scan_stateINS0_5tupleIJlbEEELb0ELb0EEENS1_16block_id_wrapperIjLb1EEEEEvT_jjPNS9_10value_typeET0_.kd
    .uniform_work_group_size: 1
    .uses_dynamic_stack: false
    .vgpr_count:     6
    .vgpr_spill_count: 0
    .wavefront_size: 64
  - .agpr_count:     0
    .args:
      - .offset:         0
        .size:           144
        .value_kind:     by_value
    .group_segment_fixed_size: 32768
    .kernarg_segment_align: 8
    .kernarg_segment_size: 144
    .language:       OpenCL C
    .language_version:
      - 2
      - 0
    .max_flat_workgroup_size: 256
    .name:           _ZN7rocprim17ROCPRIM_400000_NS6detail17trampoline_kernelINS0_14default_configENS1_27scan_by_key_config_selectorIllEEZZNS1_16scan_by_key_implILNS1_25lookback_scan_determinismE0ELb0ES3_PKlN6hipcub16HIPCUB_304000_NS21ConstantInputIteratorIllEEPllNSB_3SumENSB_8EqualityElEE10hipError_tPvRmT2_T3_T4_T5_mT6_T7_P12ihipStream_tbENKUlT_T0_E_clISt17integral_constantIbLb0EESW_IbLb1EEEEDaSS_ST_EUlSS_E_NS1_11comp_targetILNS1_3genE0ELNS1_11target_archE4294967295ELNS1_3gpuE0ELNS1_3repE0EEENS1_30default_config_static_selectorELNS0_4arch9wavefront6targetE1EEEvT1_
    .private_segment_fixed_size: 0
    .sgpr_count:     77
    .sgpr_spill_count: 0
    .symbol:         _ZN7rocprim17ROCPRIM_400000_NS6detail17trampoline_kernelINS0_14default_configENS1_27scan_by_key_config_selectorIllEEZZNS1_16scan_by_key_implILNS1_25lookback_scan_determinismE0ELb0ES3_PKlN6hipcub16HIPCUB_304000_NS21ConstantInputIteratorIllEEPllNSB_3SumENSB_8EqualityElEE10hipError_tPvRmT2_T3_T4_T5_mT6_T7_P12ihipStream_tbENKUlT_T0_E_clISt17integral_constantIbLb0EESW_IbLb1EEEEDaSS_ST_EUlSS_E_NS1_11comp_targetILNS1_3genE0ELNS1_11target_archE4294967295ELNS1_3gpuE0ELNS1_3repE0EEENS1_30default_config_static_selectorELNS0_4arch9wavefront6targetE1EEEvT1_.kd
    .uniform_work_group_size: 1
    .uses_dynamic_stack: false
    .vgpr_count:     110
    .vgpr_spill_count: 0
    .wavefront_size: 64
  - .agpr_count:     0
    .args:
      - .offset:         0
        .size:           144
        .value_kind:     by_value
    .group_segment_fixed_size: 0
    .kernarg_segment_align: 8
    .kernarg_segment_size: 144
    .language:       OpenCL C
    .language_version:
      - 2
      - 0
    .max_flat_workgroup_size: 256
    .name:           _ZN7rocprim17ROCPRIM_400000_NS6detail17trampoline_kernelINS0_14default_configENS1_27scan_by_key_config_selectorIllEEZZNS1_16scan_by_key_implILNS1_25lookback_scan_determinismE0ELb0ES3_PKlN6hipcub16HIPCUB_304000_NS21ConstantInputIteratorIllEEPllNSB_3SumENSB_8EqualityElEE10hipError_tPvRmT2_T3_T4_T5_mT6_T7_P12ihipStream_tbENKUlT_T0_E_clISt17integral_constantIbLb0EESW_IbLb1EEEEDaSS_ST_EUlSS_E_NS1_11comp_targetILNS1_3genE10ELNS1_11target_archE1201ELNS1_3gpuE5ELNS1_3repE0EEENS1_30default_config_static_selectorELNS0_4arch9wavefront6targetE1EEEvT1_
    .private_segment_fixed_size: 0
    .sgpr_count:     6
    .sgpr_spill_count: 0
    .symbol:         _ZN7rocprim17ROCPRIM_400000_NS6detail17trampoline_kernelINS0_14default_configENS1_27scan_by_key_config_selectorIllEEZZNS1_16scan_by_key_implILNS1_25lookback_scan_determinismE0ELb0ES3_PKlN6hipcub16HIPCUB_304000_NS21ConstantInputIteratorIllEEPllNSB_3SumENSB_8EqualityElEE10hipError_tPvRmT2_T3_T4_T5_mT6_T7_P12ihipStream_tbENKUlT_T0_E_clISt17integral_constantIbLb0EESW_IbLb1EEEEDaSS_ST_EUlSS_E_NS1_11comp_targetILNS1_3genE10ELNS1_11target_archE1201ELNS1_3gpuE5ELNS1_3repE0EEENS1_30default_config_static_selectorELNS0_4arch9wavefront6targetE1EEEvT1_.kd
    .uniform_work_group_size: 1
    .uses_dynamic_stack: false
    .vgpr_count:     0
    .vgpr_spill_count: 0
    .wavefront_size: 64
  - .agpr_count:     0
    .args:
      - .offset:         0
        .size:           144
        .value_kind:     by_value
    .group_segment_fixed_size: 0
    .kernarg_segment_align: 8
    .kernarg_segment_size: 144
    .language:       OpenCL C
    .language_version:
      - 2
      - 0
    .max_flat_workgroup_size: 256
    .name:           _ZN7rocprim17ROCPRIM_400000_NS6detail17trampoline_kernelINS0_14default_configENS1_27scan_by_key_config_selectorIllEEZZNS1_16scan_by_key_implILNS1_25lookback_scan_determinismE0ELb0ES3_PKlN6hipcub16HIPCUB_304000_NS21ConstantInputIteratorIllEEPllNSB_3SumENSB_8EqualityElEE10hipError_tPvRmT2_T3_T4_T5_mT6_T7_P12ihipStream_tbENKUlT_T0_E_clISt17integral_constantIbLb0EESW_IbLb1EEEEDaSS_ST_EUlSS_E_NS1_11comp_targetILNS1_3genE5ELNS1_11target_archE942ELNS1_3gpuE9ELNS1_3repE0EEENS1_30default_config_static_selectorELNS0_4arch9wavefront6targetE1EEEvT1_
    .private_segment_fixed_size: 0
    .sgpr_count:     6
    .sgpr_spill_count: 0
    .symbol:         _ZN7rocprim17ROCPRIM_400000_NS6detail17trampoline_kernelINS0_14default_configENS1_27scan_by_key_config_selectorIllEEZZNS1_16scan_by_key_implILNS1_25lookback_scan_determinismE0ELb0ES3_PKlN6hipcub16HIPCUB_304000_NS21ConstantInputIteratorIllEEPllNSB_3SumENSB_8EqualityElEE10hipError_tPvRmT2_T3_T4_T5_mT6_T7_P12ihipStream_tbENKUlT_T0_E_clISt17integral_constantIbLb0EESW_IbLb1EEEEDaSS_ST_EUlSS_E_NS1_11comp_targetILNS1_3genE5ELNS1_11target_archE942ELNS1_3gpuE9ELNS1_3repE0EEENS1_30default_config_static_selectorELNS0_4arch9wavefront6targetE1EEEvT1_.kd
    .uniform_work_group_size: 1
    .uses_dynamic_stack: false
    .vgpr_count:     0
    .vgpr_spill_count: 0
    .wavefront_size: 64
  - .agpr_count:     0
    .args:
      - .offset:         0
        .size:           144
        .value_kind:     by_value
    .group_segment_fixed_size: 0
    .kernarg_segment_align: 8
    .kernarg_segment_size: 144
    .language:       OpenCL C
    .language_version:
      - 2
      - 0
    .max_flat_workgroup_size: 64
    .name:           _ZN7rocprim17ROCPRIM_400000_NS6detail17trampoline_kernelINS0_14default_configENS1_27scan_by_key_config_selectorIllEEZZNS1_16scan_by_key_implILNS1_25lookback_scan_determinismE0ELb0ES3_PKlN6hipcub16HIPCUB_304000_NS21ConstantInputIteratorIllEEPllNSB_3SumENSB_8EqualityElEE10hipError_tPvRmT2_T3_T4_T5_mT6_T7_P12ihipStream_tbENKUlT_T0_E_clISt17integral_constantIbLb0EESW_IbLb1EEEEDaSS_ST_EUlSS_E_NS1_11comp_targetILNS1_3genE4ELNS1_11target_archE910ELNS1_3gpuE8ELNS1_3repE0EEENS1_30default_config_static_selectorELNS0_4arch9wavefront6targetE1EEEvT1_
    .private_segment_fixed_size: 0
    .sgpr_count:     6
    .sgpr_spill_count: 0
    .symbol:         _ZN7rocprim17ROCPRIM_400000_NS6detail17trampoline_kernelINS0_14default_configENS1_27scan_by_key_config_selectorIllEEZZNS1_16scan_by_key_implILNS1_25lookback_scan_determinismE0ELb0ES3_PKlN6hipcub16HIPCUB_304000_NS21ConstantInputIteratorIllEEPllNSB_3SumENSB_8EqualityElEE10hipError_tPvRmT2_T3_T4_T5_mT6_T7_P12ihipStream_tbENKUlT_T0_E_clISt17integral_constantIbLb0EESW_IbLb1EEEEDaSS_ST_EUlSS_E_NS1_11comp_targetILNS1_3genE4ELNS1_11target_archE910ELNS1_3gpuE8ELNS1_3repE0EEENS1_30default_config_static_selectorELNS0_4arch9wavefront6targetE1EEEvT1_.kd
    .uniform_work_group_size: 1
    .uses_dynamic_stack: false
    .vgpr_count:     0
    .vgpr_spill_count: 0
    .wavefront_size: 64
  - .agpr_count:     0
    .args:
      - .offset:         0
        .size:           144
        .value_kind:     by_value
    .group_segment_fixed_size: 0
    .kernarg_segment_align: 8
    .kernarg_segment_size: 144
    .language:       OpenCL C
    .language_version:
      - 2
      - 0
    .max_flat_workgroup_size: 256
    .name:           _ZN7rocprim17ROCPRIM_400000_NS6detail17trampoline_kernelINS0_14default_configENS1_27scan_by_key_config_selectorIllEEZZNS1_16scan_by_key_implILNS1_25lookback_scan_determinismE0ELb0ES3_PKlN6hipcub16HIPCUB_304000_NS21ConstantInputIteratorIllEEPllNSB_3SumENSB_8EqualityElEE10hipError_tPvRmT2_T3_T4_T5_mT6_T7_P12ihipStream_tbENKUlT_T0_E_clISt17integral_constantIbLb0EESW_IbLb1EEEEDaSS_ST_EUlSS_E_NS1_11comp_targetILNS1_3genE3ELNS1_11target_archE908ELNS1_3gpuE7ELNS1_3repE0EEENS1_30default_config_static_selectorELNS0_4arch9wavefront6targetE1EEEvT1_
    .private_segment_fixed_size: 0
    .sgpr_count:     6
    .sgpr_spill_count: 0
    .symbol:         _ZN7rocprim17ROCPRIM_400000_NS6detail17trampoline_kernelINS0_14default_configENS1_27scan_by_key_config_selectorIllEEZZNS1_16scan_by_key_implILNS1_25lookback_scan_determinismE0ELb0ES3_PKlN6hipcub16HIPCUB_304000_NS21ConstantInputIteratorIllEEPllNSB_3SumENSB_8EqualityElEE10hipError_tPvRmT2_T3_T4_T5_mT6_T7_P12ihipStream_tbENKUlT_T0_E_clISt17integral_constantIbLb0EESW_IbLb1EEEEDaSS_ST_EUlSS_E_NS1_11comp_targetILNS1_3genE3ELNS1_11target_archE908ELNS1_3gpuE7ELNS1_3repE0EEENS1_30default_config_static_selectorELNS0_4arch9wavefront6targetE1EEEvT1_.kd
    .uniform_work_group_size: 1
    .uses_dynamic_stack: false
    .vgpr_count:     0
    .vgpr_spill_count: 0
    .wavefront_size: 64
  - .agpr_count:     0
    .args:
      - .offset:         0
        .size:           144
        .value_kind:     by_value
    .group_segment_fixed_size: 0
    .kernarg_segment_align: 8
    .kernarg_segment_size: 144
    .language:       OpenCL C
    .language_version:
      - 2
      - 0
    .max_flat_workgroup_size: 256
    .name:           _ZN7rocprim17ROCPRIM_400000_NS6detail17trampoline_kernelINS0_14default_configENS1_27scan_by_key_config_selectorIllEEZZNS1_16scan_by_key_implILNS1_25lookback_scan_determinismE0ELb0ES3_PKlN6hipcub16HIPCUB_304000_NS21ConstantInputIteratorIllEEPllNSB_3SumENSB_8EqualityElEE10hipError_tPvRmT2_T3_T4_T5_mT6_T7_P12ihipStream_tbENKUlT_T0_E_clISt17integral_constantIbLb0EESW_IbLb1EEEEDaSS_ST_EUlSS_E_NS1_11comp_targetILNS1_3genE2ELNS1_11target_archE906ELNS1_3gpuE6ELNS1_3repE0EEENS1_30default_config_static_selectorELNS0_4arch9wavefront6targetE1EEEvT1_
    .private_segment_fixed_size: 0
    .sgpr_count:     6
    .sgpr_spill_count: 0
    .symbol:         _ZN7rocprim17ROCPRIM_400000_NS6detail17trampoline_kernelINS0_14default_configENS1_27scan_by_key_config_selectorIllEEZZNS1_16scan_by_key_implILNS1_25lookback_scan_determinismE0ELb0ES3_PKlN6hipcub16HIPCUB_304000_NS21ConstantInputIteratorIllEEPllNSB_3SumENSB_8EqualityElEE10hipError_tPvRmT2_T3_T4_T5_mT6_T7_P12ihipStream_tbENKUlT_T0_E_clISt17integral_constantIbLb0EESW_IbLb1EEEEDaSS_ST_EUlSS_E_NS1_11comp_targetILNS1_3genE2ELNS1_11target_archE906ELNS1_3gpuE6ELNS1_3repE0EEENS1_30default_config_static_selectorELNS0_4arch9wavefront6targetE1EEEvT1_.kd
    .uniform_work_group_size: 1
    .uses_dynamic_stack: false
    .vgpr_count:     0
    .vgpr_spill_count: 0
    .wavefront_size: 64
  - .agpr_count:     0
    .args:
      - .offset:         0
        .size:           144
        .value_kind:     by_value
    .group_segment_fixed_size: 0
    .kernarg_segment_align: 8
    .kernarg_segment_size: 144
    .language:       OpenCL C
    .language_version:
      - 2
      - 0
    .max_flat_workgroup_size: 256
    .name:           _ZN7rocprim17ROCPRIM_400000_NS6detail17trampoline_kernelINS0_14default_configENS1_27scan_by_key_config_selectorIllEEZZNS1_16scan_by_key_implILNS1_25lookback_scan_determinismE0ELb0ES3_PKlN6hipcub16HIPCUB_304000_NS21ConstantInputIteratorIllEEPllNSB_3SumENSB_8EqualityElEE10hipError_tPvRmT2_T3_T4_T5_mT6_T7_P12ihipStream_tbENKUlT_T0_E_clISt17integral_constantIbLb0EESW_IbLb1EEEEDaSS_ST_EUlSS_E_NS1_11comp_targetILNS1_3genE10ELNS1_11target_archE1200ELNS1_3gpuE4ELNS1_3repE0EEENS1_30default_config_static_selectorELNS0_4arch9wavefront6targetE1EEEvT1_
    .private_segment_fixed_size: 0
    .sgpr_count:     6
    .sgpr_spill_count: 0
    .symbol:         _ZN7rocprim17ROCPRIM_400000_NS6detail17trampoline_kernelINS0_14default_configENS1_27scan_by_key_config_selectorIllEEZZNS1_16scan_by_key_implILNS1_25lookback_scan_determinismE0ELb0ES3_PKlN6hipcub16HIPCUB_304000_NS21ConstantInputIteratorIllEEPllNSB_3SumENSB_8EqualityElEE10hipError_tPvRmT2_T3_T4_T5_mT6_T7_P12ihipStream_tbENKUlT_T0_E_clISt17integral_constantIbLb0EESW_IbLb1EEEEDaSS_ST_EUlSS_E_NS1_11comp_targetILNS1_3genE10ELNS1_11target_archE1200ELNS1_3gpuE4ELNS1_3repE0EEENS1_30default_config_static_selectorELNS0_4arch9wavefront6targetE1EEEvT1_.kd
    .uniform_work_group_size: 1
    .uses_dynamic_stack: false
    .vgpr_count:     0
    .vgpr_spill_count: 0
    .wavefront_size: 64
  - .agpr_count:     0
    .args:
      - .offset:         0
        .size:           144
        .value_kind:     by_value
    .group_segment_fixed_size: 0
    .kernarg_segment_align: 8
    .kernarg_segment_size: 144
    .language:       OpenCL C
    .language_version:
      - 2
      - 0
    .max_flat_workgroup_size: 256
    .name:           _ZN7rocprim17ROCPRIM_400000_NS6detail17trampoline_kernelINS0_14default_configENS1_27scan_by_key_config_selectorIllEEZZNS1_16scan_by_key_implILNS1_25lookback_scan_determinismE0ELb0ES3_PKlN6hipcub16HIPCUB_304000_NS21ConstantInputIteratorIllEEPllNSB_3SumENSB_8EqualityElEE10hipError_tPvRmT2_T3_T4_T5_mT6_T7_P12ihipStream_tbENKUlT_T0_E_clISt17integral_constantIbLb0EESW_IbLb1EEEEDaSS_ST_EUlSS_E_NS1_11comp_targetILNS1_3genE9ELNS1_11target_archE1100ELNS1_3gpuE3ELNS1_3repE0EEENS1_30default_config_static_selectorELNS0_4arch9wavefront6targetE1EEEvT1_
    .private_segment_fixed_size: 0
    .sgpr_count:     6
    .sgpr_spill_count: 0
    .symbol:         _ZN7rocprim17ROCPRIM_400000_NS6detail17trampoline_kernelINS0_14default_configENS1_27scan_by_key_config_selectorIllEEZZNS1_16scan_by_key_implILNS1_25lookback_scan_determinismE0ELb0ES3_PKlN6hipcub16HIPCUB_304000_NS21ConstantInputIteratorIllEEPllNSB_3SumENSB_8EqualityElEE10hipError_tPvRmT2_T3_T4_T5_mT6_T7_P12ihipStream_tbENKUlT_T0_E_clISt17integral_constantIbLb0EESW_IbLb1EEEEDaSS_ST_EUlSS_E_NS1_11comp_targetILNS1_3genE9ELNS1_11target_archE1100ELNS1_3gpuE3ELNS1_3repE0EEENS1_30default_config_static_selectorELNS0_4arch9wavefront6targetE1EEEvT1_.kd
    .uniform_work_group_size: 1
    .uses_dynamic_stack: false
    .vgpr_count:     0
    .vgpr_spill_count: 0
    .wavefront_size: 64
  - .agpr_count:     0
    .args:
      - .offset:         0
        .size:           144
        .value_kind:     by_value
    .group_segment_fixed_size: 0
    .kernarg_segment_align: 8
    .kernarg_segment_size: 144
    .language:       OpenCL C
    .language_version:
      - 2
      - 0
    .max_flat_workgroup_size: 256
    .name:           _ZN7rocprim17ROCPRIM_400000_NS6detail17trampoline_kernelINS0_14default_configENS1_27scan_by_key_config_selectorIllEEZZNS1_16scan_by_key_implILNS1_25lookback_scan_determinismE0ELb0ES3_PKlN6hipcub16HIPCUB_304000_NS21ConstantInputIteratorIllEEPllNSB_3SumENSB_8EqualityElEE10hipError_tPvRmT2_T3_T4_T5_mT6_T7_P12ihipStream_tbENKUlT_T0_E_clISt17integral_constantIbLb0EESW_IbLb1EEEEDaSS_ST_EUlSS_E_NS1_11comp_targetILNS1_3genE8ELNS1_11target_archE1030ELNS1_3gpuE2ELNS1_3repE0EEENS1_30default_config_static_selectorELNS0_4arch9wavefront6targetE1EEEvT1_
    .private_segment_fixed_size: 0
    .sgpr_count:     6
    .sgpr_spill_count: 0
    .symbol:         _ZN7rocprim17ROCPRIM_400000_NS6detail17trampoline_kernelINS0_14default_configENS1_27scan_by_key_config_selectorIllEEZZNS1_16scan_by_key_implILNS1_25lookback_scan_determinismE0ELb0ES3_PKlN6hipcub16HIPCUB_304000_NS21ConstantInputIteratorIllEEPllNSB_3SumENSB_8EqualityElEE10hipError_tPvRmT2_T3_T4_T5_mT6_T7_P12ihipStream_tbENKUlT_T0_E_clISt17integral_constantIbLb0EESW_IbLb1EEEEDaSS_ST_EUlSS_E_NS1_11comp_targetILNS1_3genE8ELNS1_11target_archE1030ELNS1_3gpuE2ELNS1_3repE0EEENS1_30default_config_static_selectorELNS0_4arch9wavefront6targetE1EEEvT1_.kd
    .uniform_work_group_size: 1
    .uses_dynamic_stack: false
    .vgpr_count:     0
    .vgpr_spill_count: 0
    .wavefront_size: 64
  - .agpr_count:     0
    .args:
      - .offset:         0
        .size:           24
        .value_kind:     by_value
      - .offset:         24
        .size:           4
        .value_kind:     by_value
      - .offset:         28
        .size:           4
        .value_kind:     by_value
      - .address_space:  global
        .offset:         32
        .size:           8
        .value_kind:     global_buffer
      - .address_space:  global
        .offset:         40
        .size:           8
        .value_kind:     global_buffer
      - .actual_access:  write_only
        .address_space:  global
        .offset:         48
        .size:           8
        .value_kind:     global_buffer
      - .offset:         56
        .size:           8
        .value_kind:     by_value
      - .offset:         64
        .size:           4
        .value_kind:     by_value
      - .offset:         68
        .size:           1
        .value_kind:     by_value
      - .offset:         72
        .size:           4
        .value_kind:     hidden_block_count_x
      - .offset:         76
        .size:           4
        .value_kind:     hidden_block_count_y
      - .offset:         80
        .size:           4
        .value_kind:     hidden_block_count_z
      - .offset:         84
        .size:           2
        .value_kind:     hidden_group_size_x
      - .offset:         86
        .size:           2
        .value_kind:     hidden_group_size_y
      - .offset:         88
        .size:           2
        .value_kind:     hidden_group_size_z
      - .offset:         90
        .size:           2
        .value_kind:     hidden_remainder_x
      - .offset:         92
        .size:           2
        .value_kind:     hidden_remainder_y
      - .offset:         94
        .size:           2
        .value_kind:     hidden_remainder_z
      - .offset:         112
        .size:           8
        .value_kind:     hidden_global_offset_x
      - .offset:         120
        .size:           8
        .value_kind:     hidden_global_offset_y
      - .offset:         128
        .size:           8
        .value_kind:     hidden_global_offset_z
      - .offset:         136
        .size:           2
        .value_kind:     hidden_grid_dims
    .group_segment_fixed_size: 0
    .kernarg_segment_align: 8
    .kernarg_segment_size: 328
    .language:       OpenCL C
    .language_version:
      - 2
      - 0
    .max_flat_workgroup_size: 256
    .name:           _ZN7rocprim17ROCPRIM_400000_NS6detail30init_device_scan_by_key_kernelINS1_19lookback_scan_stateINS0_5tupleIJlbEEELb0ELb0EEEN6thrust23THRUST_200600_302600_NS16reverse_iteratorIPKlEEjNS1_16block_id_wrapperIjLb0EEEEEvT_jjPNSF_10value_typeET0_PNSt15iterator_traitsISI_E10value_typeEmT1_T2_
    .private_segment_fixed_size: 0
    .sgpr_count:     30
    .sgpr_spill_count: 0
    .symbol:         _ZN7rocprim17ROCPRIM_400000_NS6detail30init_device_scan_by_key_kernelINS1_19lookback_scan_stateINS0_5tupleIJlbEEELb0ELb0EEEN6thrust23THRUST_200600_302600_NS16reverse_iteratorIPKlEEjNS1_16block_id_wrapperIjLb0EEEEEvT_jjPNSF_10value_typeET0_PNSt15iterator_traitsISI_E10value_typeEmT1_T2_.kd
    .uniform_work_group_size: 1
    .uses_dynamic_stack: false
    .vgpr_count:     8
    .vgpr_spill_count: 0
    .wavefront_size: 64
  - .agpr_count:     0
    .args:
      - .offset:         0
        .size:           136
        .value_kind:     by_value
    .group_segment_fixed_size: 32768
    .kernarg_segment_align: 8
    .kernarg_segment_size: 136
    .language:       OpenCL C
    .language_version:
      - 2
      - 0
    .max_flat_workgroup_size: 256
    .name:           _ZN7rocprim17ROCPRIM_400000_NS6detail17trampoline_kernelINS0_14default_configENS1_27scan_by_key_config_selectorIllEEZZNS1_16scan_by_key_implILNS1_25lookback_scan_determinismE0ELb0ES3_N6thrust23THRUST_200600_302600_NS16reverse_iteratorIPKlEESD_NSA_IPlEElN6hipcub16HIPCUB_304000_NS3MaxENSH_8EqualityElEE10hipError_tPvRmT2_T3_T4_T5_mT6_T7_P12ihipStream_tbENKUlT_T0_E_clISt17integral_constantIbLb0EES10_EEDaSV_SW_EUlSV_E_NS1_11comp_targetILNS1_3genE0ELNS1_11target_archE4294967295ELNS1_3gpuE0ELNS1_3repE0EEENS1_30default_config_static_selectorELNS0_4arch9wavefront6targetE1EEEvT1_
    .private_segment_fixed_size: 0
    .sgpr_count:     95
    .sgpr_spill_count: 0
    .symbol:         _ZN7rocprim17ROCPRIM_400000_NS6detail17trampoline_kernelINS0_14default_configENS1_27scan_by_key_config_selectorIllEEZZNS1_16scan_by_key_implILNS1_25lookback_scan_determinismE0ELb0ES3_N6thrust23THRUST_200600_302600_NS16reverse_iteratorIPKlEESD_NSA_IPlEElN6hipcub16HIPCUB_304000_NS3MaxENSH_8EqualityElEE10hipError_tPvRmT2_T3_T4_T5_mT6_T7_P12ihipStream_tbENKUlT_T0_E_clISt17integral_constantIbLb0EES10_EEDaSV_SW_EUlSV_E_NS1_11comp_targetILNS1_3genE0ELNS1_11target_archE4294967295ELNS1_3gpuE0ELNS1_3repE0EEENS1_30default_config_static_selectorELNS0_4arch9wavefront6targetE1EEEvT1_.kd
    .uniform_work_group_size: 1
    .uses_dynamic_stack: false
    .vgpr_count:     108
    .vgpr_spill_count: 0
    .wavefront_size: 64
  - .agpr_count:     0
    .args:
      - .offset:         0
        .size:           136
        .value_kind:     by_value
    .group_segment_fixed_size: 0
    .kernarg_segment_align: 8
    .kernarg_segment_size: 136
    .language:       OpenCL C
    .language_version:
      - 2
      - 0
    .max_flat_workgroup_size: 256
    .name:           _ZN7rocprim17ROCPRIM_400000_NS6detail17trampoline_kernelINS0_14default_configENS1_27scan_by_key_config_selectorIllEEZZNS1_16scan_by_key_implILNS1_25lookback_scan_determinismE0ELb0ES3_N6thrust23THRUST_200600_302600_NS16reverse_iteratorIPKlEESD_NSA_IPlEElN6hipcub16HIPCUB_304000_NS3MaxENSH_8EqualityElEE10hipError_tPvRmT2_T3_T4_T5_mT6_T7_P12ihipStream_tbENKUlT_T0_E_clISt17integral_constantIbLb0EES10_EEDaSV_SW_EUlSV_E_NS1_11comp_targetILNS1_3genE10ELNS1_11target_archE1201ELNS1_3gpuE5ELNS1_3repE0EEENS1_30default_config_static_selectorELNS0_4arch9wavefront6targetE1EEEvT1_
    .private_segment_fixed_size: 0
    .sgpr_count:     6
    .sgpr_spill_count: 0
    .symbol:         _ZN7rocprim17ROCPRIM_400000_NS6detail17trampoline_kernelINS0_14default_configENS1_27scan_by_key_config_selectorIllEEZZNS1_16scan_by_key_implILNS1_25lookback_scan_determinismE0ELb0ES3_N6thrust23THRUST_200600_302600_NS16reverse_iteratorIPKlEESD_NSA_IPlEElN6hipcub16HIPCUB_304000_NS3MaxENSH_8EqualityElEE10hipError_tPvRmT2_T3_T4_T5_mT6_T7_P12ihipStream_tbENKUlT_T0_E_clISt17integral_constantIbLb0EES10_EEDaSV_SW_EUlSV_E_NS1_11comp_targetILNS1_3genE10ELNS1_11target_archE1201ELNS1_3gpuE5ELNS1_3repE0EEENS1_30default_config_static_selectorELNS0_4arch9wavefront6targetE1EEEvT1_.kd
    .uniform_work_group_size: 1
    .uses_dynamic_stack: false
    .vgpr_count:     0
    .vgpr_spill_count: 0
    .wavefront_size: 64
  - .agpr_count:     0
    .args:
      - .offset:         0
        .size:           136
        .value_kind:     by_value
    .group_segment_fixed_size: 0
    .kernarg_segment_align: 8
    .kernarg_segment_size: 136
    .language:       OpenCL C
    .language_version:
      - 2
      - 0
    .max_flat_workgroup_size: 256
    .name:           _ZN7rocprim17ROCPRIM_400000_NS6detail17trampoline_kernelINS0_14default_configENS1_27scan_by_key_config_selectorIllEEZZNS1_16scan_by_key_implILNS1_25lookback_scan_determinismE0ELb0ES3_N6thrust23THRUST_200600_302600_NS16reverse_iteratorIPKlEESD_NSA_IPlEElN6hipcub16HIPCUB_304000_NS3MaxENSH_8EqualityElEE10hipError_tPvRmT2_T3_T4_T5_mT6_T7_P12ihipStream_tbENKUlT_T0_E_clISt17integral_constantIbLb0EES10_EEDaSV_SW_EUlSV_E_NS1_11comp_targetILNS1_3genE5ELNS1_11target_archE942ELNS1_3gpuE9ELNS1_3repE0EEENS1_30default_config_static_selectorELNS0_4arch9wavefront6targetE1EEEvT1_
    .private_segment_fixed_size: 0
    .sgpr_count:     6
    .sgpr_spill_count: 0
    .symbol:         _ZN7rocprim17ROCPRIM_400000_NS6detail17trampoline_kernelINS0_14default_configENS1_27scan_by_key_config_selectorIllEEZZNS1_16scan_by_key_implILNS1_25lookback_scan_determinismE0ELb0ES3_N6thrust23THRUST_200600_302600_NS16reverse_iteratorIPKlEESD_NSA_IPlEElN6hipcub16HIPCUB_304000_NS3MaxENSH_8EqualityElEE10hipError_tPvRmT2_T3_T4_T5_mT6_T7_P12ihipStream_tbENKUlT_T0_E_clISt17integral_constantIbLb0EES10_EEDaSV_SW_EUlSV_E_NS1_11comp_targetILNS1_3genE5ELNS1_11target_archE942ELNS1_3gpuE9ELNS1_3repE0EEENS1_30default_config_static_selectorELNS0_4arch9wavefront6targetE1EEEvT1_.kd
    .uniform_work_group_size: 1
    .uses_dynamic_stack: false
    .vgpr_count:     0
    .vgpr_spill_count: 0
    .wavefront_size: 64
  - .agpr_count:     0
    .args:
      - .offset:         0
        .size:           136
        .value_kind:     by_value
    .group_segment_fixed_size: 0
    .kernarg_segment_align: 8
    .kernarg_segment_size: 136
    .language:       OpenCL C
    .language_version:
      - 2
      - 0
    .max_flat_workgroup_size: 64
    .name:           _ZN7rocprim17ROCPRIM_400000_NS6detail17trampoline_kernelINS0_14default_configENS1_27scan_by_key_config_selectorIllEEZZNS1_16scan_by_key_implILNS1_25lookback_scan_determinismE0ELb0ES3_N6thrust23THRUST_200600_302600_NS16reverse_iteratorIPKlEESD_NSA_IPlEElN6hipcub16HIPCUB_304000_NS3MaxENSH_8EqualityElEE10hipError_tPvRmT2_T3_T4_T5_mT6_T7_P12ihipStream_tbENKUlT_T0_E_clISt17integral_constantIbLb0EES10_EEDaSV_SW_EUlSV_E_NS1_11comp_targetILNS1_3genE4ELNS1_11target_archE910ELNS1_3gpuE8ELNS1_3repE0EEENS1_30default_config_static_selectorELNS0_4arch9wavefront6targetE1EEEvT1_
    .private_segment_fixed_size: 0
    .sgpr_count:     6
    .sgpr_spill_count: 0
    .symbol:         _ZN7rocprim17ROCPRIM_400000_NS6detail17trampoline_kernelINS0_14default_configENS1_27scan_by_key_config_selectorIllEEZZNS1_16scan_by_key_implILNS1_25lookback_scan_determinismE0ELb0ES3_N6thrust23THRUST_200600_302600_NS16reverse_iteratorIPKlEESD_NSA_IPlEElN6hipcub16HIPCUB_304000_NS3MaxENSH_8EqualityElEE10hipError_tPvRmT2_T3_T4_T5_mT6_T7_P12ihipStream_tbENKUlT_T0_E_clISt17integral_constantIbLb0EES10_EEDaSV_SW_EUlSV_E_NS1_11comp_targetILNS1_3genE4ELNS1_11target_archE910ELNS1_3gpuE8ELNS1_3repE0EEENS1_30default_config_static_selectorELNS0_4arch9wavefront6targetE1EEEvT1_.kd
    .uniform_work_group_size: 1
    .uses_dynamic_stack: false
    .vgpr_count:     0
    .vgpr_spill_count: 0
    .wavefront_size: 64
  - .agpr_count:     0
    .args:
      - .offset:         0
        .size:           136
        .value_kind:     by_value
    .group_segment_fixed_size: 0
    .kernarg_segment_align: 8
    .kernarg_segment_size: 136
    .language:       OpenCL C
    .language_version:
      - 2
      - 0
    .max_flat_workgroup_size: 256
    .name:           _ZN7rocprim17ROCPRIM_400000_NS6detail17trampoline_kernelINS0_14default_configENS1_27scan_by_key_config_selectorIllEEZZNS1_16scan_by_key_implILNS1_25lookback_scan_determinismE0ELb0ES3_N6thrust23THRUST_200600_302600_NS16reverse_iteratorIPKlEESD_NSA_IPlEElN6hipcub16HIPCUB_304000_NS3MaxENSH_8EqualityElEE10hipError_tPvRmT2_T3_T4_T5_mT6_T7_P12ihipStream_tbENKUlT_T0_E_clISt17integral_constantIbLb0EES10_EEDaSV_SW_EUlSV_E_NS1_11comp_targetILNS1_3genE3ELNS1_11target_archE908ELNS1_3gpuE7ELNS1_3repE0EEENS1_30default_config_static_selectorELNS0_4arch9wavefront6targetE1EEEvT1_
    .private_segment_fixed_size: 0
    .sgpr_count:     6
    .sgpr_spill_count: 0
    .symbol:         _ZN7rocprim17ROCPRIM_400000_NS6detail17trampoline_kernelINS0_14default_configENS1_27scan_by_key_config_selectorIllEEZZNS1_16scan_by_key_implILNS1_25lookback_scan_determinismE0ELb0ES3_N6thrust23THRUST_200600_302600_NS16reverse_iteratorIPKlEESD_NSA_IPlEElN6hipcub16HIPCUB_304000_NS3MaxENSH_8EqualityElEE10hipError_tPvRmT2_T3_T4_T5_mT6_T7_P12ihipStream_tbENKUlT_T0_E_clISt17integral_constantIbLb0EES10_EEDaSV_SW_EUlSV_E_NS1_11comp_targetILNS1_3genE3ELNS1_11target_archE908ELNS1_3gpuE7ELNS1_3repE0EEENS1_30default_config_static_selectorELNS0_4arch9wavefront6targetE1EEEvT1_.kd
    .uniform_work_group_size: 1
    .uses_dynamic_stack: false
    .vgpr_count:     0
    .vgpr_spill_count: 0
    .wavefront_size: 64
  - .agpr_count:     0
    .args:
      - .offset:         0
        .size:           136
        .value_kind:     by_value
    .group_segment_fixed_size: 0
    .kernarg_segment_align: 8
    .kernarg_segment_size: 136
    .language:       OpenCL C
    .language_version:
      - 2
      - 0
    .max_flat_workgroup_size: 256
    .name:           _ZN7rocprim17ROCPRIM_400000_NS6detail17trampoline_kernelINS0_14default_configENS1_27scan_by_key_config_selectorIllEEZZNS1_16scan_by_key_implILNS1_25lookback_scan_determinismE0ELb0ES3_N6thrust23THRUST_200600_302600_NS16reverse_iteratorIPKlEESD_NSA_IPlEElN6hipcub16HIPCUB_304000_NS3MaxENSH_8EqualityElEE10hipError_tPvRmT2_T3_T4_T5_mT6_T7_P12ihipStream_tbENKUlT_T0_E_clISt17integral_constantIbLb0EES10_EEDaSV_SW_EUlSV_E_NS1_11comp_targetILNS1_3genE2ELNS1_11target_archE906ELNS1_3gpuE6ELNS1_3repE0EEENS1_30default_config_static_selectorELNS0_4arch9wavefront6targetE1EEEvT1_
    .private_segment_fixed_size: 0
    .sgpr_count:     6
    .sgpr_spill_count: 0
    .symbol:         _ZN7rocprim17ROCPRIM_400000_NS6detail17trampoline_kernelINS0_14default_configENS1_27scan_by_key_config_selectorIllEEZZNS1_16scan_by_key_implILNS1_25lookback_scan_determinismE0ELb0ES3_N6thrust23THRUST_200600_302600_NS16reverse_iteratorIPKlEESD_NSA_IPlEElN6hipcub16HIPCUB_304000_NS3MaxENSH_8EqualityElEE10hipError_tPvRmT2_T3_T4_T5_mT6_T7_P12ihipStream_tbENKUlT_T0_E_clISt17integral_constantIbLb0EES10_EEDaSV_SW_EUlSV_E_NS1_11comp_targetILNS1_3genE2ELNS1_11target_archE906ELNS1_3gpuE6ELNS1_3repE0EEENS1_30default_config_static_selectorELNS0_4arch9wavefront6targetE1EEEvT1_.kd
    .uniform_work_group_size: 1
    .uses_dynamic_stack: false
    .vgpr_count:     0
    .vgpr_spill_count: 0
    .wavefront_size: 64
  - .agpr_count:     0
    .args:
      - .offset:         0
        .size:           136
        .value_kind:     by_value
    .group_segment_fixed_size: 0
    .kernarg_segment_align: 8
    .kernarg_segment_size: 136
    .language:       OpenCL C
    .language_version:
      - 2
      - 0
    .max_flat_workgroup_size: 256
    .name:           _ZN7rocprim17ROCPRIM_400000_NS6detail17trampoline_kernelINS0_14default_configENS1_27scan_by_key_config_selectorIllEEZZNS1_16scan_by_key_implILNS1_25lookback_scan_determinismE0ELb0ES3_N6thrust23THRUST_200600_302600_NS16reverse_iteratorIPKlEESD_NSA_IPlEElN6hipcub16HIPCUB_304000_NS3MaxENSH_8EqualityElEE10hipError_tPvRmT2_T3_T4_T5_mT6_T7_P12ihipStream_tbENKUlT_T0_E_clISt17integral_constantIbLb0EES10_EEDaSV_SW_EUlSV_E_NS1_11comp_targetILNS1_3genE10ELNS1_11target_archE1200ELNS1_3gpuE4ELNS1_3repE0EEENS1_30default_config_static_selectorELNS0_4arch9wavefront6targetE1EEEvT1_
    .private_segment_fixed_size: 0
    .sgpr_count:     6
    .sgpr_spill_count: 0
    .symbol:         _ZN7rocprim17ROCPRIM_400000_NS6detail17trampoline_kernelINS0_14default_configENS1_27scan_by_key_config_selectorIllEEZZNS1_16scan_by_key_implILNS1_25lookback_scan_determinismE0ELb0ES3_N6thrust23THRUST_200600_302600_NS16reverse_iteratorIPKlEESD_NSA_IPlEElN6hipcub16HIPCUB_304000_NS3MaxENSH_8EqualityElEE10hipError_tPvRmT2_T3_T4_T5_mT6_T7_P12ihipStream_tbENKUlT_T0_E_clISt17integral_constantIbLb0EES10_EEDaSV_SW_EUlSV_E_NS1_11comp_targetILNS1_3genE10ELNS1_11target_archE1200ELNS1_3gpuE4ELNS1_3repE0EEENS1_30default_config_static_selectorELNS0_4arch9wavefront6targetE1EEEvT1_.kd
    .uniform_work_group_size: 1
    .uses_dynamic_stack: false
    .vgpr_count:     0
    .vgpr_spill_count: 0
    .wavefront_size: 64
  - .agpr_count:     0
    .args:
      - .offset:         0
        .size:           136
        .value_kind:     by_value
    .group_segment_fixed_size: 0
    .kernarg_segment_align: 8
    .kernarg_segment_size: 136
    .language:       OpenCL C
    .language_version:
      - 2
      - 0
    .max_flat_workgroup_size: 256
    .name:           _ZN7rocprim17ROCPRIM_400000_NS6detail17trampoline_kernelINS0_14default_configENS1_27scan_by_key_config_selectorIllEEZZNS1_16scan_by_key_implILNS1_25lookback_scan_determinismE0ELb0ES3_N6thrust23THRUST_200600_302600_NS16reverse_iteratorIPKlEESD_NSA_IPlEElN6hipcub16HIPCUB_304000_NS3MaxENSH_8EqualityElEE10hipError_tPvRmT2_T3_T4_T5_mT6_T7_P12ihipStream_tbENKUlT_T0_E_clISt17integral_constantIbLb0EES10_EEDaSV_SW_EUlSV_E_NS1_11comp_targetILNS1_3genE9ELNS1_11target_archE1100ELNS1_3gpuE3ELNS1_3repE0EEENS1_30default_config_static_selectorELNS0_4arch9wavefront6targetE1EEEvT1_
    .private_segment_fixed_size: 0
    .sgpr_count:     6
    .sgpr_spill_count: 0
    .symbol:         _ZN7rocprim17ROCPRIM_400000_NS6detail17trampoline_kernelINS0_14default_configENS1_27scan_by_key_config_selectorIllEEZZNS1_16scan_by_key_implILNS1_25lookback_scan_determinismE0ELb0ES3_N6thrust23THRUST_200600_302600_NS16reverse_iteratorIPKlEESD_NSA_IPlEElN6hipcub16HIPCUB_304000_NS3MaxENSH_8EqualityElEE10hipError_tPvRmT2_T3_T4_T5_mT6_T7_P12ihipStream_tbENKUlT_T0_E_clISt17integral_constantIbLb0EES10_EEDaSV_SW_EUlSV_E_NS1_11comp_targetILNS1_3genE9ELNS1_11target_archE1100ELNS1_3gpuE3ELNS1_3repE0EEENS1_30default_config_static_selectorELNS0_4arch9wavefront6targetE1EEEvT1_.kd
    .uniform_work_group_size: 1
    .uses_dynamic_stack: false
    .vgpr_count:     0
    .vgpr_spill_count: 0
    .wavefront_size: 64
  - .agpr_count:     0
    .args:
      - .offset:         0
        .size:           136
        .value_kind:     by_value
    .group_segment_fixed_size: 0
    .kernarg_segment_align: 8
    .kernarg_segment_size: 136
    .language:       OpenCL C
    .language_version:
      - 2
      - 0
    .max_flat_workgroup_size: 256
    .name:           _ZN7rocprim17ROCPRIM_400000_NS6detail17trampoline_kernelINS0_14default_configENS1_27scan_by_key_config_selectorIllEEZZNS1_16scan_by_key_implILNS1_25lookback_scan_determinismE0ELb0ES3_N6thrust23THRUST_200600_302600_NS16reverse_iteratorIPKlEESD_NSA_IPlEElN6hipcub16HIPCUB_304000_NS3MaxENSH_8EqualityElEE10hipError_tPvRmT2_T3_T4_T5_mT6_T7_P12ihipStream_tbENKUlT_T0_E_clISt17integral_constantIbLb0EES10_EEDaSV_SW_EUlSV_E_NS1_11comp_targetILNS1_3genE8ELNS1_11target_archE1030ELNS1_3gpuE2ELNS1_3repE0EEENS1_30default_config_static_selectorELNS0_4arch9wavefront6targetE1EEEvT1_
    .private_segment_fixed_size: 0
    .sgpr_count:     6
    .sgpr_spill_count: 0
    .symbol:         _ZN7rocprim17ROCPRIM_400000_NS6detail17trampoline_kernelINS0_14default_configENS1_27scan_by_key_config_selectorIllEEZZNS1_16scan_by_key_implILNS1_25lookback_scan_determinismE0ELb0ES3_N6thrust23THRUST_200600_302600_NS16reverse_iteratorIPKlEESD_NSA_IPlEElN6hipcub16HIPCUB_304000_NS3MaxENSH_8EqualityElEE10hipError_tPvRmT2_T3_T4_T5_mT6_T7_P12ihipStream_tbENKUlT_T0_E_clISt17integral_constantIbLb0EES10_EEDaSV_SW_EUlSV_E_NS1_11comp_targetILNS1_3genE8ELNS1_11target_archE1030ELNS1_3gpuE2ELNS1_3repE0EEENS1_30default_config_static_selectorELNS0_4arch9wavefront6targetE1EEEvT1_.kd
    .uniform_work_group_size: 1
    .uses_dynamic_stack: false
    .vgpr_count:     0
    .vgpr_spill_count: 0
    .wavefront_size: 64
  - .agpr_count:     0
    .args:
      - .offset:         0
        .size:           24
        .value_kind:     by_value
      - .offset:         24
        .size:           4
        .value_kind:     by_value
      - .offset:         28
        .size:           4
        .value_kind:     by_value
      - .address_space:  global
        .offset:         32
        .size:           8
        .value_kind:     global_buffer
      - .address_space:  global
        .offset:         40
        .size:           8
        .value_kind:     global_buffer
      - .actual_access:  write_only
        .address_space:  global
        .offset:         48
        .size:           8
        .value_kind:     global_buffer
      - .offset:         56
        .size:           8
        .value_kind:     by_value
      - .offset:         64
        .size:           4
        .value_kind:     by_value
      - .address_space:  global
        .offset:         72
        .size:           8
        .value_kind:     global_buffer
      - .offset:         80
        .size:           4
        .value_kind:     hidden_block_count_x
      - .offset:         84
        .size:           4
        .value_kind:     hidden_block_count_y
      - .offset:         88
        .size:           4
        .value_kind:     hidden_block_count_z
      - .offset:         92
        .size:           2
        .value_kind:     hidden_group_size_x
      - .offset:         94
        .size:           2
        .value_kind:     hidden_group_size_y
      - .offset:         96
        .size:           2
        .value_kind:     hidden_group_size_z
      - .offset:         98
        .size:           2
        .value_kind:     hidden_remainder_x
      - .offset:         100
        .size:           2
        .value_kind:     hidden_remainder_y
      - .offset:         102
        .size:           2
        .value_kind:     hidden_remainder_z
      - .offset:         120
        .size:           8
        .value_kind:     hidden_global_offset_x
      - .offset:         128
        .size:           8
        .value_kind:     hidden_global_offset_y
      - .offset:         136
        .size:           8
        .value_kind:     hidden_global_offset_z
      - .offset:         144
        .size:           2
        .value_kind:     hidden_grid_dims
    .group_segment_fixed_size: 0
    .kernarg_segment_align: 8
    .kernarg_segment_size: 336
    .language:       OpenCL C
    .language_version:
      - 2
      - 0
    .max_flat_workgroup_size: 256
    .name:           _ZN7rocprim17ROCPRIM_400000_NS6detail30init_device_scan_by_key_kernelINS1_19lookback_scan_stateINS0_5tupleIJlbEEELb1ELb0EEEN6thrust23THRUST_200600_302600_NS16reverse_iteratorIPKlEEjNS1_16block_id_wrapperIjLb1EEEEEvT_jjPNSF_10value_typeET0_PNSt15iterator_traitsISI_E10value_typeEmT1_T2_
    .private_segment_fixed_size: 0
    .sgpr_count:     30
    .sgpr_spill_count: 0
    .symbol:         _ZN7rocprim17ROCPRIM_400000_NS6detail30init_device_scan_by_key_kernelINS1_19lookback_scan_stateINS0_5tupleIJlbEEELb1ELb0EEEN6thrust23THRUST_200600_302600_NS16reverse_iteratorIPKlEEjNS1_16block_id_wrapperIjLb1EEEEEvT_jjPNSF_10value_typeET0_PNSt15iterator_traitsISI_E10value_typeEmT1_T2_.kd
    .uniform_work_group_size: 1
    .uses_dynamic_stack: false
    .vgpr_count:     8
    .vgpr_spill_count: 0
    .wavefront_size: 64
  - .agpr_count:     0
    .args:
      - .offset:         0
        .size:           136
        .value_kind:     by_value
    .group_segment_fixed_size: 0
    .kernarg_segment_align: 8
    .kernarg_segment_size: 136
    .language:       OpenCL C
    .language_version:
      - 2
      - 0
    .max_flat_workgroup_size: 256
    .name:           _ZN7rocprim17ROCPRIM_400000_NS6detail17trampoline_kernelINS0_14default_configENS1_27scan_by_key_config_selectorIllEEZZNS1_16scan_by_key_implILNS1_25lookback_scan_determinismE0ELb0ES3_N6thrust23THRUST_200600_302600_NS16reverse_iteratorIPKlEESD_NSA_IPlEElN6hipcub16HIPCUB_304000_NS3MaxENSH_8EqualityElEE10hipError_tPvRmT2_T3_T4_T5_mT6_T7_P12ihipStream_tbENKUlT_T0_E_clISt17integral_constantIbLb1EES10_EEDaSV_SW_EUlSV_E_NS1_11comp_targetILNS1_3genE0ELNS1_11target_archE4294967295ELNS1_3gpuE0ELNS1_3repE0EEENS1_30default_config_static_selectorELNS0_4arch9wavefront6targetE1EEEvT1_
    .private_segment_fixed_size: 0
    .sgpr_count:     6
    .sgpr_spill_count: 0
    .symbol:         _ZN7rocprim17ROCPRIM_400000_NS6detail17trampoline_kernelINS0_14default_configENS1_27scan_by_key_config_selectorIllEEZZNS1_16scan_by_key_implILNS1_25lookback_scan_determinismE0ELb0ES3_N6thrust23THRUST_200600_302600_NS16reverse_iteratorIPKlEESD_NSA_IPlEElN6hipcub16HIPCUB_304000_NS3MaxENSH_8EqualityElEE10hipError_tPvRmT2_T3_T4_T5_mT6_T7_P12ihipStream_tbENKUlT_T0_E_clISt17integral_constantIbLb1EES10_EEDaSV_SW_EUlSV_E_NS1_11comp_targetILNS1_3genE0ELNS1_11target_archE4294967295ELNS1_3gpuE0ELNS1_3repE0EEENS1_30default_config_static_selectorELNS0_4arch9wavefront6targetE1EEEvT1_.kd
    .uniform_work_group_size: 1
    .uses_dynamic_stack: false
    .vgpr_count:     0
    .vgpr_spill_count: 0
    .wavefront_size: 64
  - .agpr_count:     0
    .args:
      - .offset:         0
        .size:           136
        .value_kind:     by_value
    .group_segment_fixed_size: 0
    .kernarg_segment_align: 8
    .kernarg_segment_size: 136
    .language:       OpenCL C
    .language_version:
      - 2
      - 0
    .max_flat_workgroup_size: 256
    .name:           _ZN7rocprim17ROCPRIM_400000_NS6detail17trampoline_kernelINS0_14default_configENS1_27scan_by_key_config_selectorIllEEZZNS1_16scan_by_key_implILNS1_25lookback_scan_determinismE0ELb0ES3_N6thrust23THRUST_200600_302600_NS16reverse_iteratorIPKlEESD_NSA_IPlEElN6hipcub16HIPCUB_304000_NS3MaxENSH_8EqualityElEE10hipError_tPvRmT2_T3_T4_T5_mT6_T7_P12ihipStream_tbENKUlT_T0_E_clISt17integral_constantIbLb1EES10_EEDaSV_SW_EUlSV_E_NS1_11comp_targetILNS1_3genE10ELNS1_11target_archE1201ELNS1_3gpuE5ELNS1_3repE0EEENS1_30default_config_static_selectorELNS0_4arch9wavefront6targetE1EEEvT1_
    .private_segment_fixed_size: 0
    .sgpr_count:     6
    .sgpr_spill_count: 0
    .symbol:         _ZN7rocprim17ROCPRIM_400000_NS6detail17trampoline_kernelINS0_14default_configENS1_27scan_by_key_config_selectorIllEEZZNS1_16scan_by_key_implILNS1_25lookback_scan_determinismE0ELb0ES3_N6thrust23THRUST_200600_302600_NS16reverse_iteratorIPKlEESD_NSA_IPlEElN6hipcub16HIPCUB_304000_NS3MaxENSH_8EqualityElEE10hipError_tPvRmT2_T3_T4_T5_mT6_T7_P12ihipStream_tbENKUlT_T0_E_clISt17integral_constantIbLb1EES10_EEDaSV_SW_EUlSV_E_NS1_11comp_targetILNS1_3genE10ELNS1_11target_archE1201ELNS1_3gpuE5ELNS1_3repE0EEENS1_30default_config_static_selectorELNS0_4arch9wavefront6targetE1EEEvT1_.kd
    .uniform_work_group_size: 1
    .uses_dynamic_stack: false
    .vgpr_count:     0
    .vgpr_spill_count: 0
    .wavefront_size: 64
  - .agpr_count:     0
    .args:
      - .offset:         0
        .size:           136
        .value_kind:     by_value
    .group_segment_fixed_size: 0
    .kernarg_segment_align: 8
    .kernarg_segment_size: 136
    .language:       OpenCL C
    .language_version:
      - 2
      - 0
    .max_flat_workgroup_size: 256
    .name:           _ZN7rocprim17ROCPRIM_400000_NS6detail17trampoline_kernelINS0_14default_configENS1_27scan_by_key_config_selectorIllEEZZNS1_16scan_by_key_implILNS1_25lookback_scan_determinismE0ELb0ES3_N6thrust23THRUST_200600_302600_NS16reverse_iteratorIPKlEESD_NSA_IPlEElN6hipcub16HIPCUB_304000_NS3MaxENSH_8EqualityElEE10hipError_tPvRmT2_T3_T4_T5_mT6_T7_P12ihipStream_tbENKUlT_T0_E_clISt17integral_constantIbLb1EES10_EEDaSV_SW_EUlSV_E_NS1_11comp_targetILNS1_3genE5ELNS1_11target_archE942ELNS1_3gpuE9ELNS1_3repE0EEENS1_30default_config_static_selectorELNS0_4arch9wavefront6targetE1EEEvT1_
    .private_segment_fixed_size: 0
    .sgpr_count:     6
    .sgpr_spill_count: 0
    .symbol:         _ZN7rocprim17ROCPRIM_400000_NS6detail17trampoline_kernelINS0_14default_configENS1_27scan_by_key_config_selectorIllEEZZNS1_16scan_by_key_implILNS1_25lookback_scan_determinismE0ELb0ES3_N6thrust23THRUST_200600_302600_NS16reverse_iteratorIPKlEESD_NSA_IPlEElN6hipcub16HIPCUB_304000_NS3MaxENSH_8EqualityElEE10hipError_tPvRmT2_T3_T4_T5_mT6_T7_P12ihipStream_tbENKUlT_T0_E_clISt17integral_constantIbLb1EES10_EEDaSV_SW_EUlSV_E_NS1_11comp_targetILNS1_3genE5ELNS1_11target_archE942ELNS1_3gpuE9ELNS1_3repE0EEENS1_30default_config_static_selectorELNS0_4arch9wavefront6targetE1EEEvT1_.kd
    .uniform_work_group_size: 1
    .uses_dynamic_stack: false
    .vgpr_count:     0
    .vgpr_spill_count: 0
    .wavefront_size: 64
  - .agpr_count:     0
    .args:
      - .offset:         0
        .size:           136
        .value_kind:     by_value
    .group_segment_fixed_size: 0
    .kernarg_segment_align: 8
    .kernarg_segment_size: 136
    .language:       OpenCL C
    .language_version:
      - 2
      - 0
    .max_flat_workgroup_size: 64
    .name:           _ZN7rocprim17ROCPRIM_400000_NS6detail17trampoline_kernelINS0_14default_configENS1_27scan_by_key_config_selectorIllEEZZNS1_16scan_by_key_implILNS1_25lookback_scan_determinismE0ELb0ES3_N6thrust23THRUST_200600_302600_NS16reverse_iteratorIPKlEESD_NSA_IPlEElN6hipcub16HIPCUB_304000_NS3MaxENSH_8EqualityElEE10hipError_tPvRmT2_T3_T4_T5_mT6_T7_P12ihipStream_tbENKUlT_T0_E_clISt17integral_constantIbLb1EES10_EEDaSV_SW_EUlSV_E_NS1_11comp_targetILNS1_3genE4ELNS1_11target_archE910ELNS1_3gpuE8ELNS1_3repE0EEENS1_30default_config_static_selectorELNS0_4arch9wavefront6targetE1EEEvT1_
    .private_segment_fixed_size: 0
    .sgpr_count:     6
    .sgpr_spill_count: 0
    .symbol:         _ZN7rocprim17ROCPRIM_400000_NS6detail17trampoline_kernelINS0_14default_configENS1_27scan_by_key_config_selectorIllEEZZNS1_16scan_by_key_implILNS1_25lookback_scan_determinismE0ELb0ES3_N6thrust23THRUST_200600_302600_NS16reverse_iteratorIPKlEESD_NSA_IPlEElN6hipcub16HIPCUB_304000_NS3MaxENSH_8EqualityElEE10hipError_tPvRmT2_T3_T4_T5_mT6_T7_P12ihipStream_tbENKUlT_T0_E_clISt17integral_constantIbLb1EES10_EEDaSV_SW_EUlSV_E_NS1_11comp_targetILNS1_3genE4ELNS1_11target_archE910ELNS1_3gpuE8ELNS1_3repE0EEENS1_30default_config_static_selectorELNS0_4arch9wavefront6targetE1EEEvT1_.kd
    .uniform_work_group_size: 1
    .uses_dynamic_stack: false
    .vgpr_count:     0
    .vgpr_spill_count: 0
    .wavefront_size: 64
  - .agpr_count:     0
    .args:
      - .offset:         0
        .size:           136
        .value_kind:     by_value
    .group_segment_fixed_size: 0
    .kernarg_segment_align: 8
    .kernarg_segment_size: 136
    .language:       OpenCL C
    .language_version:
      - 2
      - 0
    .max_flat_workgroup_size: 256
    .name:           _ZN7rocprim17ROCPRIM_400000_NS6detail17trampoline_kernelINS0_14default_configENS1_27scan_by_key_config_selectorIllEEZZNS1_16scan_by_key_implILNS1_25lookback_scan_determinismE0ELb0ES3_N6thrust23THRUST_200600_302600_NS16reverse_iteratorIPKlEESD_NSA_IPlEElN6hipcub16HIPCUB_304000_NS3MaxENSH_8EqualityElEE10hipError_tPvRmT2_T3_T4_T5_mT6_T7_P12ihipStream_tbENKUlT_T0_E_clISt17integral_constantIbLb1EES10_EEDaSV_SW_EUlSV_E_NS1_11comp_targetILNS1_3genE3ELNS1_11target_archE908ELNS1_3gpuE7ELNS1_3repE0EEENS1_30default_config_static_selectorELNS0_4arch9wavefront6targetE1EEEvT1_
    .private_segment_fixed_size: 0
    .sgpr_count:     6
    .sgpr_spill_count: 0
    .symbol:         _ZN7rocprim17ROCPRIM_400000_NS6detail17trampoline_kernelINS0_14default_configENS1_27scan_by_key_config_selectorIllEEZZNS1_16scan_by_key_implILNS1_25lookback_scan_determinismE0ELb0ES3_N6thrust23THRUST_200600_302600_NS16reverse_iteratorIPKlEESD_NSA_IPlEElN6hipcub16HIPCUB_304000_NS3MaxENSH_8EqualityElEE10hipError_tPvRmT2_T3_T4_T5_mT6_T7_P12ihipStream_tbENKUlT_T0_E_clISt17integral_constantIbLb1EES10_EEDaSV_SW_EUlSV_E_NS1_11comp_targetILNS1_3genE3ELNS1_11target_archE908ELNS1_3gpuE7ELNS1_3repE0EEENS1_30default_config_static_selectorELNS0_4arch9wavefront6targetE1EEEvT1_.kd
    .uniform_work_group_size: 1
    .uses_dynamic_stack: false
    .vgpr_count:     0
    .vgpr_spill_count: 0
    .wavefront_size: 64
  - .agpr_count:     0
    .args:
      - .offset:         0
        .size:           136
        .value_kind:     by_value
    .group_segment_fixed_size: 0
    .kernarg_segment_align: 8
    .kernarg_segment_size: 136
    .language:       OpenCL C
    .language_version:
      - 2
      - 0
    .max_flat_workgroup_size: 256
    .name:           _ZN7rocprim17ROCPRIM_400000_NS6detail17trampoline_kernelINS0_14default_configENS1_27scan_by_key_config_selectorIllEEZZNS1_16scan_by_key_implILNS1_25lookback_scan_determinismE0ELb0ES3_N6thrust23THRUST_200600_302600_NS16reverse_iteratorIPKlEESD_NSA_IPlEElN6hipcub16HIPCUB_304000_NS3MaxENSH_8EqualityElEE10hipError_tPvRmT2_T3_T4_T5_mT6_T7_P12ihipStream_tbENKUlT_T0_E_clISt17integral_constantIbLb1EES10_EEDaSV_SW_EUlSV_E_NS1_11comp_targetILNS1_3genE2ELNS1_11target_archE906ELNS1_3gpuE6ELNS1_3repE0EEENS1_30default_config_static_selectorELNS0_4arch9wavefront6targetE1EEEvT1_
    .private_segment_fixed_size: 0
    .sgpr_count:     6
    .sgpr_spill_count: 0
    .symbol:         _ZN7rocprim17ROCPRIM_400000_NS6detail17trampoline_kernelINS0_14default_configENS1_27scan_by_key_config_selectorIllEEZZNS1_16scan_by_key_implILNS1_25lookback_scan_determinismE0ELb0ES3_N6thrust23THRUST_200600_302600_NS16reverse_iteratorIPKlEESD_NSA_IPlEElN6hipcub16HIPCUB_304000_NS3MaxENSH_8EqualityElEE10hipError_tPvRmT2_T3_T4_T5_mT6_T7_P12ihipStream_tbENKUlT_T0_E_clISt17integral_constantIbLb1EES10_EEDaSV_SW_EUlSV_E_NS1_11comp_targetILNS1_3genE2ELNS1_11target_archE906ELNS1_3gpuE6ELNS1_3repE0EEENS1_30default_config_static_selectorELNS0_4arch9wavefront6targetE1EEEvT1_.kd
    .uniform_work_group_size: 1
    .uses_dynamic_stack: false
    .vgpr_count:     0
    .vgpr_spill_count: 0
    .wavefront_size: 64
  - .agpr_count:     0
    .args:
      - .offset:         0
        .size:           136
        .value_kind:     by_value
    .group_segment_fixed_size: 0
    .kernarg_segment_align: 8
    .kernarg_segment_size: 136
    .language:       OpenCL C
    .language_version:
      - 2
      - 0
    .max_flat_workgroup_size: 256
    .name:           _ZN7rocprim17ROCPRIM_400000_NS6detail17trampoline_kernelINS0_14default_configENS1_27scan_by_key_config_selectorIllEEZZNS1_16scan_by_key_implILNS1_25lookback_scan_determinismE0ELb0ES3_N6thrust23THRUST_200600_302600_NS16reverse_iteratorIPKlEESD_NSA_IPlEElN6hipcub16HIPCUB_304000_NS3MaxENSH_8EqualityElEE10hipError_tPvRmT2_T3_T4_T5_mT6_T7_P12ihipStream_tbENKUlT_T0_E_clISt17integral_constantIbLb1EES10_EEDaSV_SW_EUlSV_E_NS1_11comp_targetILNS1_3genE10ELNS1_11target_archE1200ELNS1_3gpuE4ELNS1_3repE0EEENS1_30default_config_static_selectorELNS0_4arch9wavefront6targetE1EEEvT1_
    .private_segment_fixed_size: 0
    .sgpr_count:     6
    .sgpr_spill_count: 0
    .symbol:         _ZN7rocprim17ROCPRIM_400000_NS6detail17trampoline_kernelINS0_14default_configENS1_27scan_by_key_config_selectorIllEEZZNS1_16scan_by_key_implILNS1_25lookback_scan_determinismE0ELb0ES3_N6thrust23THRUST_200600_302600_NS16reverse_iteratorIPKlEESD_NSA_IPlEElN6hipcub16HIPCUB_304000_NS3MaxENSH_8EqualityElEE10hipError_tPvRmT2_T3_T4_T5_mT6_T7_P12ihipStream_tbENKUlT_T0_E_clISt17integral_constantIbLb1EES10_EEDaSV_SW_EUlSV_E_NS1_11comp_targetILNS1_3genE10ELNS1_11target_archE1200ELNS1_3gpuE4ELNS1_3repE0EEENS1_30default_config_static_selectorELNS0_4arch9wavefront6targetE1EEEvT1_.kd
    .uniform_work_group_size: 1
    .uses_dynamic_stack: false
    .vgpr_count:     0
    .vgpr_spill_count: 0
    .wavefront_size: 64
  - .agpr_count:     0
    .args:
      - .offset:         0
        .size:           136
        .value_kind:     by_value
    .group_segment_fixed_size: 0
    .kernarg_segment_align: 8
    .kernarg_segment_size: 136
    .language:       OpenCL C
    .language_version:
      - 2
      - 0
    .max_flat_workgroup_size: 256
    .name:           _ZN7rocprim17ROCPRIM_400000_NS6detail17trampoline_kernelINS0_14default_configENS1_27scan_by_key_config_selectorIllEEZZNS1_16scan_by_key_implILNS1_25lookback_scan_determinismE0ELb0ES3_N6thrust23THRUST_200600_302600_NS16reverse_iteratorIPKlEESD_NSA_IPlEElN6hipcub16HIPCUB_304000_NS3MaxENSH_8EqualityElEE10hipError_tPvRmT2_T3_T4_T5_mT6_T7_P12ihipStream_tbENKUlT_T0_E_clISt17integral_constantIbLb1EES10_EEDaSV_SW_EUlSV_E_NS1_11comp_targetILNS1_3genE9ELNS1_11target_archE1100ELNS1_3gpuE3ELNS1_3repE0EEENS1_30default_config_static_selectorELNS0_4arch9wavefront6targetE1EEEvT1_
    .private_segment_fixed_size: 0
    .sgpr_count:     6
    .sgpr_spill_count: 0
    .symbol:         _ZN7rocprim17ROCPRIM_400000_NS6detail17trampoline_kernelINS0_14default_configENS1_27scan_by_key_config_selectorIllEEZZNS1_16scan_by_key_implILNS1_25lookback_scan_determinismE0ELb0ES3_N6thrust23THRUST_200600_302600_NS16reverse_iteratorIPKlEESD_NSA_IPlEElN6hipcub16HIPCUB_304000_NS3MaxENSH_8EqualityElEE10hipError_tPvRmT2_T3_T4_T5_mT6_T7_P12ihipStream_tbENKUlT_T0_E_clISt17integral_constantIbLb1EES10_EEDaSV_SW_EUlSV_E_NS1_11comp_targetILNS1_3genE9ELNS1_11target_archE1100ELNS1_3gpuE3ELNS1_3repE0EEENS1_30default_config_static_selectorELNS0_4arch9wavefront6targetE1EEEvT1_.kd
    .uniform_work_group_size: 1
    .uses_dynamic_stack: false
    .vgpr_count:     0
    .vgpr_spill_count: 0
    .wavefront_size: 64
  - .agpr_count:     0
    .args:
      - .offset:         0
        .size:           136
        .value_kind:     by_value
    .group_segment_fixed_size: 0
    .kernarg_segment_align: 8
    .kernarg_segment_size: 136
    .language:       OpenCL C
    .language_version:
      - 2
      - 0
    .max_flat_workgroup_size: 256
    .name:           _ZN7rocprim17ROCPRIM_400000_NS6detail17trampoline_kernelINS0_14default_configENS1_27scan_by_key_config_selectorIllEEZZNS1_16scan_by_key_implILNS1_25lookback_scan_determinismE0ELb0ES3_N6thrust23THRUST_200600_302600_NS16reverse_iteratorIPKlEESD_NSA_IPlEElN6hipcub16HIPCUB_304000_NS3MaxENSH_8EqualityElEE10hipError_tPvRmT2_T3_T4_T5_mT6_T7_P12ihipStream_tbENKUlT_T0_E_clISt17integral_constantIbLb1EES10_EEDaSV_SW_EUlSV_E_NS1_11comp_targetILNS1_3genE8ELNS1_11target_archE1030ELNS1_3gpuE2ELNS1_3repE0EEENS1_30default_config_static_selectorELNS0_4arch9wavefront6targetE1EEEvT1_
    .private_segment_fixed_size: 0
    .sgpr_count:     6
    .sgpr_spill_count: 0
    .symbol:         _ZN7rocprim17ROCPRIM_400000_NS6detail17trampoline_kernelINS0_14default_configENS1_27scan_by_key_config_selectorIllEEZZNS1_16scan_by_key_implILNS1_25lookback_scan_determinismE0ELb0ES3_N6thrust23THRUST_200600_302600_NS16reverse_iteratorIPKlEESD_NSA_IPlEElN6hipcub16HIPCUB_304000_NS3MaxENSH_8EqualityElEE10hipError_tPvRmT2_T3_T4_T5_mT6_T7_P12ihipStream_tbENKUlT_T0_E_clISt17integral_constantIbLb1EES10_EEDaSV_SW_EUlSV_E_NS1_11comp_targetILNS1_3genE8ELNS1_11target_archE1030ELNS1_3gpuE2ELNS1_3repE0EEENS1_30default_config_static_selectorELNS0_4arch9wavefront6targetE1EEEvT1_.kd
    .uniform_work_group_size: 1
    .uses_dynamic_stack: false
    .vgpr_count:     0
    .vgpr_spill_count: 0
    .wavefront_size: 64
  - .agpr_count:     0
    .args:
      - .offset:         0
        .size:           24
        .value_kind:     by_value
      - .offset:         24
        .size:           4
        .value_kind:     by_value
      - .offset:         28
        .size:           4
        .value_kind:     by_value
      - .address_space:  global
        .offset:         32
        .size:           8
        .value_kind:     global_buffer
      - .address_space:  global
        .offset:         40
        .size:           8
        .value_kind:     global_buffer
      - .actual_access:  write_only
        .address_space:  global
        .offset:         48
        .size:           8
        .value_kind:     global_buffer
      - .offset:         56
        .size:           8
        .value_kind:     by_value
      - .offset:         64
        .size:           4
        .value_kind:     by_value
      - .offset:         68
        .size:           1
        .value_kind:     by_value
      - .offset:         72
        .size:           4
        .value_kind:     hidden_block_count_x
      - .offset:         76
        .size:           4
        .value_kind:     hidden_block_count_y
      - .offset:         80
        .size:           4
        .value_kind:     hidden_block_count_z
      - .offset:         84
        .size:           2
        .value_kind:     hidden_group_size_x
      - .offset:         86
        .size:           2
        .value_kind:     hidden_group_size_y
      - .offset:         88
        .size:           2
        .value_kind:     hidden_group_size_z
      - .offset:         90
        .size:           2
        .value_kind:     hidden_remainder_x
      - .offset:         92
        .size:           2
        .value_kind:     hidden_remainder_y
      - .offset:         94
        .size:           2
        .value_kind:     hidden_remainder_z
      - .offset:         112
        .size:           8
        .value_kind:     hidden_global_offset_x
      - .offset:         120
        .size:           8
        .value_kind:     hidden_global_offset_y
      - .offset:         128
        .size:           8
        .value_kind:     hidden_global_offset_z
      - .offset:         136
        .size:           2
        .value_kind:     hidden_grid_dims
    .group_segment_fixed_size: 0
    .kernarg_segment_align: 8
    .kernarg_segment_size: 328
    .language:       OpenCL C
    .language_version:
      - 2
      - 0
    .max_flat_workgroup_size: 256
    .name:           _ZN7rocprim17ROCPRIM_400000_NS6detail30init_device_scan_by_key_kernelINS1_19lookback_scan_stateINS0_5tupleIJlbEEELb1ELb0EEEN6thrust23THRUST_200600_302600_NS16reverse_iteratorIPKlEEjNS1_16block_id_wrapperIjLb0EEEEEvT_jjPNSF_10value_typeET0_PNSt15iterator_traitsISI_E10value_typeEmT1_T2_
    .private_segment_fixed_size: 0
    .sgpr_count:     30
    .sgpr_spill_count: 0
    .symbol:         _ZN7rocprim17ROCPRIM_400000_NS6detail30init_device_scan_by_key_kernelINS1_19lookback_scan_stateINS0_5tupleIJlbEEELb1ELb0EEEN6thrust23THRUST_200600_302600_NS16reverse_iteratorIPKlEEjNS1_16block_id_wrapperIjLb0EEEEEvT_jjPNSF_10value_typeET0_PNSt15iterator_traitsISI_E10value_typeEmT1_T2_.kd
    .uniform_work_group_size: 1
    .uses_dynamic_stack: false
    .vgpr_count:     8
    .vgpr_spill_count: 0
    .wavefront_size: 64
  - .agpr_count:     0
    .args:
      - .offset:         0
        .size:           136
        .value_kind:     by_value
    .group_segment_fixed_size: 0
    .kernarg_segment_align: 8
    .kernarg_segment_size: 136
    .language:       OpenCL C
    .language_version:
      - 2
      - 0
    .max_flat_workgroup_size: 256
    .name:           _ZN7rocprim17ROCPRIM_400000_NS6detail17trampoline_kernelINS0_14default_configENS1_27scan_by_key_config_selectorIllEEZZNS1_16scan_by_key_implILNS1_25lookback_scan_determinismE0ELb0ES3_N6thrust23THRUST_200600_302600_NS16reverse_iteratorIPKlEESD_NSA_IPlEElN6hipcub16HIPCUB_304000_NS3MaxENSH_8EqualityElEE10hipError_tPvRmT2_T3_T4_T5_mT6_T7_P12ihipStream_tbENKUlT_T0_E_clISt17integral_constantIbLb1EESZ_IbLb0EEEEDaSV_SW_EUlSV_E_NS1_11comp_targetILNS1_3genE0ELNS1_11target_archE4294967295ELNS1_3gpuE0ELNS1_3repE0EEENS1_30default_config_static_selectorELNS0_4arch9wavefront6targetE1EEEvT1_
    .private_segment_fixed_size: 0
    .sgpr_count:     6
    .sgpr_spill_count: 0
    .symbol:         _ZN7rocprim17ROCPRIM_400000_NS6detail17trampoline_kernelINS0_14default_configENS1_27scan_by_key_config_selectorIllEEZZNS1_16scan_by_key_implILNS1_25lookback_scan_determinismE0ELb0ES3_N6thrust23THRUST_200600_302600_NS16reverse_iteratorIPKlEESD_NSA_IPlEElN6hipcub16HIPCUB_304000_NS3MaxENSH_8EqualityElEE10hipError_tPvRmT2_T3_T4_T5_mT6_T7_P12ihipStream_tbENKUlT_T0_E_clISt17integral_constantIbLb1EESZ_IbLb0EEEEDaSV_SW_EUlSV_E_NS1_11comp_targetILNS1_3genE0ELNS1_11target_archE4294967295ELNS1_3gpuE0ELNS1_3repE0EEENS1_30default_config_static_selectorELNS0_4arch9wavefront6targetE1EEEvT1_.kd
    .uniform_work_group_size: 1
    .uses_dynamic_stack: false
    .vgpr_count:     0
    .vgpr_spill_count: 0
    .wavefront_size: 64
  - .agpr_count:     0
    .args:
      - .offset:         0
        .size:           136
        .value_kind:     by_value
    .group_segment_fixed_size: 0
    .kernarg_segment_align: 8
    .kernarg_segment_size: 136
    .language:       OpenCL C
    .language_version:
      - 2
      - 0
    .max_flat_workgroup_size: 256
    .name:           _ZN7rocprim17ROCPRIM_400000_NS6detail17trampoline_kernelINS0_14default_configENS1_27scan_by_key_config_selectorIllEEZZNS1_16scan_by_key_implILNS1_25lookback_scan_determinismE0ELb0ES3_N6thrust23THRUST_200600_302600_NS16reverse_iteratorIPKlEESD_NSA_IPlEElN6hipcub16HIPCUB_304000_NS3MaxENSH_8EqualityElEE10hipError_tPvRmT2_T3_T4_T5_mT6_T7_P12ihipStream_tbENKUlT_T0_E_clISt17integral_constantIbLb1EESZ_IbLb0EEEEDaSV_SW_EUlSV_E_NS1_11comp_targetILNS1_3genE10ELNS1_11target_archE1201ELNS1_3gpuE5ELNS1_3repE0EEENS1_30default_config_static_selectorELNS0_4arch9wavefront6targetE1EEEvT1_
    .private_segment_fixed_size: 0
    .sgpr_count:     6
    .sgpr_spill_count: 0
    .symbol:         _ZN7rocprim17ROCPRIM_400000_NS6detail17trampoline_kernelINS0_14default_configENS1_27scan_by_key_config_selectorIllEEZZNS1_16scan_by_key_implILNS1_25lookback_scan_determinismE0ELb0ES3_N6thrust23THRUST_200600_302600_NS16reverse_iteratorIPKlEESD_NSA_IPlEElN6hipcub16HIPCUB_304000_NS3MaxENSH_8EqualityElEE10hipError_tPvRmT2_T3_T4_T5_mT6_T7_P12ihipStream_tbENKUlT_T0_E_clISt17integral_constantIbLb1EESZ_IbLb0EEEEDaSV_SW_EUlSV_E_NS1_11comp_targetILNS1_3genE10ELNS1_11target_archE1201ELNS1_3gpuE5ELNS1_3repE0EEENS1_30default_config_static_selectorELNS0_4arch9wavefront6targetE1EEEvT1_.kd
    .uniform_work_group_size: 1
    .uses_dynamic_stack: false
    .vgpr_count:     0
    .vgpr_spill_count: 0
    .wavefront_size: 64
  - .agpr_count:     0
    .args:
      - .offset:         0
        .size:           136
        .value_kind:     by_value
    .group_segment_fixed_size: 0
    .kernarg_segment_align: 8
    .kernarg_segment_size: 136
    .language:       OpenCL C
    .language_version:
      - 2
      - 0
    .max_flat_workgroup_size: 256
    .name:           _ZN7rocprim17ROCPRIM_400000_NS6detail17trampoline_kernelINS0_14default_configENS1_27scan_by_key_config_selectorIllEEZZNS1_16scan_by_key_implILNS1_25lookback_scan_determinismE0ELb0ES3_N6thrust23THRUST_200600_302600_NS16reverse_iteratorIPKlEESD_NSA_IPlEElN6hipcub16HIPCUB_304000_NS3MaxENSH_8EqualityElEE10hipError_tPvRmT2_T3_T4_T5_mT6_T7_P12ihipStream_tbENKUlT_T0_E_clISt17integral_constantIbLb1EESZ_IbLb0EEEEDaSV_SW_EUlSV_E_NS1_11comp_targetILNS1_3genE5ELNS1_11target_archE942ELNS1_3gpuE9ELNS1_3repE0EEENS1_30default_config_static_selectorELNS0_4arch9wavefront6targetE1EEEvT1_
    .private_segment_fixed_size: 0
    .sgpr_count:     6
    .sgpr_spill_count: 0
    .symbol:         _ZN7rocprim17ROCPRIM_400000_NS6detail17trampoline_kernelINS0_14default_configENS1_27scan_by_key_config_selectorIllEEZZNS1_16scan_by_key_implILNS1_25lookback_scan_determinismE0ELb0ES3_N6thrust23THRUST_200600_302600_NS16reverse_iteratorIPKlEESD_NSA_IPlEElN6hipcub16HIPCUB_304000_NS3MaxENSH_8EqualityElEE10hipError_tPvRmT2_T3_T4_T5_mT6_T7_P12ihipStream_tbENKUlT_T0_E_clISt17integral_constantIbLb1EESZ_IbLb0EEEEDaSV_SW_EUlSV_E_NS1_11comp_targetILNS1_3genE5ELNS1_11target_archE942ELNS1_3gpuE9ELNS1_3repE0EEENS1_30default_config_static_selectorELNS0_4arch9wavefront6targetE1EEEvT1_.kd
    .uniform_work_group_size: 1
    .uses_dynamic_stack: false
    .vgpr_count:     0
    .vgpr_spill_count: 0
    .wavefront_size: 64
  - .agpr_count:     0
    .args:
      - .offset:         0
        .size:           136
        .value_kind:     by_value
    .group_segment_fixed_size: 0
    .kernarg_segment_align: 8
    .kernarg_segment_size: 136
    .language:       OpenCL C
    .language_version:
      - 2
      - 0
    .max_flat_workgroup_size: 64
    .name:           _ZN7rocprim17ROCPRIM_400000_NS6detail17trampoline_kernelINS0_14default_configENS1_27scan_by_key_config_selectorIllEEZZNS1_16scan_by_key_implILNS1_25lookback_scan_determinismE0ELb0ES3_N6thrust23THRUST_200600_302600_NS16reverse_iteratorIPKlEESD_NSA_IPlEElN6hipcub16HIPCUB_304000_NS3MaxENSH_8EqualityElEE10hipError_tPvRmT2_T3_T4_T5_mT6_T7_P12ihipStream_tbENKUlT_T0_E_clISt17integral_constantIbLb1EESZ_IbLb0EEEEDaSV_SW_EUlSV_E_NS1_11comp_targetILNS1_3genE4ELNS1_11target_archE910ELNS1_3gpuE8ELNS1_3repE0EEENS1_30default_config_static_selectorELNS0_4arch9wavefront6targetE1EEEvT1_
    .private_segment_fixed_size: 0
    .sgpr_count:     6
    .sgpr_spill_count: 0
    .symbol:         _ZN7rocprim17ROCPRIM_400000_NS6detail17trampoline_kernelINS0_14default_configENS1_27scan_by_key_config_selectorIllEEZZNS1_16scan_by_key_implILNS1_25lookback_scan_determinismE0ELb0ES3_N6thrust23THRUST_200600_302600_NS16reverse_iteratorIPKlEESD_NSA_IPlEElN6hipcub16HIPCUB_304000_NS3MaxENSH_8EqualityElEE10hipError_tPvRmT2_T3_T4_T5_mT6_T7_P12ihipStream_tbENKUlT_T0_E_clISt17integral_constantIbLb1EESZ_IbLb0EEEEDaSV_SW_EUlSV_E_NS1_11comp_targetILNS1_3genE4ELNS1_11target_archE910ELNS1_3gpuE8ELNS1_3repE0EEENS1_30default_config_static_selectorELNS0_4arch9wavefront6targetE1EEEvT1_.kd
    .uniform_work_group_size: 1
    .uses_dynamic_stack: false
    .vgpr_count:     0
    .vgpr_spill_count: 0
    .wavefront_size: 64
  - .agpr_count:     0
    .args:
      - .offset:         0
        .size:           136
        .value_kind:     by_value
    .group_segment_fixed_size: 0
    .kernarg_segment_align: 8
    .kernarg_segment_size: 136
    .language:       OpenCL C
    .language_version:
      - 2
      - 0
    .max_flat_workgroup_size: 256
    .name:           _ZN7rocprim17ROCPRIM_400000_NS6detail17trampoline_kernelINS0_14default_configENS1_27scan_by_key_config_selectorIllEEZZNS1_16scan_by_key_implILNS1_25lookback_scan_determinismE0ELb0ES3_N6thrust23THRUST_200600_302600_NS16reverse_iteratorIPKlEESD_NSA_IPlEElN6hipcub16HIPCUB_304000_NS3MaxENSH_8EqualityElEE10hipError_tPvRmT2_T3_T4_T5_mT6_T7_P12ihipStream_tbENKUlT_T0_E_clISt17integral_constantIbLb1EESZ_IbLb0EEEEDaSV_SW_EUlSV_E_NS1_11comp_targetILNS1_3genE3ELNS1_11target_archE908ELNS1_3gpuE7ELNS1_3repE0EEENS1_30default_config_static_selectorELNS0_4arch9wavefront6targetE1EEEvT1_
    .private_segment_fixed_size: 0
    .sgpr_count:     6
    .sgpr_spill_count: 0
    .symbol:         _ZN7rocprim17ROCPRIM_400000_NS6detail17trampoline_kernelINS0_14default_configENS1_27scan_by_key_config_selectorIllEEZZNS1_16scan_by_key_implILNS1_25lookback_scan_determinismE0ELb0ES3_N6thrust23THRUST_200600_302600_NS16reverse_iteratorIPKlEESD_NSA_IPlEElN6hipcub16HIPCUB_304000_NS3MaxENSH_8EqualityElEE10hipError_tPvRmT2_T3_T4_T5_mT6_T7_P12ihipStream_tbENKUlT_T0_E_clISt17integral_constantIbLb1EESZ_IbLb0EEEEDaSV_SW_EUlSV_E_NS1_11comp_targetILNS1_3genE3ELNS1_11target_archE908ELNS1_3gpuE7ELNS1_3repE0EEENS1_30default_config_static_selectorELNS0_4arch9wavefront6targetE1EEEvT1_.kd
    .uniform_work_group_size: 1
    .uses_dynamic_stack: false
    .vgpr_count:     0
    .vgpr_spill_count: 0
    .wavefront_size: 64
  - .agpr_count:     0
    .args:
      - .offset:         0
        .size:           136
        .value_kind:     by_value
    .group_segment_fixed_size: 0
    .kernarg_segment_align: 8
    .kernarg_segment_size: 136
    .language:       OpenCL C
    .language_version:
      - 2
      - 0
    .max_flat_workgroup_size: 256
    .name:           _ZN7rocprim17ROCPRIM_400000_NS6detail17trampoline_kernelINS0_14default_configENS1_27scan_by_key_config_selectorIllEEZZNS1_16scan_by_key_implILNS1_25lookback_scan_determinismE0ELb0ES3_N6thrust23THRUST_200600_302600_NS16reverse_iteratorIPKlEESD_NSA_IPlEElN6hipcub16HIPCUB_304000_NS3MaxENSH_8EqualityElEE10hipError_tPvRmT2_T3_T4_T5_mT6_T7_P12ihipStream_tbENKUlT_T0_E_clISt17integral_constantIbLb1EESZ_IbLb0EEEEDaSV_SW_EUlSV_E_NS1_11comp_targetILNS1_3genE2ELNS1_11target_archE906ELNS1_3gpuE6ELNS1_3repE0EEENS1_30default_config_static_selectorELNS0_4arch9wavefront6targetE1EEEvT1_
    .private_segment_fixed_size: 0
    .sgpr_count:     6
    .sgpr_spill_count: 0
    .symbol:         _ZN7rocprim17ROCPRIM_400000_NS6detail17trampoline_kernelINS0_14default_configENS1_27scan_by_key_config_selectorIllEEZZNS1_16scan_by_key_implILNS1_25lookback_scan_determinismE0ELb0ES3_N6thrust23THRUST_200600_302600_NS16reverse_iteratorIPKlEESD_NSA_IPlEElN6hipcub16HIPCUB_304000_NS3MaxENSH_8EqualityElEE10hipError_tPvRmT2_T3_T4_T5_mT6_T7_P12ihipStream_tbENKUlT_T0_E_clISt17integral_constantIbLb1EESZ_IbLb0EEEEDaSV_SW_EUlSV_E_NS1_11comp_targetILNS1_3genE2ELNS1_11target_archE906ELNS1_3gpuE6ELNS1_3repE0EEENS1_30default_config_static_selectorELNS0_4arch9wavefront6targetE1EEEvT1_.kd
    .uniform_work_group_size: 1
    .uses_dynamic_stack: false
    .vgpr_count:     0
    .vgpr_spill_count: 0
    .wavefront_size: 64
  - .agpr_count:     0
    .args:
      - .offset:         0
        .size:           136
        .value_kind:     by_value
    .group_segment_fixed_size: 0
    .kernarg_segment_align: 8
    .kernarg_segment_size: 136
    .language:       OpenCL C
    .language_version:
      - 2
      - 0
    .max_flat_workgroup_size: 256
    .name:           _ZN7rocprim17ROCPRIM_400000_NS6detail17trampoline_kernelINS0_14default_configENS1_27scan_by_key_config_selectorIllEEZZNS1_16scan_by_key_implILNS1_25lookback_scan_determinismE0ELb0ES3_N6thrust23THRUST_200600_302600_NS16reverse_iteratorIPKlEESD_NSA_IPlEElN6hipcub16HIPCUB_304000_NS3MaxENSH_8EqualityElEE10hipError_tPvRmT2_T3_T4_T5_mT6_T7_P12ihipStream_tbENKUlT_T0_E_clISt17integral_constantIbLb1EESZ_IbLb0EEEEDaSV_SW_EUlSV_E_NS1_11comp_targetILNS1_3genE10ELNS1_11target_archE1200ELNS1_3gpuE4ELNS1_3repE0EEENS1_30default_config_static_selectorELNS0_4arch9wavefront6targetE1EEEvT1_
    .private_segment_fixed_size: 0
    .sgpr_count:     6
    .sgpr_spill_count: 0
    .symbol:         _ZN7rocprim17ROCPRIM_400000_NS6detail17trampoline_kernelINS0_14default_configENS1_27scan_by_key_config_selectorIllEEZZNS1_16scan_by_key_implILNS1_25lookback_scan_determinismE0ELb0ES3_N6thrust23THRUST_200600_302600_NS16reverse_iteratorIPKlEESD_NSA_IPlEElN6hipcub16HIPCUB_304000_NS3MaxENSH_8EqualityElEE10hipError_tPvRmT2_T3_T4_T5_mT6_T7_P12ihipStream_tbENKUlT_T0_E_clISt17integral_constantIbLb1EESZ_IbLb0EEEEDaSV_SW_EUlSV_E_NS1_11comp_targetILNS1_3genE10ELNS1_11target_archE1200ELNS1_3gpuE4ELNS1_3repE0EEENS1_30default_config_static_selectorELNS0_4arch9wavefront6targetE1EEEvT1_.kd
    .uniform_work_group_size: 1
    .uses_dynamic_stack: false
    .vgpr_count:     0
    .vgpr_spill_count: 0
    .wavefront_size: 64
  - .agpr_count:     0
    .args:
      - .offset:         0
        .size:           136
        .value_kind:     by_value
    .group_segment_fixed_size: 0
    .kernarg_segment_align: 8
    .kernarg_segment_size: 136
    .language:       OpenCL C
    .language_version:
      - 2
      - 0
    .max_flat_workgroup_size: 256
    .name:           _ZN7rocprim17ROCPRIM_400000_NS6detail17trampoline_kernelINS0_14default_configENS1_27scan_by_key_config_selectorIllEEZZNS1_16scan_by_key_implILNS1_25lookback_scan_determinismE0ELb0ES3_N6thrust23THRUST_200600_302600_NS16reverse_iteratorIPKlEESD_NSA_IPlEElN6hipcub16HIPCUB_304000_NS3MaxENSH_8EqualityElEE10hipError_tPvRmT2_T3_T4_T5_mT6_T7_P12ihipStream_tbENKUlT_T0_E_clISt17integral_constantIbLb1EESZ_IbLb0EEEEDaSV_SW_EUlSV_E_NS1_11comp_targetILNS1_3genE9ELNS1_11target_archE1100ELNS1_3gpuE3ELNS1_3repE0EEENS1_30default_config_static_selectorELNS0_4arch9wavefront6targetE1EEEvT1_
    .private_segment_fixed_size: 0
    .sgpr_count:     6
    .sgpr_spill_count: 0
    .symbol:         _ZN7rocprim17ROCPRIM_400000_NS6detail17trampoline_kernelINS0_14default_configENS1_27scan_by_key_config_selectorIllEEZZNS1_16scan_by_key_implILNS1_25lookback_scan_determinismE0ELb0ES3_N6thrust23THRUST_200600_302600_NS16reverse_iteratorIPKlEESD_NSA_IPlEElN6hipcub16HIPCUB_304000_NS3MaxENSH_8EqualityElEE10hipError_tPvRmT2_T3_T4_T5_mT6_T7_P12ihipStream_tbENKUlT_T0_E_clISt17integral_constantIbLb1EESZ_IbLb0EEEEDaSV_SW_EUlSV_E_NS1_11comp_targetILNS1_3genE9ELNS1_11target_archE1100ELNS1_3gpuE3ELNS1_3repE0EEENS1_30default_config_static_selectorELNS0_4arch9wavefront6targetE1EEEvT1_.kd
    .uniform_work_group_size: 1
    .uses_dynamic_stack: false
    .vgpr_count:     0
    .vgpr_spill_count: 0
    .wavefront_size: 64
  - .agpr_count:     0
    .args:
      - .offset:         0
        .size:           136
        .value_kind:     by_value
    .group_segment_fixed_size: 0
    .kernarg_segment_align: 8
    .kernarg_segment_size: 136
    .language:       OpenCL C
    .language_version:
      - 2
      - 0
    .max_flat_workgroup_size: 256
    .name:           _ZN7rocprim17ROCPRIM_400000_NS6detail17trampoline_kernelINS0_14default_configENS1_27scan_by_key_config_selectorIllEEZZNS1_16scan_by_key_implILNS1_25lookback_scan_determinismE0ELb0ES3_N6thrust23THRUST_200600_302600_NS16reverse_iteratorIPKlEESD_NSA_IPlEElN6hipcub16HIPCUB_304000_NS3MaxENSH_8EqualityElEE10hipError_tPvRmT2_T3_T4_T5_mT6_T7_P12ihipStream_tbENKUlT_T0_E_clISt17integral_constantIbLb1EESZ_IbLb0EEEEDaSV_SW_EUlSV_E_NS1_11comp_targetILNS1_3genE8ELNS1_11target_archE1030ELNS1_3gpuE2ELNS1_3repE0EEENS1_30default_config_static_selectorELNS0_4arch9wavefront6targetE1EEEvT1_
    .private_segment_fixed_size: 0
    .sgpr_count:     6
    .sgpr_spill_count: 0
    .symbol:         _ZN7rocprim17ROCPRIM_400000_NS6detail17trampoline_kernelINS0_14default_configENS1_27scan_by_key_config_selectorIllEEZZNS1_16scan_by_key_implILNS1_25lookback_scan_determinismE0ELb0ES3_N6thrust23THRUST_200600_302600_NS16reverse_iteratorIPKlEESD_NSA_IPlEElN6hipcub16HIPCUB_304000_NS3MaxENSH_8EqualityElEE10hipError_tPvRmT2_T3_T4_T5_mT6_T7_P12ihipStream_tbENKUlT_T0_E_clISt17integral_constantIbLb1EESZ_IbLb0EEEEDaSV_SW_EUlSV_E_NS1_11comp_targetILNS1_3genE8ELNS1_11target_archE1030ELNS1_3gpuE2ELNS1_3repE0EEENS1_30default_config_static_selectorELNS0_4arch9wavefront6targetE1EEEvT1_.kd
    .uniform_work_group_size: 1
    .uses_dynamic_stack: false
    .vgpr_count:     0
    .vgpr_spill_count: 0
    .wavefront_size: 64
  - .agpr_count:     0
    .args:
      - .offset:         0
        .size:           24
        .value_kind:     by_value
      - .offset:         24
        .size:           4
        .value_kind:     by_value
      - .offset:         28
        .size:           4
        .value_kind:     by_value
      - .address_space:  global
        .offset:         32
        .size:           8
        .value_kind:     global_buffer
      - .address_space:  global
        .offset:         40
        .size:           8
        .value_kind:     global_buffer
      - .actual_access:  write_only
        .address_space:  global
        .offset:         48
        .size:           8
        .value_kind:     global_buffer
      - .offset:         56
        .size:           8
        .value_kind:     by_value
      - .offset:         64
        .size:           4
        .value_kind:     by_value
      - .address_space:  global
        .offset:         72
        .size:           8
        .value_kind:     global_buffer
      - .offset:         80
        .size:           4
        .value_kind:     hidden_block_count_x
      - .offset:         84
        .size:           4
        .value_kind:     hidden_block_count_y
      - .offset:         88
        .size:           4
        .value_kind:     hidden_block_count_z
      - .offset:         92
        .size:           2
        .value_kind:     hidden_group_size_x
      - .offset:         94
        .size:           2
        .value_kind:     hidden_group_size_y
      - .offset:         96
        .size:           2
        .value_kind:     hidden_group_size_z
      - .offset:         98
        .size:           2
        .value_kind:     hidden_remainder_x
      - .offset:         100
        .size:           2
        .value_kind:     hidden_remainder_y
      - .offset:         102
        .size:           2
        .value_kind:     hidden_remainder_z
      - .offset:         120
        .size:           8
        .value_kind:     hidden_global_offset_x
      - .offset:         128
        .size:           8
        .value_kind:     hidden_global_offset_y
      - .offset:         136
        .size:           8
        .value_kind:     hidden_global_offset_z
      - .offset:         144
        .size:           2
        .value_kind:     hidden_grid_dims
    .group_segment_fixed_size: 0
    .kernarg_segment_align: 8
    .kernarg_segment_size: 336
    .language:       OpenCL C
    .language_version:
      - 2
      - 0
    .max_flat_workgroup_size: 256
    .name:           _ZN7rocprim17ROCPRIM_400000_NS6detail30init_device_scan_by_key_kernelINS1_19lookback_scan_stateINS0_5tupleIJlbEEELb0ELb0EEEN6thrust23THRUST_200600_302600_NS16reverse_iteratorIPKlEEjNS1_16block_id_wrapperIjLb1EEEEEvT_jjPNSF_10value_typeET0_PNSt15iterator_traitsISI_E10value_typeEmT1_T2_
    .private_segment_fixed_size: 0
    .sgpr_count:     30
    .sgpr_spill_count: 0
    .symbol:         _ZN7rocprim17ROCPRIM_400000_NS6detail30init_device_scan_by_key_kernelINS1_19lookback_scan_stateINS0_5tupleIJlbEEELb0ELb0EEEN6thrust23THRUST_200600_302600_NS16reverse_iteratorIPKlEEjNS1_16block_id_wrapperIjLb1EEEEEvT_jjPNSF_10value_typeET0_PNSt15iterator_traitsISI_E10value_typeEmT1_T2_.kd
    .uniform_work_group_size: 1
    .uses_dynamic_stack: false
    .vgpr_count:     8
    .vgpr_spill_count: 0
    .wavefront_size: 64
  - .agpr_count:     0
    .args:
      - .offset:         0
        .size:           136
        .value_kind:     by_value
    .group_segment_fixed_size: 32768
    .kernarg_segment_align: 8
    .kernarg_segment_size: 136
    .language:       OpenCL C
    .language_version:
      - 2
      - 0
    .max_flat_workgroup_size: 256
    .name:           _ZN7rocprim17ROCPRIM_400000_NS6detail17trampoline_kernelINS0_14default_configENS1_27scan_by_key_config_selectorIllEEZZNS1_16scan_by_key_implILNS1_25lookback_scan_determinismE0ELb0ES3_N6thrust23THRUST_200600_302600_NS16reverse_iteratorIPKlEESD_NSA_IPlEElN6hipcub16HIPCUB_304000_NS3MaxENSH_8EqualityElEE10hipError_tPvRmT2_T3_T4_T5_mT6_T7_P12ihipStream_tbENKUlT_T0_E_clISt17integral_constantIbLb0EESZ_IbLb1EEEEDaSV_SW_EUlSV_E_NS1_11comp_targetILNS1_3genE0ELNS1_11target_archE4294967295ELNS1_3gpuE0ELNS1_3repE0EEENS1_30default_config_static_selectorELNS0_4arch9wavefront6targetE1EEEvT1_
    .private_segment_fixed_size: 0
    .sgpr_count:     99
    .sgpr_spill_count: 0
    .symbol:         _ZN7rocprim17ROCPRIM_400000_NS6detail17trampoline_kernelINS0_14default_configENS1_27scan_by_key_config_selectorIllEEZZNS1_16scan_by_key_implILNS1_25lookback_scan_determinismE0ELb0ES3_N6thrust23THRUST_200600_302600_NS16reverse_iteratorIPKlEESD_NSA_IPlEElN6hipcub16HIPCUB_304000_NS3MaxENSH_8EqualityElEE10hipError_tPvRmT2_T3_T4_T5_mT6_T7_P12ihipStream_tbENKUlT_T0_E_clISt17integral_constantIbLb0EESZ_IbLb1EEEEDaSV_SW_EUlSV_E_NS1_11comp_targetILNS1_3genE0ELNS1_11target_archE4294967295ELNS1_3gpuE0ELNS1_3repE0EEENS1_30default_config_static_selectorELNS0_4arch9wavefront6targetE1EEEvT1_.kd
    .uniform_work_group_size: 1
    .uses_dynamic_stack: false
    .vgpr_count:     108
    .vgpr_spill_count: 0
    .wavefront_size: 64
  - .agpr_count:     0
    .args:
      - .offset:         0
        .size:           136
        .value_kind:     by_value
    .group_segment_fixed_size: 0
    .kernarg_segment_align: 8
    .kernarg_segment_size: 136
    .language:       OpenCL C
    .language_version:
      - 2
      - 0
    .max_flat_workgroup_size: 256
    .name:           _ZN7rocprim17ROCPRIM_400000_NS6detail17trampoline_kernelINS0_14default_configENS1_27scan_by_key_config_selectorIllEEZZNS1_16scan_by_key_implILNS1_25lookback_scan_determinismE0ELb0ES3_N6thrust23THRUST_200600_302600_NS16reverse_iteratorIPKlEESD_NSA_IPlEElN6hipcub16HIPCUB_304000_NS3MaxENSH_8EqualityElEE10hipError_tPvRmT2_T3_T4_T5_mT6_T7_P12ihipStream_tbENKUlT_T0_E_clISt17integral_constantIbLb0EESZ_IbLb1EEEEDaSV_SW_EUlSV_E_NS1_11comp_targetILNS1_3genE10ELNS1_11target_archE1201ELNS1_3gpuE5ELNS1_3repE0EEENS1_30default_config_static_selectorELNS0_4arch9wavefront6targetE1EEEvT1_
    .private_segment_fixed_size: 0
    .sgpr_count:     6
    .sgpr_spill_count: 0
    .symbol:         _ZN7rocprim17ROCPRIM_400000_NS6detail17trampoline_kernelINS0_14default_configENS1_27scan_by_key_config_selectorIllEEZZNS1_16scan_by_key_implILNS1_25lookback_scan_determinismE0ELb0ES3_N6thrust23THRUST_200600_302600_NS16reverse_iteratorIPKlEESD_NSA_IPlEElN6hipcub16HIPCUB_304000_NS3MaxENSH_8EqualityElEE10hipError_tPvRmT2_T3_T4_T5_mT6_T7_P12ihipStream_tbENKUlT_T0_E_clISt17integral_constantIbLb0EESZ_IbLb1EEEEDaSV_SW_EUlSV_E_NS1_11comp_targetILNS1_3genE10ELNS1_11target_archE1201ELNS1_3gpuE5ELNS1_3repE0EEENS1_30default_config_static_selectorELNS0_4arch9wavefront6targetE1EEEvT1_.kd
    .uniform_work_group_size: 1
    .uses_dynamic_stack: false
    .vgpr_count:     0
    .vgpr_spill_count: 0
    .wavefront_size: 64
  - .agpr_count:     0
    .args:
      - .offset:         0
        .size:           136
        .value_kind:     by_value
    .group_segment_fixed_size: 0
    .kernarg_segment_align: 8
    .kernarg_segment_size: 136
    .language:       OpenCL C
    .language_version:
      - 2
      - 0
    .max_flat_workgroup_size: 256
    .name:           _ZN7rocprim17ROCPRIM_400000_NS6detail17trampoline_kernelINS0_14default_configENS1_27scan_by_key_config_selectorIllEEZZNS1_16scan_by_key_implILNS1_25lookback_scan_determinismE0ELb0ES3_N6thrust23THRUST_200600_302600_NS16reverse_iteratorIPKlEESD_NSA_IPlEElN6hipcub16HIPCUB_304000_NS3MaxENSH_8EqualityElEE10hipError_tPvRmT2_T3_T4_T5_mT6_T7_P12ihipStream_tbENKUlT_T0_E_clISt17integral_constantIbLb0EESZ_IbLb1EEEEDaSV_SW_EUlSV_E_NS1_11comp_targetILNS1_3genE5ELNS1_11target_archE942ELNS1_3gpuE9ELNS1_3repE0EEENS1_30default_config_static_selectorELNS0_4arch9wavefront6targetE1EEEvT1_
    .private_segment_fixed_size: 0
    .sgpr_count:     6
    .sgpr_spill_count: 0
    .symbol:         _ZN7rocprim17ROCPRIM_400000_NS6detail17trampoline_kernelINS0_14default_configENS1_27scan_by_key_config_selectorIllEEZZNS1_16scan_by_key_implILNS1_25lookback_scan_determinismE0ELb0ES3_N6thrust23THRUST_200600_302600_NS16reverse_iteratorIPKlEESD_NSA_IPlEElN6hipcub16HIPCUB_304000_NS3MaxENSH_8EqualityElEE10hipError_tPvRmT2_T3_T4_T5_mT6_T7_P12ihipStream_tbENKUlT_T0_E_clISt17integral_constantIbLb0EESZ_IbLb1EEEEDaSV_SW_EUlSV_E_NS1_11comp_targetILNS1_3genE5ELNS1_11target_archE942ELNS1_3gpuE9ELNS1_3repE0EEENS1_30default_config_static_selectorELNS0_4arch9wavefront6targetE1EEEvT1_.kd
    .uniform_work_group_size: 1
    .uses_dynamic_stack: false
    .vgpr_count:     0
    .vgpr_spill_count: 0
    .wavefront_size: 64
  - .agpr_count:     0
    .args:
      - .offset:         0
        .size:           136
        .value_kind:     by_value
    .group_segment_fixed_size: 0
    .kernarg_segment_align: 8
    .kernarg_segment_size: 136
    .language:       OpenCL C
    .language_version:
      - 2
      - 0
    .max_flat_workgroup_size: 64
    .name:           _ZN7rocprim17ROCPRIM_400000_NS6detail17trampoline_kernelINS0_14default_configENS1_27scan_by_key_config_selectorIllEEZZNS1_16scan_by_key_implILNS1_25lookback_scan_determinismE0ELb0ES3_N6thrust23THRUST_200600_302600_NS16reverse_iteratorIPKlEESD_NSA_IPlEElN6hipcub16HIPCUB_304000_NS3MaxENSH_8EqualityElEE10hipError_tPvRmT2_T3_T4_T5_mT6_T7_P12ihipStream_tbENKUlT_T0_E_clISt17integral_constantIbLb0EESZ_IbLb1EEEEDaSV_SW_EUlSV_E_NS1_11comp_targetILNS1_3genE4ELNS1_11target_archE910ELNS1_3gpuE8ELNS1_3repE0EEENS1_30default_config_static_selectorELNS0_4arch9wavefront6targetE1EEEvT1_
    .private_segment_fixed_size: 0
    .sgpr_count:     6
    .sgpr_spill_count: 0
    .symbol:         _ZN7rocprim17ROCPRIM_400000_NS6detail17trampoline_kernelINS0_14default_configENS1_27scan_by_key_config_selectorIllEEZZNS1_16scan_by_key_implILNS1_25lookback_scan_determinismE0ELb0ES3_N6thrust23THRUST_200600_302600_NS16reverse_iteratorIPKlEESD_NSA_IPlEElN6hipcub16HIPCUB_304000_NS3MaxENSH_8EqualityElEE10hipError_tPvRmT2_T3_T4_T5_mT6_T7_P12ihipStream_tbENKUlT_T0_E_clISt17integral_constantIbLb0EESZ_IbLb1EEEEDaSV_SW_EUlSV_E_NS1_11comp_targetILNS1_3genE4ELNS1_11target_archE910ELNS1_3gpuE8ELNS1_3repE0EEENS1_30default_config_static_selectorELNS0_4arch9wavefront6targetE1EEEvT1_.kd
    .uniform_work_group_size: 1
    .uses_dynamic_stack: false
    .vgpr_count:     0
    .vgpr_spill_count: 0
    .wavefront_size: 64
  - .agpr_count:     0
    .args:
      - .offset:         0
        .size:           136
        .value_kind:     by_value
    .group_segment_fixed_size: 0
    .kernarg_segment_align: 8
    .kernarg_segment_size: 136
    .language:       OpenCL C
    .language_version:
      - 2
      - 0
    .max_flat_workgroup_size: 256
    .name:           _ZN7rocprim17ROCPRIM_400000_NS6detail17trampoline_kernelINS0_14default_configENS1_27scan_by_key_config_selectorIllEEZZNS1_16scan_by_key_implILNS1_25lookback_scan_determinismE0ELb0ES3_N6thrust23THRUST_200600_302600_NS16reverse_iteratorIPKlEESD_NSA_IPlEElN6hipcub16HIPCUB_304000_NS3MaxENSH_8EqualityElEE10hipError_tPvRmT2_T3_T4_T5_mT6_T7_P12ihipStream_tbENKUlT_T0_E_clISt17integral_constantIbLb0EESZ_IbLb1EEEEDaSV_SW_EUlSV_E_NS1_11comp_targetILNS1_3genE3ELNS1_11target_archE908ELNS1_3gpuE7ELNS1_3repE0EEENS1_30default_config_static_selectorELNS0_4arch9wavefront6targetE1EEEvT1_
    .private_segment_fixed_size: 0
    .sgpr_count:     6
    .sgpr_spill_count: 0
    .symbol:         _ZN7rocprim17ROCPRIM_400000_NS6detail17trampoline_kernelINS0_14default_configENS1_27scan_by_key_config_selectorIllEEZZNS1_16scan_by_key_implILNS1_25lookback_scan_determinismE0ELb0ES3_N6thrust23THRUST_200600_302600_NS16reverse_iteratorIPKlEESD_NSA_IPlEElN6hipcub16HIPCUB_304000_NS3MaxENSH_8EqualityElEE10hipError_tPvRmT2_T3_T4_T5_mT6_T7_P12ihipStream_tbENKUlT_T0_E_clISt17integral_constantIbLb0EESZ_IbLb1EEEEDaSV_SW_EUlSV_E_NS1_11comp_targetILNS1_3genE3ELNS1_11target_archE908ELNS1_3gpuE7ELNS1_3repE0EEENS1_30default_config_static_selectorELNS0_4arch9wavefront6targetE1EEEvT1_.kd
    .uniform_work_group_size: 1
    .uses_dynamic_stack: false
    .vgpr_count:     0
    .vgpr_spill_count: 0
    .wavefront_size: 64
  - .agpr_count:     0
    .args:
      - .offset:         0
        .size:           136
        .value_kind:     by_value
    .group_segment_fixed_size: 0
    .kernarg_segment_align: 8
    .kernarg_segment_size: 136
    .language:       OpenCL C
    .language_version:
      - 2
      - 0
    .max_flat_workgroup_size: 256
    .name:           _ZN7rocprim17ROCPRIM_400000_NS6detail17trampoline_kernelINS0_14default_configENS1_27scan_by_key_config_selectorIllEEZZNS1_16scan_by_key_implILNS1_25lookback_scan_determinismE0ELb0ES3_N6thrust23THRUST_200600_302600_NS16reverse_iteratorIPKlEESD_NSA_IPlEElN6hipcub16HIPCUB_304000_NS3MaxENSH_8EqualityElEE10hipError_tPvRmT2_T3_T4_T5_mT6_T7_P12ihipStream_tbENKUlT_T0_E_clISt17integral_constantIbLb0EESZ_IbLb1EEEEDaSV_SW_EUlSV_E_NS1_11comp_targetILNS1_3genE2ELNS1_11target_archE906ELNS1_3gpuE6ELNS1_3repE0EEENS1_30default_config_static_selectorELNS0_4arch9wavefront6targetE1EEEvT1_
    .private_segment_fixed_size: 0
    .sgpr_count:     6
    .sgpr_spill_count: 0
    .symbol:         _ZN7rocprim17ROCPRIM_400000_NS6detail17trampoline_kernelINS0_14default_configENS1_27scan_by_key_config_selectorIllEEZZNS1_16scan_by_key_implILNS1_25lookback_scan_determinismE0ELb0ES3_N6thrust23THRUST_200600_302600_NS16reverse_iteratorIPKlEESD_NSA_IPlEElN6hipcub16HIPCUB_304000_NS3MaxENSH_8EqualityElEE10hipError_tPvRmT2_T3_T4_T5_mT6_T7_P12ihipStream_tbENKUlT_T0_E_clISt17integral_constantIbLb0EESZ_IbLb1EEEEDaSV_SW_EUlSV_E_NS1_11comp_targetILNS1_3genE2ELNS1_11target_archE906ELNS1_3gpuE6ELNS1_3repE0EEENS1_30default_config_static_selectorELNS0_4arch9wavefront6targetE1EEEvT1_.kd
    .uniform_work_group_size: 1
    .uses_dynamic_stack: false
    .vgpr_count:     0
    .vgpr_spill_count: 0
    .wavefront_size: 64
  - .agpr_count:     0
    .args:
      - .offset:         0
        .size:           136
        .value_kind:     by_value
    .group_segment_fixed_size: 0
    .kernarg_segment_align: 8
    .kernarg_segment_size: 136
    .language:       OpenCL C
    .language_version:
      - 2
      - 0
    .max_flat_workgroup_size: 256
    .name:           _ZN7rocprim17ROCPRIM_400000_NS6detail17trampoline_kernelINS0_14default_configENS1_27scan_by_key_config_selectorIllEEZZNS1_16scan_by_key_implILNS1_25lookback_scan_determinismE0ELb0ES3_N6thrust23THRUST_200600_302600_NS16reverse_iteratorIPKlEESD_NSA_IPlEElN6hipcub16HIPCUB_304000_NS3MaxENSH_8EqualityElEE10hipError_tPvRmT2_T3_T4_T5_mT6_T7_P12ihipStream_tbENKUlT_T0_E_clISt17integral_constantIbLb0EESZ_IbLb1EEEEDaSV_SW_EUlSV_E_NS1_11comp_targetILNS1_3genE10ELNS1_11target_archE1200ELNS1_3gpuE4ELNS1_3repE0EEENS1_30default_config_static_selectorELNS0_4arch9wavefront6targetE1EEEvT1_
    .private_segment_fixed_size: 0
    .sgpr_count:     6
    .sgpr_spill_count: 0
    .symbol:         _ZN7rocprim17ROCPRIM_400000_NS6detail17trampoline_kernelINS0_14default_configENS1_27scan_by_key_config_selectorIllEEZZNS1_16scan_by_key_implILNS1_25lookback_scan_determinismE0ELb0ES3_N6thrust23THRUST_200600_302600_NS16reverse_iteratorIPKlEESD_NSA_IPlEElN6hipcub16HIPCUB_304000_NS3MaxENSH_8EqualityElEE10hipError_tPvRmT2_T3_T4_T5_mT6_T7_P12ihipStream_tbENKUlT_T0_E_clISt17integral_constantIbLb0EESZ_IbLb1EEEEDaSV_SW_EUlSV_E_NS1_11comp_targetILNS1_3genE10ELNS1_11target_archE1200ELNS1_3gpuE4ELNS1_3repE0EEENS1_30default_config_static_selectorELNS0_4arch9wavefront6targetE1EEEvT1_.kd
    .uniform_work_group_size: 1
    .uses_dynamic_stack: false
    .vgpr_count:     0
    .vgpr_spill_count: 0
    .wavefront_size: 64
  - .agpr_count:     0
    .args:
      - .offset:         0
        .size:           136
        .value_kind:     by_value
    .group_segment_fixed_size: 0
    .kernarg_segment_align: 8
    .kernarg_segment_size: 136
    .language:       OpenCL C
    .language_version:
      - 2
      - 0
    .max_flat_workgroup_size: 256
    .name:           _ZN7rocprim17ROCPRIM_400000_NS6detail17trampoline_kernelINS0_14default_configENS1_27scan_by_key_config_selectorIllEEZZNS1_16scan_by_key_implILNS1_25lookback_scan_determinismE0ELb0ES3_N6thrust23THRUST_200600_302600_NS16reverse_iteratorIPKlEESD_NSA_IPlEElN6hipcub16HIPCUB_304000_NS3MaxENSH_8EqualityElEE10hipError_tPvRmT2_T3_T4_T5_mT6_T7_P12ihipStream_tbENKUlT_T0_E_clISt17integral_constantIbLb0EESZ_IbLb1EEEEDaSV_SW_EUlSV_E_NS1_11comp_targetILNS1_3genE9ELNS1_11target_archE1100ELNS1_3gpuE3ELNS1_3repE0EEENS1_30default_config_static_selectorELNS0_4arch9wavefront6targetE1EEEvT1_
    .private_segment_fixed_size: 0
    .sgpr_count:     6
    .sgpr_spill_count: 0
    .symbol:         _ZN7rocprim17ROCPRIM_400000_NS6detail17trampoline_kernelINS0_14default_configENS1_27scan_by_key_config_selectorIllEEZZNS1_16scan_by_key_implILNS1_25lookback_scan_determinismE0ELb0ES3_N6thrust23THRUST_200600_302600_NS16reverse_iteratorIPKlEESD_NSA_IPlEElN6hipcub16HIPCUB_304000_NS3MaxENSH_8EqualityElEE10hipError_tPvRmT2_T3_T4_T5_mT6_T7_P12ihipStream_tbENKUlT_T0_E_clISt17integral_constantIbLb0EESZ_IbLb1EEEEDaSV_SW_EUlSV_E_NS1_11comp_targetILNS1_3genE9ELNS1_11target_archE1100ELNS1_3gpuE3ELNS1_3repE0EEENS1_30default_config_static_selectorELNS0_4arch9wavefront6targetE1EEEvT1_.kd
    .uniform_work_group_size: 1
    .uses_dynamic_stack: false
    .vgpr_count:     0
    .vgpr_spill_count: 0
    .wavefront_size: 64
  - .agpr_count:     0
    .args:
      - .offset:         0
        .size:           136
        .value_kind:     by_value
    .group_segment_fixed_size: 0
    .kernarg_segment_align: 8
    .kernarg_segment_size: 136
    .language:       OpenCL C
    .language_version:
      - 2
      - 0
    .max_flat_workgroup_size: 256
    .name:           _ZN7rocprim17ROCPRIM_400000_NS6detail17trampoline_kernelINS0_14default_configENS1_27scan_by_key_config_selectorIllEEZZNS1_16scan_by_key_implILNS1_25lookback_scan_determinismE0ELb0ES3_N6thrust23THRUST_200600_302600_NS16reverse_iteratorIPKlEESD_NSA_IPlEElN6hipcub16HIPCUB_304000_NS3MaxENSH_8EqualityElEE10hipError_tPvRmT2_T3_T4_T5_mT6_T7_P12ihipStream_tbENKUlT_T0_E_clISt17integral_constantIbLb0EESZ_IbLb1EEEEDaSV_SW_EUlSV_E_NS1_11comp_targetILNS1_3genE8ELNS1_11target_archE1030ELNS1_3gpuE2ELNS1_3repE0EEENS1_30default_config_static_selectorELNS0_4arch9wavefront6targetE1EEEvT1_
    .private_segment_fixed_size: 0
    .sgpr_count:     6
    .sgpr_spill_count: 0
    .symbol:         _ZN7rocprim17ROCPRIM_400000_NS6detail17trampoline_kernelINS0_14default_configENS1_27scan_by_key_config_selectorIllEEZZNS1_16scan_by_key_implILNS1_25lookback_scan_determinismE0ELb0ES3_N6thrust23THRUST_200600_302600_NS16reverse_iteratorIPKlEESD_NSA_IPlEElN6hipcub16HIPCUB_304000_NS3MaxENSH_8EqualityElEE10hipError_tPvRmT2_T3_T4_T5_mT6_T7_P12ihipStream_tbENKUlT_T0_E_clISt17integral_constantIbLb0EESZ_IbLb1EEEEDaSV_SW_EUlSV_E_NS1_11comp_targetILNS1_3genE8ELNS1_11target_archE1030ELNS1_3gpuE2ELNS1_3repE0EEENS1_30default_config_static_selectorELNS0_4arch9wavefront6targetE1EEEvT1_.kd
    .uniform_work_group_size: 1
    .uses_dynamic_stack: false
    .vgpr_count:     0
    .vgpr_spill_count: 0
    .wavefront_size: 64
  - .agpr_count:     0
    .args:
      - .address_space:  global
        .offset:         0
        .size:           8
        .value_kind:     global_buffer
      - .address_space:  global
        .offset:         8
        .size:           8
        .value_kind:     global_buffer
      - .offset:         16
        .size:           8
        .value_kind:     by_value
      - .offset:         24
        .size:           8
        .value_kind:     by_value
      - .offset:         32
        .size:           4
        .value_kind:     hidden_block_count_x
      - .offset:         36
        .size:           4
        .value_kind:     hidden_block_count_y
      - .offset:         40
        .size:           4
        .value_kind:     hidden_block_count_z
      - .offset:         44
        .size:           2
        .value_kind:     hidden_group_size_x
      - .offset:         46
        .size:           2
        .value_kind:     hidden_group_size_y
      - .offset:         48
        .size:           2
        .value_kind:     hidden_group_size_z
      - .offset:         50
        .size:           2
        .value_kind:     hidden_remainder_x
      - .offset:         52
        .size:           2
        .value_kind:     hidden_remainder_y
      - .offset:         54
        .size:           2
        .value_kind:     hidden_remainder_z
      - .offset:         72
        .size:           8
        .value_kind:     hidden_global_offset_x
      - .offset:         80
        .size:           8
        .value_kind:     hidden_global_offset_y
      - .offset:         88
        .size:           8
        .value_kind:     hidden_global_offset_z
      - .offset:         96
        .size:           2
        .value_kind:     hidden_grid_dims
    .group_segment_fixed_size: 0
    .kernarg_segment_align: 8
    .kernarg_segment_size: 288
    .language:       OpenCL C
    .language_version:
      - 2
      - 0
    .max_flat_workgroup_size: 1024
    .name:           _ZN2at6native12_GLOBAL__N_136embedding_renorm_wrap_indices_kernelIiEEvPKT_PS3_ll
    .private_segment_fixed_size: 0
    .sgpr_count:     18
    .sgpr_spill_count: 0
    .symbol:         _ZN2at6native12_GLOBAL__N_136embedding_renorm_wrap_indices_kernelIiEEvPKT_PS3_ll.kd
    .uniform_work_group_size: 1
    .uses_dynamic_stack: false
    .vgpr_count:     6
    .vgpr_spill_count: 0
    .wavefront_size: 64
  - .agpr_count:     0
    .args:
      - .address_space:  global
        .offset:         0
        .size:           8
        .value_kind:     global_buffer
      - .offset:         8
        .size:           4
        .value_kind:     by_value
      - .offset:         12
        .size:           1
        .value_kind:     by_value
      - .offset:         16
        .size:           4
        .value_kind:     by_value
      - .address_space:  global
        .offset:         24
        .size:           8
        .value_kind:     global_buffer
      - .offset:         32
        .size:           4
        .value_kind:     hidden_block_count_x
      - .offset:         36
        .size:           4
        .value_kind:     hidden_block_count_y
      - .offset:         40
        .size:           4
        .value_kind:     hidden_block_count_z
      - .offset:         44
        .size:           2
        .value_kind:     hidden_group_size_x
      - .offset:         46
        .size:           2
        .value_kind:     hidden_group_size_y
      - .offset:         48
        .size:           2
        .value_kind:     hidden_group_size_z
      - .offset:         50
        .size:           2
        .value_kind:     hidden_remainder_x
      - .offset:         52
        .size:           2
        .value_kind:     hidden_remainder_y
      - .offset:         54
        .size:           2
        .value_kind:     hidden_remainder_z
      - .offset:         72
        .size:           8
        .value_kind:     hidden_global_offset_x
      - .offset:         80
        .size:           8
        .value_kind:     hidden_global_offset_y
      - .offset:         88
        .size:           8
        .value_kind:     hidden_global_offset_z
      - .offset:         96
        .size:           2
        .value_kind:     hidden_grid_dims
    .group_segment_fixed_size: 0
    .kernarg_segment_align: 8
    .kernarg_segment_size: 288
    .language:       OpenCL C
    .language_version:
      - 2
      - 0
    .max_flat_workgroup_size: 256
    .name:           _ZN7rocprim17ROCPRIM_400000_NS6detail31init_lookback_scan_state_kernelINS1_19lookback_scan_stateIjLb0ELb1EEENS1_16block_id_wrapperIjLb0EEEEEvT_jT0_jPNS7_10value_typeE
    .private_segment_fixed_size: 0
    .sgpr_count:     15
    .sgpr_spill_count: 0
    .symbol:         _ZN7rocprim17ROCPRIM_400000_NS6detail31init_lookback_scan_state_kernelINS1_19lookback_scan_stateIjLb0ELb1EEENS1_16block_id_wrapperIjLb0EEEEEvT_jT0_jPNS7_10value_typeE.kd
    .uniform_work_group_size: 1
    .uses_dynamic_stack: false
    .vgpr_count:     6
    .vgpr_spill_count: 0
    .wavefront_size: 64
  - .agpr_count:     0
    .args:
      - .offset:         0
        .size:           112
        .value_kind:     by_value
    .group_segment_fixed_size: 22536
    .kernarg_segment_align: 8
    .kernarg_segment_size: 112
    .language:       OpenCL C
    .language_version:
      - 2
      - 0
    .max_flat_workgroup_size: 512
    .name:           _ZN7rocprim17ROCPRIM_400000_NS6detail17trampoline_kernelINS0_14default_configENS1_25partition_config_selectorILNS1_17partition_subalgoE8EiNS0_10empty_typeEbEEZZNS1_14partition_implILS5_8ELb0ES3_jPKiPS6_PKS6_NS0_5tupleIJPiS6_EEENSE_IJSB_SB_EEENS0_18inequality_wrapperIN6hipcub16HIPCUB_304000_NS8EqualityEEEPlJS6_EEE10hipError_tPvRmT3_T4_T5_T6_T7_T9_mT8_P12ihipStream_tbDpT10_ENKUlT_T0_E_clISt17integral_constantIbLb0EES17_EEDaS12_S13_EUlS12_E_NS1_11comp_targetILNS1_3genE0ELNS1_11target_archE4294967295ELNS1_3gpuE0ELNS1_3repE0EEENS1_30default_config_static_selectorELNS0_4arch9wavefront6targetE1EEEvT1_
    .private_segment_fixed_size: 0
    .sgpr_count:     64
    .sgpr_spill_count: 0
    .symbol:         _ZN7rocprim17ROCPRIM_400000_NS6detail17trampoline_kernelINS0_14default_configENS1_25partition_config_selectorILNS1_17partition_subalgoE8EiNS0_10empty_typeEbEEZZNS1_14partition_implILS5_8ELb0ES3_jPKiPS6_PKS6_NS0_5tupleIJPiS6_EEENSE_IJSB_SB_EEENS0_18inequality_wrapperIN6hipcub16HIPCUB_304000_NS8EqualityEEEPlJS6_EEE10hipError_tPvRmT3_T4_T5_T6_T7_T9_mT8_P12ihipStream_tbDpT10_ENKUlT_T0_E_clISt17integral_constantIbLb0EES17_EEDaS12_S13_EUlS12_E_NS1_11comp_targetILNS1_3genE0ELNS1_11target_archE4294967295ELNS1_3gpuE0ELNS1_3repE0EEENS1_30default_config_static_selectorELNS0_4arch9wavefront6targetE1EEEvT1_.kd
    .uniform_work_group_size: 1
    .uses_dynamic_stack: false
    .vgpr_count:     62
    .vgpr_spill_count: 0
    .wavefront_size: 64
  - .agpr_count:     0
    .args:
      - .offset:         0
        .size:           112
        .value_kind:     by_value
    .group_segment_fixed_size: 0
    .kernarg_segment_align: 8
    .kernarg_segment_size: 112
    .language:       OpenCL C
    .language_version:
      - 2
      - 0
    .max_flat_workgroup_size: 512
    .name:           _ZN7rocprim17ROCPRIM_400000_NS6detail17trampoline_kernelINS0_14default_configENS1_25partition_config_selectorILNS1_17partition_subalgoE8EiNS0_10empty_typeEbEEZZNS1_14partition_implILS5_8ELb0ES3_jPKiPS6_PKS6_NS0_5tupleIJPiS6_EEENSE_IJSB_SB_EEENS0_18inequality_wrapperIN6hipcub16HIPCUB_304000_NS8EqualityEEEPlJS6_EEE10hipError_tPvRmT3_T4_T5_T6_T7_T9_mT8_P12ihipStream_tbDpT10_ENKUlT_T0_E_clISt17integral_constantIbLb0EES17_EEDaS12_S13_EUlS12_E_NS1_11comp_targetILNS1_3genE5ELNS1_11target_archE942ELNS1_3gpuE9ELNS1_3repE0EEENS1_30default_config_static_selectorELNS0_4arch9wavefront6targetE1EEEvT1_
    .private_segment_fixed_size: 0
    .sgpr_count:     6
    .sgpr_spill_count: 0
    .symbol:         _ZN7rocprim17ROCPRIM_400000_NS6detail17trampoline_kernelINS0_14default_configENS1_25partition_config_selectorILNS1_17partition_subalgoE8EiNS0_10empty_typeEbEEZZNS1_14partition_implILS5_8ELb0ES3_jPKiPS6_PKS6_NS0_5tupleIJPiS6_EEENSE_IJSB_SB_EEENS0_18inequality_wrapperIN6hipcub16HIPCUB_304000_NS8EqualityEEEPlJS6_EEE10hipError_tPvRmT3_T4_T5_T6_T7_T9_mT8_P12ihipStream_tbDpT10_ENKUlT_T0_E_clISt17integral_constantIbLb0EES17_EEDaS12_S13_EUlS12_E_NS1_11comp_targetILNS1_3genE5ELNS1_11target_archE942ELNS1_3gpuE9ELNS1_3repE0EEENS1_30default_config_static_selectorELNS0_4arch9wavefront6targetE1EEEvT1_.kd
    .uniform_work_group_size: 1
    .uses_dynamic_stack: false
    .vgpr_count:     0
    .vgpr_spill_count: 0
    .wavefront_size: 64
  - .agpr_count:     0
    .args:
      - .offset:         0
        .size:           112
        .value_kind:     by_value
    .group_segment_fixed_size: 0
    .kernarg_segment_align: 8
    .kernarg_segment_size: 112
    .language:       OpenCL C
    .language_version:
      - 2
      - 0
    .max_flat_workgroup_size: 256
    .name:           _ZN7rocprim17ROCPRIM_400000_NS6detail17trampoline_kernelINS0_14default_configENS1_25partition_config_selectorILNS1_17partition_subalgoE8EiNS0_10empty_typeEbEEZZNS1_14partition_implILS5_8ELb0ES3_jPKiPS6_PKS6_NS0_5tupleIJPiS6_EEENSE_IJSB_SB_EEENS0_18inequality_wrapperIN6hipcub16HIPCUB_304000_NS8EqualityEEEPlJS6_EEE10hipError_tPvRmT3_T4_T5_T6_T7_T9_mT8_P12ihipStream_tbDpT10_ENKUlT_T0_E_clISt17integral_constantIbLb0EES17_EEDaS12_S13_EUlS12_E_NS1_11comp_targetILNS1_3genE4ELNS1_11target_archE910ELNS1_3gpuE8ELNS1_3repE0EEENS1_30default_config_static_selectorELNS0_4arch9wavefront6targetE1EEEvT1_
    .private_segment_fixed_size: 0
    .sgpr_count:     6
    .sgpr_spill_count: 0
    .symbol:         _ZN7rocprim17ROCPRIM_400000_NS6detail17trampoline_kernelINS0_14default_configENS1_25partition_config_selectorILNS1_17partition_subalgoE8EiNS0_10empty_typeEbEEZZNS1_14partition_implILS5_8ELb0ES3_jPKiPS6_PKS6_NS0_5tupleIJPiS6_EEENSE_IJSB_SB_EEENS0_18inequality_wrapperIN6hipcub16HIPCUB_304000_NS8EqualityEEEPlJS6_EEE10hipError_tPvRmT3_T4_T5_T6_T7_T9_mT8_P12ihipStream_tbDpT10_ENKUlT_T0_E_clISt17integral_constantIbLb0EES17_EEDaS12_S13_EUlS12_E_NS1_11comp_targetILNS1_3genE4ELNS1_11target_archE910ELNS1_3gpuE8ELNS1_3repE0EEENS1_30default_config_static_selectorELNS0_4arch9wavefront6targetE1EEEvT1_.kd
    .uniform_work_group_size: 1
    .uses_dynamic_stack: false
    .vgpr_count:     0
    .vgpr_spill_count: 0
    .wavefront_size: 64
  - .agpr_count:     0
    .args:
      - .offset:         0
        .size:           112
        .value_kind:     by_value
    .group_segment_fixed_size: 0
    .kernarg_segment_align: 8
    .kernarg_segment_size: 112
    .language:       OpenCL C
    .language_version:
      - 2
      - 0
    .max_flat_workgroup_size: 512
    .name:           _ZN7rocprim17ROCPRIM_400000_NS6detail17trampoline_kernelINS0_14default_configENS1_25partition_config_selectorILNS1_17partition_subalgoE8EiNS0_10empty_typeEbEEZZNS1_14partition_implILS5_8ELb0ES3_jPKiPS6_PKS6_NS0_5tupleIJPiS6_EEENSE_IJSB_SB_EEENS0_18inequality_wrapperIN6hipcub16HIPCUB_304000_NS8EqualityEEEPlJS6_EEE10hipError_tPvRmT3_T4_T5_T6_T7_T9_mT8_P12ihipStream_tbDpT10_ENKUlT_T0_E_clISt17integral_constantIbLb0EES17_EEDaS12_S13_EUlS12_E_NS1_11comp_targetILNS1_3genE3ELNS1_11target_archE908ELNS1_3gpuE7ELNS1_3repE0EEENS1_30default_config_static_selectorELNS0_4arch9wavefront6targetE1EEEvT1_
    .private_segment_fixed_size: 0
    .sgpr_count:     6
    .sgpr_spill_count: 0
    .symbol:         _ZN7rocprim17ROCPRIM_400000_NS6detail17trampoline_kernelINS0_14default_configENS1_25partition_config_selectorILNS1_17partition_subalgoE8EiNS0_10empty_typeEbEEZZNS1_14partition_implILS5_8ELb0ES3_jPKiPS6_PKS6_NS0_5tupleIJPiS6_EEENSE_IJSB_SB_EEENS0_18inequality_wrapperIN6hipcub16HIPCUB_304000_NS8EqualityEEEPlJS6_EEE10hipError_tPvRmT3_T4_T5_T6_T7_T9_mT8_P12ihipStream_tbDpT10_ENKUlT_T0_E_clISt17integral_constantIbLb0EES17_EEDaS12_S13_EUlS12_E_NS1_11comp_targetILNS1_3genE3ELNS1_11target_archE908ELNS1_3gpuE7ELNS1_3repE0EEENS1_30default_config_static_selectorELNS0_4arch9wavefront6targetE1EEEvT1_.kd
    .uniform_work_group_size: 1
    .uses_dynamic_stack: false
    .vgpr_count:     0
    .vgpr_spill_count: 0
    .wavefront_size: 64
  - .agpr_count:     0
    .args:
      - .offset:         0
        .size:           112
        .value_kind:     by_value
    .group_segment_fixed_size: 0
    .kernarg_segment_align: 8
    .kernarg_segment_size: 112
    .language:       OpenCL C
    .language_version:
      - 2
      - 0
    .max_flat_workgroup_size: 256
    .name:           _ZN7rocprim17ROCPRIM_400000_NS6detail17trampoline_kernelINS0_14default_configENS1_25partition_config_selectorILNS1_17partition_subalgoE8EiNS0_10empty_typeEbEEZZNS1_14partition_implILS5_8ELb0ES3_jPKiPS6_PKS6_NS0_5tupleIJPiS6_EEENSE_IJSB_SB_EEENS0_18inequality_wrapperIN6hipcub16HIPCUB_304000_NS8EqualityEEEPlJS6_EEE10hipError_tPvRmT3_T4_T5_T6_T7_T9_mT8_P12ihipStream_tbDpT10_ENKUlT_T0_E_clISt17integral_constantIbLb0EES17_EEDaS12_S13_EUlS12_E_NS1_11comp_targetILNS1_3genE2ELNS1_11target_archE906ELNS1_3gpuE6ELNS1_3repE0EEENS1_30default_config_static_selectorELNS0_4arch9wavefront6targetE1EEEvT1_
    .private_segment_fixed_size: 0
    .sgpr_count:     6
    .sgpr_spill_count: 0
    .symbol:         _ZN7rocprim17ROCPRIM_400000_NS6detail17trampoline_kernelINS0_14default_configENS1_25partition_config_selectorILNS1_17partition_subalgoE8EiNS0_10empty_typeEbEEZZNS1_14partition_implILS5_8ELb0ES3_jPKiPS6_PKS6_NS0_5tupleIJPiS6_EEENSE_IJSB_SB_EEENS0_18inequality_wrapperIN6hipcub16HIPCUB_304000_NS8EqualityEEEPlJS6_EEE10hipError_tPvRmT3_T4_T5_T6_T7_T9_mT8_P12ihipStream_tbDpT10_ENKUlT_T0_E_clISt17integral_constantIbLb0EES17_EEDaS12_S13_EUlS12_E_NS1_11comp_targetILNS1_3genE2ELNS1_11target_archE906ELNS1_3gpuE6ELNS1_3repE0EEENS1_30default_config_static_selectorELNS0_4arch9wavefront6targetE1EEEvT1_.kd
    .uniform_work_group_size: 1
    .uses_dynamic_stack: false
    .vgpr_count:     0
    .vgpr_spill_count: 0
    .wavefront_size: 64
  - .agpr_count:     0
    .args:
      - .offset:         0
        .size:           112
        .value_kind:     by_value
    .group_segment_fixed_size: 0
    .kernarg_segment_align: 8
    .kernarg_segment_size: 112
    .language:       OpenCL C
    .language_version:
      - 2
      - 0
    .max_flat_workgroup_size: 384
    .name:           _ZN7rocprim17ROCPRIM_400000_NS6detail17trampoline_kernelINS0_14default_configENS1_25partition_config_selectorILNS1_17partition_subalgoE8EiNS0_10empty_typeEbEEZZNS1_14partition_implILS5_8ELb0ES3_jPKiPS6_PKS6_NS0_5tupleIJPiS6_EEENSE_IJSB_SB_EEENS0_18inequality_wrapperIN6hipcub16HIPCUB_304000_NS8EqualityEEEPlJS6_EEE10hipError_tPvRmT3_T4_T5_T6_T7_T9_mT8_P12ihipStream_tbDpT10_ENKUlT_T0_E_clISt17integral_constantIbLb0EES17_EEDaS12_S13_EUlS12_E_NS1_11comp_targetILNS1_3genE10ELNS1_11target_archE1200ELNS1_3gpuE4ELNS1_3repE0EEENS1_30default_config_static_selectorELNS0_4arch9wavefront6targetE1EEEvT1_
    .private_segment_fixed_size: 0
    .sgpr_count:     6
    .sgpr_spill_count: 0
    .symbol:         _ZN7rocprim17ROCPRIM_400000_NS6detail17trampoline_kernelINS0_14default_configENS1_25partition_config_selectorILNS1_17partition_subalgoE8EiNS0_10empty_typeEbEEZZNS1_14partition_implILS5_8ELb0ES3_jPKiPS6_PKS6_NS0_5tupleIJPiS6_EEENSE_IJSB_SB_EEENS0_18inequality_wrapperIN6hipcub16HIPCUB_304000_NS8EqualityEEEPlJS6_EEE10hipError_tPvRmT3_T4_T5_T6_T7_T9_mT8_P12ihipStream_tbDpT10_ENKUlT_T0_E_clISt17integral_constantIbLb0EES17_EEDaS12_S13_EUlS12_E_NS1_11comp_targetILNS1_3genE10ELNS1_11target_archE1200ELNS1_3gpuE4ELNS1_3repE0EEENS1_30default_config_static_selectorELNS0_4arch9wavefront6targetE1EEEvT1_.kd
    .uniform_work_group_size: 1
    .uses_dynamic_stack: false
    .vgpr_count:     0
    .vgpr_spill_count: 0
    .wavefront_size: 64
  - .agpr_count:     0
    .args:
      - .offset:         0
        .size:           112
        .value_kind:     by_value
    .group_segment_fixed_size: 0
    .kernarg_segment_align: 8
    .kernarg_segment_size: 112
    .language:       OpenCL C
    .language_version:
      - 2
      - 0
    .max_flat_workgroup_size: 384
    .name:           _ZN7rocprim17ROCPRIM_400000_NS6detail17trampoline_kernelINS0_14default_configENS1_25partition_config_selectorILNS1_17partition_subalgoE8EiNS0_10empty_typeEbEEZZNS1_14partition_implILS5_8ELb0ES3_jPKiPS6_PKS6_NS0_5tupleIJPiS6_EEENSE_IJSB_SB_EEENS0_18inequality_wrapperIN6hipcub16HIPCUB_304000_NS8EqualityEEEPlJS6_EEE10hipError_tPvRmT3_T4_T5_T6_T7_T9_mT8_P12ihipStream_tbDpT10_ENKUlT_T0_E_clISt17integral_constantIbLb0EES17_EEDaS12_S13_EUlS12_E_NS1_11comp_targetILNS1_3genE9ELNS1_11target_archE1100ELNS1_3gpuE3ELNS1_3repE0EEENS1_30default_config_static_selectorELNS0_4arch9wavefront6targetE1EEEvT1_
    .private_segment_fixed_size: 0
    .sgpr_count:     6
    .sgpr_spill_count: 0
    .symbol:         _ZN7rocprim17ROCPRIM_400000_NS6detail17trampoline_kernelINS0_14default_configENS1_25partition_config_selectorILNS1_17partition_subalgoE8EiNS0_10empty_typeEbEEZZNS1_14partition_implILS5_8ELb0ES3_jPKiPS6_PKS6_NS0_5tupleIJPiS6_EEENSE_IJSB_SB_EEENS0_18inequality_wrapperIN6hipcub16HIPCUB_304000_NS8EqualityEEEPlJS6_EEE10hipError_tPvRmT3_T4_T5_T6_T7_T9_mT8_P12ihipStream_tbDpT10_ENKUlT_T0_E_clISt17integral_constantIbLb0EES17_EEDaS12_S13_EUlS12_E_NS1_11comp_targetILNS1_3genE9ELNS1_11target_archE1100ELNS1_3gpuE3ELNS1_3repE0EEENS1_30default_config_static_selectorELNS0_4arch9wavefront6targetE1EEEvT1_.kd
    .uniform_work_group_size: 1
    .uses_dynamic_stack: false
    .vgpr_count:     0
    .vgpr_spill_count: 0
    .wavefront_size: 64
  - .agpr_count:     0
    .args:
      - .offset:         0
        .size:           112
        .value_kind:     by_value
    .group_segment_fixed_size: 0
    .kernarg_segment_align: 8
    .kernarg_segment_size: 112
    .language:       OpenCL C
    .language_version:
      - 2
      - 0
    .max_flat_workgroup_size: 512
    .name:           _ZN7rocprim17ROCPRIM_400000_NS6detail17trampoline_kernelINS0_14default_configENS1_25partition_config_selectorILNS1_17partition_subalgoE8EiNS0_10empty_typeEbEEZZNS1_14partition_implILS5_8ELb0ES3_jPKiPS6_PKS6_NS0_5tupleIJPiS6_EEENSE_IJSB_SB_EEENS0_18inequality_wrapperIN6hipcub16HIPCUB_304000_NS8EqualityEEEPlJS6_EEE10hipError_tPvRmT3_T4_T5_T6_T7_T9_mT8_P12ihipStream_tbDpT10_ENKUlT_T0_E_clISt17integral_constantIbLb0EES17_EEDaS12_S13_EUlS12_E_NS1_11comp_targetILNS1_3genE8ELNS1_11target_archE1030ELNS1_3gpuE2ELNS1_3repE0EEENS1_30default_config_static_selectorELNS0_4arch9wavefront6targetE1EEEvT1_
    .private_segment_fixed_size: 0
    .sgpr_count:     6
    .sgpr_spill_count: 0
    .symbol:         _ZN7rocprim17ROCPRIM_400000_NS6detail17trampoline_kernelINS0_14default_configENS1_25partition_config_selectorILNS1_17partition_subalgoE8EiNS0_10empty_typeEbEEZZNS1_14partition_implILS5_8ELb0ES3_jPKiPS6_PKS6_NS0_5tupleIJPiS6_EEENSE_IJSB_SB_EEENS0_18inequality_wrapperIN6hipcub16HIPCUB_304000_NS8EqualityEEEPlJS6_EEE10hipError_tPvRmT3_T4_T5_T6_T7_T9_mT8_P12ihipStream_tbDpT10_ENKUlT_T0_E_clISt17integral_constantIbLb0EES17_EEDaS12_S13_EUlS12_E_NS1_11comp_targetILNS1_3genE8ELNS1_11target_archE1030ELNS1_3gpuE2ELNS1_3repE0EEENS1_30default_config_static_selectorELNS0_4arch9wavefront6targetE1EEEvT1_.kd
    .uniform_work_group_size: 1
    .uses_dynamic_stack: false
    .vgpr_count:     0
    .vgpr_spill_count: 0
    .wavefront_size: 64
  - .agpr_count:     0
    .args:
      - .offset:         0
        .size:           40
        .value_kind:     by_value
      - .offset:         40
        .size:           4
        .value_kind:     hidden_block_count_x
      - .offset:         44
        .size:           4
        .value_kind:     hidden_block_count_y
      - .offset:         48
        .size:           4
        .value_kind:     hidden_block_count_z
      - .offset:         52
        .size:           2
        .value_kind:     hidden_group_size_x
      - .offset:         54
        .size:           2
        .value_kind:     hidden_group_size_y
      - .offset:         56
        .size:           2
        .value_kind:     hidden_group_size_z
      - .offset:         58
        .size:           2
        .value_kind:     hidden_remainder_x
      - .offset:         60
        .size:           2
        .value_kind:     hidden_remainder_y
      - .offset:         62
        .size:           2
        .value_kind:     hidden_remainder_z
      - .offset:         80
        .size:           8
        .value_kind:     hidden_global_offset_x
      - .offset:         88
        .size:           8
        .value_kind:     hidden_global_offset_y
      - .offset:         96
        .size:           8
        .value_kind:     hidden_global_offset_z
      - .offset:         104
        .size:           2
        .value_kind:     hidden_grid_dims
    .group_segment_fixed_size: 0
    .kernarg_segment_align: 8
    .kernarg_segment_size: 296
    .language:       OpenCL C
    .language_version:
      - 2
      - 0
    .max_flat_workgroup_size: 128
    .name:           _ZN7rocprim17ROCPRIM_400000_NS6detail17trampoline_kernelINS0_14default_configENS1_25transform_config_selectorImLb1EEEZNS1_14transform_implILb1ES3_S5_PmPlNS0_8identityIvEEEE10hipError_tT2_T3_mT4_P12ihipStream_tbEUlT_E_NS1_11comp_targetILNS1_3genE0ELNS1_11target_archE4294967295ELNS1_3gpuE0ELNS1_3repE0EEENS1_30default_config_static_selectorELNS0_4arch9wavefront6targetE1EEEvT1_
    .private_segment_fixed_size: 0
    .sgpr_count:     18
    .sgpr_spill_count: 0
    .symbol:         _ZN7rocprim17ROCPRIM_400000_NS6detail17trampoline_kernelINS0_14default_configENS1_25transform_config_selectorImLb1EEEZNS1_14transform_implILb1ES3_S5_PmPlNS0_8identityIvEEEE10hipError_tT2_T3_mT4_P12ihipStream_tbEUlT_E_NS1_11comp_targetILNS1_3genE0ELNS1_11target_archE4294967295ELNS1_3gpuE0ELNS1_3repE0EEENS1_30default_config_static_selectorELNS0_4arch9wavefront6targetE1EEEvT1_.kd
    .uniform_work_group_size: 1
    .uses_dynamic_stack: false
    .vgpr_count:     3
    .vgpr_spill_count: 0
    .wavefront_size: 64
  - .agpr_count:     0
    .args:
      - .offset:         0
        .size:           40
        .value_kind:     by_value
    .group_segment_fixed_size: 0
    .kernarg_segment_align: 8
    .kernarg_segment_size: 40
    .language:       OpenCL C
    .language_version:
      - 2
      - 0
    .max_flat_workgroup_size: 1024
    .name:           _ZN7rocprim17ROCPRIM_400000_NS6detail17trampoline_kernelINS0_14default_configENS1_25transform_config_selectorImLb1EEEZNS1_14transform_implILb1ES3_S5_PmPlNS0_8identityIvEEEE10hipError_tT2_T3_mT4_P12ihipStream_tbEUlT_E_NS1_11comp_targetILNS1_3genE10ELNS1_11target_archE1201ELNS1_3gpuE5ELNS1_3repE0EEENS1_30default_config_static_selectorELNS0_4arch9wavefront6targetE1EEEvT1_
    .private_segment_fixed_size: 0
    .sgpr_count:     6
    .sgpr_spill_count: 0
    .symbol:         _ZN7rocprim17ROCPRIM_400000_NS6detail17trampoline_kernelINS0_14default_configENS1_25transform_config_selectorImLb1EEEZNS1_14transform_implILb1ES3_S5_PmPlNS0_8identityIvEEEE10hipError_tT2_T3_mT4_P12ihipStream_tbEUlT_E_NS1_11comp_targetILNS1_3genE10ELNS1_11target_archE1201ELNS1_3gpuE5ELNS1_3repE0EEENS1_30default_config_static_selectorELNS0_4arch9wavefront6targetE1EEEvT1_.kd
    .uniform_work_group_size: 1
    .uses_dynamic_stack: false
    .vgpr_count:     0
    .vgpr_spill_count: 0
    .wavefront_size: 64
  - .agpr_count:     0
    .args:
      - .offset:         0
        .size:           40
        .value_kind:     by_value
    .group_segment_fixed_size: 0
    .kernarg_segment_align: 8
    .kernarg_segment_size: 40
    .language:       OpenCL C
    .language_version:
      - 2
      - 0
    .max_flat_workgroup_size: 512
    .name:           _ZN7rocprim17ROCPRIM_400000_NS6detail17trampoline_kernelINS0_14default_configENS1_25transform_config_selectorImLb1EEEZNS1_14transform_implILb1ES3_S5_PmPlNS0_8identityIvEEEE10hipError_tT2_T3_mT4_P12ihipStream_tbEUlT_E_NS1_11comp_targetILNS1_3genE5ELNS1_11target_archE942ELNS1_3gpuE9ELNS1_3repE0EEENS1_30default_config_static_selectorELNS0_4arch9wavefront6targetE1EEEvT1_
    .private_segment_fixed_size: 0
    .sgpr_count:     6
    .sgpr_spill_count: 0
    .symbol:         _ZN7rocprim17ROCPRIM_400000_NS6detail17trampoline_kernelINS0_14default_configENS1_25transform_config_selectorImLb1EEEZNS1_14transform_implILb1ES3_S5_PmPlNS0_8identityIvEEEE10hipError_tT2_T3_mT4_P12ihipStream_tbEUlT_E_NS1_11comp_targetILNS1_3genE5ELNS1_11target_archE942ELNS1_3gpuE9ELNS1_3repE0EEENS1_30default_config_static_selectorELNS0_4arch9wavefront6targetE1EEEvT1_.kd
    .uniform_work_group_size: 1
    .uses_dynamic_stack: false
    .vgpr_count:     0
    .vgpr_spill_count: 0
    .wavefront_size: 64
  - .agpr_count:     0
    .args:
      - .offset:         0
        .size:           40
        .value_kind:     by_value
    .group_segment_fixed_size: 0
    .kernarg_segment_align: 8
    .kernarg_segment_size: 40
    .language:       OpenCL C
    .language_version:
      - 2
      - 0
    .max_flat_workgroup_size: 1024
    .name:           _ZN7rocprim17ROCPRIM_400000_NS6detail17trampoline_kernelINS0_14default_configENS1_25transform_config_selectorImLb1EEEZNS1_14transform_implILb1ES3_S5_PmPlNS0_8identityIvEEEE10hipError_tT2_T3_mT4_P12ihipStream_tbEUlT_E_NS1_11comp_targetILNS1_3genE4ELNS1_11target_archE910ELNS1_3gpuE8ELNS1_3repE0EEENS1_30default_config_static_selectorELNS0_4arch9wavefront6targetE1EEEvT1_
    .private_segment_fixed_size: 0
    .sgpr_count:     6
    .sgpr_spill_count: 0
    .symbol:         _ZN7rocprim17ROCPRIM_400000_NS6detail17trampoline_kernelINS0_14default_configENS1_25transform_config_selectorImLb1EEEZNS1_14transform_implILb1ES3_S5_PmPlNS0_8identityIvEEEE10hipError_tT2_T3_mT4_P12ihipStream_tbEUlT_E_NS1_11comp_targetILNS1_3genE4ELNS1_11target_archE910ELNS1_3gpuE8ELNS1_3repE0EEENS1_30default_config_static_selectorELNS0_4arch9wavefront6targetE1EEEvT1_.kd
    .uniform_work_group_size: 1
    .uses_dynamic_stack: false
    .vgpr_count:     0
    .vgpr_spill_count: 0
    .wavefront_size: 64
  - .agpr_count:     0
    .args:
      - .offset:         0
        .size:           40
        .value_kind:     by_value
    .group_segment_fixed_size: 0
    .kernarg_segment_align: 8
    .kernarg_segment_size: 40
    .language:       OpenCL C
    .language_version:
      - 2
      - 0
    .max_flat_workgroup_size: 128
    .name:           _ZN7rocprim17ROCPRIM_400000_NS6detail17trampoline_kernelINS0_14default_configENS1_25transform_config_selectorImLb1EEEZNS1_14transform_implILb1ES3_S5_PmPlNS0_8identityIvEEEE10hipError_tT2_T3_mT4_P12ihipStream_tbEUlT_E_NS1_11comp_targetILNS1_3genE3ELNS1_11target_archE908ELNS1_3gpuE7ELNS1_3repE0EEENS1_30default_config_static_selectorELNS0_4arch9wavefront6targetE1EEEvT1_
    .private_segment_fixed_size: 0
    .sgpr_count:     6
    .sgpr_spill_count: 0
    .symbol:         _ZN7rocprim17ROCPRIM_400000_NS6detail17trampoline_kernelINS0_14default_configENS1_25transform_config_selectorImLb1EEEZNS1_14transform_implILb1ES3_S5_PmPlNS0_8identityIvEEEE10hipError_tT2_T3_mT4_P12ihipStream_tbEUlT_E_NS1_11comp_targetILNS1_3genE3ELNS1_11target_archE908ELNS1_3gpuE7ELNS1_3repE0EEENS1_30default_config_static_selectorELNS0_4arch9wavefront6targetE1EEEvT1_.kd
    .uniform_work_group_size: 1
    .uses_dynamic_stack: false
    .vgpr_count:     0
    .vgpr_spill_count: 0
    .wavefront_size: 64
  - .agpr_count:     0
    .args:
      - .offset:         0
        .size:           40
        .value_kind:     by_value
    .group_segment_fixed_size: 0
    .kernarg_segment_align: 8
    .kernarg_segment_size: 40
    .language:       OpenCL C
    .language_version:
      - 2
      - 0
    .max_flat_workgroup_size: 512
    .name:           _ZN7rocprim17ROCPRIM_400000_NS6detail17trampoline_kernelINS0_14default_configENS1_25transform_config_selectorImLb1EEEZNS1_14transform_implILb1ES3_S5_PmPlNS0_8identityIvEEEE10hipError_tT2_T3_mT4_P12ihipStream_tbEUlT_E_NS1_11comp_targetILNS1_3genE2ELNS1_11target_archE906ELNS1_3gpuE6ELNS1_3repE0EEENS1_30default_config_static_selectorELNS0_4arch9wavefront6targetE1EEEvT1_
    .private_segment_fixed_size: 0
    .sgpr_count:     6
    .sgpr_spill_count: 0
    .symbol:         _ZN7rocprim17ROCPRIM_400000_NS6detail17trampoline_kernelINS0_14default_configENS1_25transform_config_selectorImLb1EEEZNS1_14transform_implILb1ES3_S5_PmPlNS0_8identityIvEEEE10hipError_tT2_T3_mT4_P12ihipStream_tbEUlT_E_NS1_11comp_targetILNS1_3genE2ELNS1_11target_archE906ELNS1_3gpuE6ELNS1_3repE0EEENS1_30default_config_static_selectorELNS0_4arch9wavefront6targetE1EEEvT1_.kd
    .uniform_work_group_size: 1
    .uses_dynamic_stack: false
    .vgpr_count:     0
    .vgpr_spill_count: 0
    .wavefront_size: 64
  - .agpr_count:     0
    .args:
      - .offset:         0
        .size:           40
        .value_kind:     by_value
    .group_segment_fixed_size: 0
    .kernarg_segment_align: 8
    .kernarg_segment_size: 40
    .language:       OpenCL C
    .language_version:
      - 2
      - 0
    .max_flat_workgroup_size: 1024
    .name:           _ZN7rocprim17ROCPRIM_400000_NS6detail17trampoline_kernelINS0_14default_configENS1_25transform_config_selectorImLb1EEEZNS1_14transform_implILb1ES3_S5_PmPlNS0_8identityIvEEEE10hipError_tT2_T3_mT4_P12ihipStream_tbEUlT_E_NS1_11comp_targetILNS1_3genE9ELNS1_11target_archE1100ELNS1_3gpuE3ELNS1_3repE0EEENS1_30default_config_static_selectorELNS0_4arch9wavefront6targetE1EEEvT1_
    .private_segment_fixed_size: 0
    .sgpr_count:     6
    .sgpr_spill_count: 0
    .symbol:         _ZN7rocprim17ROCPRIM_400000_NS6detail17trampoline_kernelINS0_14default_configENS1_25transform_config_selectorImLb1EEEZNS1_14transform_implILb1ES3_S5_PmPlNS0_8identityIvEEEE10hipError_tT2_T3_mT4_P12ihipStream_tbEUlT_E_NS1_11comp_targetILNS1_3genE9ELNS1_11target_archE1100ELNS1_3gpuE3ELNS1_3repE0EEENS1_30default_config_static_selectorELNS0_4arch9wavefront6targetE1EEEvT1_.kd
    .uniform_work_group_size: 1
    .uses_dynamic_stack: false
    .vgpr_count:     0
    .vgpr_spill_count: 0
    .wavefront_size: 64
  - .agpr_count:     0
    .args:
      - .offset:         0
        .size:           40
        .value_kind:     by_value
    .group_segment_fixed_size: 0
    .kernarg_segment_align: 8
    .kernarg_segment_size: 40
    .language:       OpenCL C
    .language_version:
      - 2
      - 0
    .max_flat_workgroup_size: 1024
    .name:           _ZN7rocprim17ROCPRIM_400000_NS6detail17trampoline_kernelINS0_14default_configENS1_25transform_config_selectorImLb1EEEZNS1_14transform_implILb1ES3_S5_PmPlNS0_8identityIvEEEE10hipError_tT2_T3_mT4_P12ihipStream_tbEUlT_E_NS1_11comp_targetILNS1_3genE8ELNS1_11target_archE1030ELNS1_3gpuE2ELNS1_3repE0EEENS1_30default_config_static_selectorELNS0_4arch9wavefront6targetE1EEEvT1_
    .private_segment_fixed_size: 0
    .sgpr_count:     6
    .sgpr_spill_count: 0
    .symbol:         _ZN7rocprim17ROCPRIM_400000_NS6detail17trampoline_kernelINS0_14default_configENS1_25transform_config_selectorImLb1EEEZNS1_14transform_implILb1ES3_S5_PmPlNS0_8identityIvEEEE10hipError_tT2_T3_mT4_P12ihipStream_tbEUlT_E_NS1_11comp_targetILNS1_3genE8ELNS1_11target_archE1030ELNS1_3gpuE2ELNS1_3repE0EEENS1_30default_config_static_selectorELNS0_4arch9wavefront6targetE1EEEvT1_.kd
    .uniform_work_group_size: 1
    .uses_dynamic_stack: false
    .vgpr_count:     0
    .vgpr_spill_count: 0
    .wavefront_size: 64
  - .agpr_count:     0
    .args:
      - .address_space:  global
        .offset:         0
        .size:           8
        .value_kind:     global_buffer
      - .offset:         8
        .size:           4
        .value_kind:     by_value
      - .address_space:  global
        .offset:         16
        .size:           8
        .value_kind:     global_buffer
      - .offset:         24
        .size:           4
        .value_kind:     by_value
      - .address_space:  global
        .offset:         32
        .size:           8
        .value_kind:     global_buffer
      - .offset:         40
        .size:           4
        .value_kind:     hidden_block_count_x
      - .offset:         44
        .size:           4
        .value_kind:     hidden_block_count_y
      - .offset:         48
        .size:           4
        .value_kind:     hidden_block_count_z
      - .offset:         52
        .size:           2
        .value_kind:     hidden_group_size_x
      - .offset:         54
        .size:           2
        .value_kind:     hidden_group_size_y
      - .offset:         56
        .size:           2
        .value_kind:     hidden_group_size_z
      - .offset:         58
        .size:           2
        .value_kind:     hidden_remainder_x
      - .offset:         60
        .size:           2
        .value_kind:     hidden_remainder_y
      - .offset:         62
        .size:           2
        .value_kind:     hidden_remainder_z
      - .offset:         80
        .size:           8
        .value_kind:     hidden_global_offset_x
      - .offset:         88
        .size:           8
        .value_kind:     hidden_global_offset_y
      - .offset:         96
        .size:           8
        .value_kind:     hidden_global_offset_z
      - .offset:         104
        .size:           2
        .value_kind:     hidden_grid_dims
    .group_segment_fixed_size: 0
    .kernarg_segment_align: 8
    .kernarg_segment_size: 296
    .language:       OpenCL C
    .language_version:
      - 2
      - 0
    .max_flat_workgroup_size: 256
    .name:           _ZN7rocprim17ROCPRIM_400000_NS6detail31init_lookback_scan_state_kernelINS1_19lookback_scan_stateIjLb1ELb1EEENS1_16block_id_wrapperIjLb1EEEEEvT_jT0_jPNS7_10value_typeE
    .private_segment_fixed_size: 0
    .sgpr_count:     20
    .sgpr_spill_count: 0
    .symbol:         _ZN7rocprim17ROCPRIM_400000_NS6detail31init_lookback_scan_state_kernelINS1_19lookback_scan_stateIjLb1ELb1EEENS1_16block_id_wrapperIjLb1EEEEEvT_jT0_jPNS7_10value_typeE.kd
    .uniform_work_group_size: 1
    .uses_dynamic_stack: false
    .vgpr_count:     6
    .vgpr_spill_count: 0
    .wavefront_size: 64
  - .agpr_count:     0
    .args:
      - .offset:         0
        .size:           128
        .value_kind:     by_value
    .group_segment_fixed_size: 0
    .kernarg_segment_align: 8
    .kernarg_segment_size: 128
    .language:       OpenCL C
    .language_version:
      - 2
      - 0
    .max_flat_workgroup_size: 512
    .name:           _ZN7rocprim17ROCPRIM_400000_NS6detail17trampoline_kernelINS0_14default_configENS1_25partition_config_selectorILNS1_17partition_subalgoE8EiNS0_10empty_typeEbEEZZNS1_14partition_implILS5_8ELb0ES3_jPKiPS6_PKS6_NS0_5tupleIJPiS6_EEENSE_IJSB_SB_EEENS0_18inequality_wrapperIN6hipcub16HIPCUB_304000_NS8EqualityEEEPlJS6_EEE10hipError_tPvRmT3_T4_T5_T6_T7_T9_mT8_P12ihipStream_tbDpT10_ENKUlT_T0_E_clISt17integral_constantIbLb1EES17_EEDaS12_S13_EUlS12_E_NS1_11comp_targetILNS1_3genE0ELNS1_11target_archE4294967295ELNS1_3gpuE0ELNS1_3repE0EEENS1_30default_config_static_selectorELNS0_4arch9wavefront6targetE1EEEvT1_
    .private_segment_fixed_size: 0
    .sgpr_count:     6
    .sgpr_spill_count: 0
    .symbol:         _ZN7rocprim17ROCPRIM_400000_NS6detail17trampoline_kernelINS0_14default_configENS1_25partition_config_selectorILNS1_17partition_subalgoE8EiNS0_10empty_typeEbEEZZNS1_14partition_implILS5_8ELb0ES3_jPKiPS6_PKS6_NS0_5tupleIJPiS6_EEENSE_IJSB_SB_EEENS0_18inequality_wrapperIN6hipcub16HIPCUB_304000_NS8EqualityEEEPlJS6_EEE10hipError_tPvRmT3_T4_T5_T6_T7_T9_mT8_P12ihipStream_tbDpT10_ENKUlT_T0_E_clISt17integral_constantIbLb1EES17_EEDaS12_S13_EUlS12_E_NS1_11comp_targetILNS1_3genE0ELNS1_11target_archE4294967295ELNS1_3gpuE0ELNS1_3repE0EEENS1_30default_config_static_selectorELNS0_4arch9wavefront6targetE1EEEvT1_.kd
    .uniform_work_group_size: 1
    .uses_dynamic_stack: false
    .vgpr_count:     0
    .vgpr_spill_count: 0
    .wavefront_size: 64
  - .agpr_count:     0
    .args:
      - .offset:         0
        .size:           128
        .value_kind:     by_value
    .group_segment_fixed_size: 0
    .kernarg_segment_align: 8
    .kernarg_segment_size: 128
    .language:       OpenCL C
    .language_version:
      - 2
      - 0
    .max_flat_workgroup_size: 512
    .name:           _ZN7rocprim17ROCPRIM_400000_NS6detail17trampoline_kernelINS0_14default_configENS1_25partition_config_selectorILNS1_17partition_subalgoE8EiNS0_10empty_typeEbEEZZNS1_14partition_implILS5_8ELb0ES3_jPKiPS6_PKS6_NS0_5tupleIJPiS6_EEENSE_IJSB_SB_EEENS0_18inequality_wrapperIN6hipcub16HIPCUB_304000_NS8EqualityEEEPlJS6_EEE10hipError_tPvRmT3_T4_T5_T6_T7_T9_mT8_P12ihipStream_tbDpT10_ENKUlT_T0_E_clISt17integral_constantIbLb1EES17_EEDaS12_S13_EUlS12_E_NS1_11comp_targetILNS1_3genE5ELNS1_11target_archE942ELNS1_3gpuE9ELNS1_3repE0EEENS1_30default_config_static_selectorELNS0_4arch9wavefront6targetE1EEEvT1_
    .private_segment_fixed_size: 0
    .sgpr_count:     6
    .sgpr_spill_count: 0
    .symbol:         _ZN7rocprim17ROCPRIM_400000_NS6detail17trampoline_kernelINS0_14default_configENS1_25partition_config_selectorILNS1_17partition_subalgoE8EiNS0_10empty_typeEbEEZZNS1_14partition_implILS5_8ELb0ES3_jPKiPS6_PKS6_NS0_5tupleIJPiS6_EEENSE_IJSB_SB_EEENS0_18inequality_wrapperIN6hipcub16HIPCUB_304000_NS8EqualityEEEPlJS6_EEE10hipError_tPvRmT3_T4_T5_T6_T7_T9_mT8_P12ihipStream_tbDpT10_ENKUlT_T0_E_clISt17integral_constantIbLb1EES17_EEDaS12_S13_EUlS12_E_NS1_11comp_targetILNS1_3genE5ELNS1_11target_archE942ELNS1_3gpuE9ELNS1_3repE0EEENS1_30default_config_static_selectorELNS0_4arch9wavefront6targetE1EEEvT1_.kd
    .uniform_work_group_size: 1
    .uses_dynamic_stack: false
    .vgpr_count:     0
    .vgpr_spill_count: 0
    .wavefront_size: 64
  - .agpr_count:     0
    .args:
      - .offset:         0
        .size:           128
        .value_kind:     by_value
    .group_segment_fixed_size: 0
    .kernarg_segment_align: 8
    .kernarg_segment_size: 128
    .language:       OpenCL C
    .language_version:
      - 2
      - 0
    .max_flat_workgroup_size: 256
    .name:           _ZN7rocprim17ROCPRIM_400000_NS6detail17trampoline_kernelINS0_14default_configENS1_25partition_config_selectorILNS1_17partition_subalgoE8EiNS0_10empty_typeEbEEZZNS1_14partition_implILS5_8ELb0ES3_jPKiPS6_PKS6_NS0_5tupleIJPiS6_EEENSE_IJSB_SB_EEENS0_18inequality_wrapperIN6hipcub16HIPCUB_304000_NS8EqualityEEEPlJS6_EEE10hipError_tPvRmT3_T4_T5_T6_T7_T9_mT8_P12ihipStream_tbDpT10_ENKUlT_T0_E_clISt17integral_constantIbLb1EES17_EEDaS12_S13_EUlS12_E_NS1_11comp_targetILNS1_3genE4ELNS1_11target_archE910ELNS1_3gpuE8ELNS1_3repE0EEENS1_30default_config_static_selectorELNS0_4arch9wavefront6targetE1EEEvT1_
    .private_segment_fixed_size: 0
    .sgpr_count:     6
    .sgpr_spill_count: 0
    .symbol:         _ZN7rocprim17ROCPRIM_400000_NS6detail17trampoline_kernelINS0_14default_configENS1_25partition_config_selectorILNS1_17partition_subalgoE8EiNS0_10empty_typeEbEEZZNS1_14partition_implILS5_8ELb0ES3_jPKiPS6_PKS6_NS0_5tupleIJPiS6_EEENSE_IJSB_SB_EEENS0_18inequality_wrapperIN6hipcub16HIPCUB_304000_NS8EqualityEEEPlJS6_EEE10hipError_tPvRmT3_T4_T5_T6_T7_T9_mT8_P12ihipStream_tbDpT10_ENKUlT_T0_E_clISt17integral_constantIbLb1EES17_EEDaS12_S13_EUlS12_E_NS1_11comp_targetILNS1_3genE4ELNS1_11target_archE910ELNS1_3gpuE8ELNS1_3repE0EEENS1_30default_config_static_selectorELNS0_4arch9wavefront6targetE1EEEvT1_.kd
    .uniform_work_group_size: 1
    .uses_dynamic_stack: false
    .vgpr_count:     0
    .vgpr_spill_count: 0
    .wavefront_size: 64
  - .agpr_count:     0
    .args:
      - .offset:         0
        .size:           128
        .value_kind:     by_value
    .group_segment_fixed_size: 0
    .kernarg_segment_align: 8
    .kernarg_segment_size: 128
    .language:       OpenCL C
    .language_version:
      - 2
      - 0
    .max_flat_workgroup_size: 512
    .name:           _ZN7rocprim17ROCPRIM_400000_NS6detail17trampoline_kernelINS0_14default_configENS1_25partition_config_selectorILNS1_17partition_subalgoE8EiNS0_10empty_typeEbEEZZNS1_14partition_implILS5_8ELb0ES3_jPKiPS6_PKS6_NS0_5tupleIJPiS6_EEENSE_IJSB_SB_EEENS0_18inequality_wrapperIN6hipcub16HIPCUB_304000_NS8EqualityEEEPlJS6_EEE10hipError_tPvRmT3_T4_T5_T6_T7_T9_mT8_P12ihipStream_tbDpT10_ENKUlT_T0_E_clISt17integral_constantIbLb1EES17_EEDaS12_S13_EUlS12_E_NS1_11comp_targetILNS1_3genE3ELNS1_11target_archE908ELNS1_3gpuE7ELNS1_3repE0EEENS1_30default_config_static_selectorELNS0_4arch9wavefront6targetE1EEEvT1_
    .private_segment_fixed_size: 0
    .sgpr_count:     6
    .sgpr_spill_count: 0
    .symbol:         _ZN7rocprim17ROCPRIM_400000_NS6detail17trampoline_kernelINS0_14default_configENS1_25partition_config_selectorILNS1_17partition_subalgoE8EiNS0_10empty_typeEbEEZZNS1_14partition_implILS5_8ELb0ES3_jPKiPS6_PKS6_NS0_5tupleIJPiS6_EEENSE_IJSB_SB_EEENS0_18inequality_wrapperIN6hipcub16HIPCUB_304000_NS8EqualityEEEPlJS6_EEE10hipError_tPvRmT3_T4_T5_T6_T7_T9_mT8_P12ihipStream_tbDpT10_ENKUlT_T0_E_clISt17integral_constantIbLb1EES17_EEDaS12_S13_EUlS12_E_NS1_11comp_targetILNS1_3genE3ELNS1_11target_archE908ELNS1_3gpuE7ELNS1_3repE0EEENS1_30default_config_static_selectorELNS0_4arch9wavefront6targetE1EEEvT1_.kd
    .uniform_work_group_size: 1
    .uses_dynamic_stack: false
    .vgpr_count:     0
    .vgpr_spill_count: 0
    .wavefront_size: 64
  - .agpr_count:     0
    .args:
      - .offset:         0
        .size:           128
        .value_kind:     by_value
    .group_segment_fixed_size: 0
    .kernarg_segment_align: 8
    .kernarg_segment_size: 128
    .language:       OpenCL C
    .language_version:
      - 2
      - 0
    .max_flat_workgroup_size: 256
    .name:           _ZN7rocprim17ROCPRIM_400000_NS6detail17trampoline_kernelINS0_14default_configENS1_25partition_config_selectorILNS1_17partition_subalgoE8EiNS0_10empty_typeEbEEZZNS1_14partition_implILS5_8ELb0ES3_jPKiPS6_PKS6_NS0_5tupleIJPiS6_EEENSE_IJSB_SB_EEENS0_18inequality_wrapperIN6hipcub16HIPCUB_304000_NS8EqualityEEEPlJS6_EEE10hipError_tPvRmT3_T4_T5_T6_T7_T9_mT8_P12ihipStream_tbDpT10_ENKUlT_T0_E_clISt17integral_constantIbLb1EES17_EEDaS12_S13_EUlS12_E_NS1_11comp_targetILNS1_3genE2ELNS1_11target_archE906ELNS1_3gpuE6ELNS1_3repE0EEENS1_30default_config_static_selectorELNS0_4arch9wavefront6targetE1EEEvT1_
    .private_segment_fixed_size: 0
    .sgpr_count:     6
    .sgpr_spill_count: 0
    .symbol:         _ZN7rocprim17ROCPRIM_400000_NS6detail17trampoline_kernelINS0_14default_configENS1_25partition_config_selectorILNS1_17partition_subalgoE8EiNS0_10empty_typeEbEEZZNS1_14partition_implILS5_8ELb0ES3_jPKiPS6_PKS6_NS0_5tupleIJPiS6_EEENSE_IJSB_SB_EEENS0_18inequality_wrapperIN6hipcub16HIPCUB_304000_NS8EqualityEEEPlJS6_EEE10hipError_tPvRmT3_T4_T5_T6_T7_T9_mT8_P12ihipStream_tbDpT10_ENKUlT_T0_E_clISt17integral_constantIbLb1EES17_EEDaS12_S13_EUlS12_E_NS1_11comp_targetILNS1_3genE2ELNS1_11target_archE906ELNS1_3gpuE6ELNS1_3repE0EEENS1_30default_config_static_selectorELNS0_4arch9wavefront6targetE1EEEvT1_.kd
    .uniform_work_group_size: 1
    .uses_dynamic_stack: false
    .vgpr_count:     0
    .vgpr_spill_count: 0
    .wavefront_size: 64
  - .agpr_count:     0
    .args:
      - .offset:         0
        .size:           128
        .value_kind:     by_value
    .group_segment_fixed_size: 0
    .kernarg_segment_align: 8
    .kernarg_segment_size: 128
    .language:       OpenCL C
    .language_version:
      - 2
      - 0
    .max_flat_workgroup_size: 384
    .name:           _ZN7rocprim17ROCPRIM_400000_NS6detail17trampoline_kernelINS0_14default_configENS1_25partition_config_selectorILNS1_17partition_subalgoE8EiNS0_10empty_typeEbEEZZNS1_14partition_implILS5_8ELb0ES3_jPKiPS6_PKS6_NS0_5tupleIJPiS6_EEENSE_IJSB_SB_EEENS0_18inequality_wrapperIN6hipcub16HIPCUB_304000_NS8EqualityEEEPlJS6_EEE10hipError_tPvRmT3_T4_T5_T6_T7_T9_mT8_P12ihipStream_tbDpT10_ENKUlT_T0_E_clISt17integral_constantIbLb1EES17_EEDaS12_S13_EUlS12_E_NS1_11comp_targetILNS1_3genE10ELNS1_11target_archE1200ELNS1_3gpuE4ELNS1_3repE0EEENS1_30default_config_static_selectorELNS0_4arch9wavefront6targetE1EEEvT1_
    .private_segment_fixed_size: 0
    .sgpr_count:     6
    .sgpr_spill_count: 0
    .symbol:         _ZN7rocprim17ROCPRIM_400000_NS6detail17trampoline_kernelINS0_14default_configENS1_25partition_config_selectorILNS1_17partition_subalgoE8EiNS0_10empty_typeEbEEZZNS1_14partition_implILS5_8ELb0ES3_jPKiPS6_PKS6_NS0_5tupleIJPiS6_EEENSE_IJSB_SB_EEENS0_18inequality_wrapperIN6hipcub16HIPCUB_304000_NS8EqualityEEEPlJS6_EEE10hipError_tPvRmT3_T4_T5_T6_T7_T9_mT8_P12ihipStream_tbDpT10_ENKUlT_T0_E_clISt17integral_constantIbLb1EES17_EEDaS12_S13_EUlS12_E_NS1_11comp_targetILNS1_3genE10ELNS1_11target_archE1200ELNS1_3gpuE4ELNS1_3repE0EEENS1_30default_config_static_selectorELNS0_4arch9wavefront6targetE1EEEvT1_.kd
    .uniform_work_group_size: 1
    .uses_dynamic_stack: false
    .vgpr_count:     0
    .vgpr_spill_count: 0
    .wavefront_size: 64
  - .agpr_count:     0
    .args:
      - .offset:         0
        .size:           128
        .value_kind:     by_value
    .group_segment_fixed_size: 0
    .kernarg_segment_align: 8
    .kernarg_segment_size: 128
    .language:       OpenCL C
    .language_version:
      - 2
      - 0
    .max_flat_workgroup_size: 384
    .name:           _ZN7rocprim17ROCPRIM_400000_NS6detail17trampoline_kernelINS0_14default_configENS1_25partition_config_selectorILNS1_17partition_subalgoE8EiNS0_10empty_typeEbEEZZNS1_14partition_implILS5_8ELb0ES3_jPKiPS6_PKS6_NS0_5tupleIJPiS6_EEENSE_IJSB_SB_EEENS0_18inequality_wrapperIN6hipcub16HIPCUB_304000_NS8EqualityEEEPlJS6_EEE10hipError_tPvRmT3_T4_T5_T6_T7_T9_mT8_P12ihipStream_tbDpT10_ENKUlT_T0_E_clISt17integral_constantIbLb1EES17_EEDaS12_S13_EUlS12_E_NS1_11comp_targetILNS1_3genE9ELNS1_11target_archE1100ELNS1_3gpuE3ELNS1_3repE0EEENS1_30default_config_static_selectorELNS0_4arch9wavefront6targetE1EEEvT1_
    .private_segment_fixed_size: 0
    .sgpr_count:     6
    .sgpr_spill_count: 0
    .symbol:         _ZN7rocprim17ROCPRIM_400000_NS6detail17trampoline_kernelINS0_14default_configENS1_25partition_config_selectorILNS1_17partition_subalgoE8EiNS0_10empty_typeEbEEZZNS1_14partition_implILS5_8ELb0ES3_jPKiPS6_PKS6_NS0_5tupleIJPiS6_EEENSE_IJSB_SB_EEENS0_18inequality_wrapperIN6hipcub16HIPCUB_304000_NS8EqualityEEEPlJS6_EEE10hipError_tPvRmT3_T4_T5_T6_T7_T9_mT8_P12ihipStream_tbDpT10_ENKUlT_T0_E_clISt17integral_constantIbLb1EES17_EEDaS12_S13_EUlS12_E_NS1_11comp_targetILNS1_3genE9ELNS1_11target_archE1100ELNS1_3gpuE3ELNS1_3repE0EEENS1_30default_config_static_selectorELNS0_4arch9wavefront6targetE1EEEvT1_.kd
    .uniform_work_group_size: 1
    .uses_dynamic_stack: false
    .vgpr_count:     0
    .vgpr_spill_count: 0
    .wavefront_size: 64
  - .agpr_count:     0
    .args:
      - .offset:         0
        .size:           128
        .value_kind:     by_value
    .group_segment_fixed_size: 0
    .kernarg_segment_align: 8
    .kernarg_segment_size: 128
    .language:       OpenCL C
    .language_version:
      - 2
      - 0
    .max_flat_workgroup_size: 512
    .name:           _ZN7rocprim17ROCPRIM_400000_NS6detail17trampoline_kernelINS0_14default_configENS1_25partition_config_selectorILNS1_17partition_subalgoE8EiNS0_10empty_typeEbEEZZNS1_14partition_implILS5_8ELb0ES3_jPKiPS6_PKS6_NS0_5tupleIJPiS6_EEENSE_IJSB_SB_EEENS0_18inequality_wrapperIN6hipcub16HIPCUB_304000_NS8EqualityEEEPlJS6_EEE10hipError_tPvRmT3_T4_T5_T6_T7_T9_mT8_P12ihipStream_tbDpT10_ENKUlT_T0_E_clISt17integral_constantIbLb1EES17_EEDaS12_S13_EUlS12_E_NS1_11comp_targetILNS1_3genE8ELNS1_11target_archE1030ELNS1_3gpuE2ELNS1_3repE0EEENS1_30default_config_static_selectorELNS0_4arch9wavefront6targetE1EEEvT1_
    .private_segment_fixed_size: 0
    .sgpr_count:     6
    .sgpr_spill_count: 0
    .symbol:         _ZN7rocprim17ROCPRIM_400000_NS6detail17trampoline_kernelINS0_14default_configENS1_25partition_config_selectorILNS1_17partition_subalgoE8EiNS0_10empty_typeEbEEZZNS1_14partition_implILS5_8ELb0ES3_jPKiPS6_PKS6_NS0_5tupleIJPiS6_EEENSE_IJSB_SB_EEENS0_18inequality_wrapperIN6hipcub16HIPCUB_304000_NS8EqualityEEEPlJS6_EEE10hipError_tPvRmT3_T4_T5_T6_T7_T9_mT8_P12ihipStream_tbDpT10_ENKUlT_T0_E_clISt17integral_constantIbLb1EES17_EEDaS12_S13_EUlS12_E_NS1_11comp_targetILNS1_3genE8ELNS1_11target_archE1030ELNS1_3gpuE2ELNS1_3repE0EEENS1_30default_config_static_selectorELNS0_4arch9wavefront6targetE1EEEvT1_.kd
    .uniform_work_group_size: 1
    .uses_dynamic_stack: false
    .vgpr_count:     0
    .vgpr_spill_count: 0
    .wavefront_size: 64
  - .agpr_count:     0
    .args:
      - .address_space:  global
        .offset:         0
        .size:           8
        .value_kind:     global_buffer
      - .offset:         8
        .size:           4
        .value_kind:     by_value
      - .offset:         12
        .size:           1
        .value_kind:     by_value
      - .offset:         16
        .size:           4
        .value_kind:     by_value
      - .address_space:  global
        .offset:         24
        .size:           8
        .value_kind:     global_buffer
      - .offset:         32
        .size:           4
        .value_kind:     hidden_block_count_x
      - .offset:         36
        .size:           4
        .value_kind:     hidden_block_count_y
      - .offset:         40
        .size:           4
        .value_kind:     hidden_block_count_z
      - .offset:         44
        .size:           2
        .value_kind:     hidden_group_size_x
      - .offset:         46
        .size:           2
        .value_kind:     hidden_group_size_y
      - .offset:         48
        .size:           2
        .value_kind:     hidden_group_size_z
      - .offset:         50
        .size:           2
        .value_kind:     hidden_remainder_x
      - .offset:         52
        .size:           2
        .value_kind:     hidden_remainder_y
      - .offset:         54
        .size:           2
        .value_kind:     hidden_remainder_z
      - .offset:         72
        .size:           8
        .value_kind:     hidden_global_offset_x
      - .offset:         80
        .size:           8
        .value_kind:     hidden_global_offset_y
      - .offset:         88
        .size:           8
        .value_kind:     hidden_global_offset_z
      - .offset:         96
        .size:           2
        .value_kind:     hidden_grid_dims
    .group_segment_fixed_size: 0
    .kernarg_segment_align: 8
    .kernarg_segment_size: 288
    .language:       OpenCL C
    .language_version:
      - 2
      - 0
    .max_flat_workgroup_size: 256
    .name:           _ZN7rocprim17ROCPRIM_400000_NS6detail31init_lookback_scan_state_kernelINS1_19lookback_scan_stateIjLb1ELb1EEENS1_16block_id_wrapperIjLb0EEEEEvT_jT0_jPNS7_10value_typeE
    .private_segment_fixed_size: 0
    .sgpr_count:     18
    .sgpr_spill_count: 0
    .symbol:         _ZN7rocprim17ROCPRIM_400000_NS6detail31init_lookback_scan_state_kernelINS1_19lookback_scan_stateIjLb1ELb1EEENS1_16block_id_wrapperIjLb0EEEEEvT_jT0_jPNS7_10value_typeE.kd
    .uniform_work_group_size: 1
    .uses_dynamic_stack: false
    .vgpr_count:     6
    .vgpr_spill_count: 0
    .wavefront_size: 64
  - .agpr_count:     0
    .args:
      - .offset:         0
        .size:           112
        .value_kind:     by_value
    .group_segment_fixed_size: 0
    .kernarg_segment_align: 8
    .kernarg_segment_size: 112
    .language:       OpenCL C
    .language_version:
      - 2
      - 0
    .max_flat_workgroup_size: 512
    .name:           _ZN7rocprim17ROCPRIM_400000_NS6detail17trampoline_kernelINS0_14default_configENS1_25partition_config_selectorILNS1_17partition_subalgoE8EiNS0_10empty_typeEbEEZZNS1_14partition_implILS5_8ELb0ES3_jPKiPS6_PKS6_NS0_5tupleIJPiS6_EEENSE_IJSB_SB_EEENS0_18inequality_wrapperIN6hipcub16HIPCUB_304000_NS8EqualityEEEPlJS6_EEE10hipError_tPvRmT3_T4_T5_T6_T7_T9_mT8_P12ihipStream_tbDpT10_ENKUlT_T0_E_clISt17integral_constantIbLb1EES16_IbLb0EEEEDaS12_S13_EUlS12_E_NS1_11comp_targetILNS1_3genE0ELNS1_11target_archE4294967295ELNS1_3gpuE0ELNS1_3repE0EEENS1_30default_config_static_selectorELNS0_4arch9wavefront6targetE1EEEvT1_
    .private_segment_fixed_size: 0
    .sgpr_count:     6
    .sgpr_spill_count: 0
    .symbol:         _ZN7rocprim17ROCPRIM_400000_NS6detail17trampoline_kernelINS0_14default_configENS1_25partition_config_selectorILNS1_17partition_subalgoE8EiNS0_10empty_typeEbEEZZNS1_14partition_implILS5_8ELb0ES3_jPKiPS6_PKS6_NS0_5tupleIJPiS6_EEENSE_IJSB_SB_EEENS0_18inequality_wrapperIN6hipcub16HIPCUB_304000_NS8EqualityEEEPlJS6_EEE10hipError_tPvRmT3_T4_T5_T6_T7_T9_mT8_P12ihipStream_tbDpT10_ENKUlT_T0_E_clISt17integral_constantIbLb1EES16_IbLb0EEEEDaS12_S13_EUlS12_E_NS1_11comp_targetILNS1_3genE0ELNS1_11target_archE4294967295ELNS1_3gpuE0ELNS1_3repE0EEENS1_30default_config_static_selectorELNS0_4arch9wavefront6targetE1EEEvT1_.kd
    .uniform_work_group_size: 1
    .uses_dynamic_stack: false
    .vgpr_count:     0
    .vgpr_spill_count: 0
    .wavefront_size: 64
  - .agpr_count:     0
    .args:
      - .offset:         0
        .size:           112
        .value_kind:     by_value
    .group_segment_fixed_size: 0
    .kernarg_segment_align: 8
    .kernarg_segment_size: 112
    .language:       OpenCL C
    .language_version:
      - 2
      - 0
    .max_flat_workgroup_size: 512
    .name:           _ZN7rocprim17ROCPRIM_400000_NS6detail17trampoline_kernelINS0_14default_configENS1_25partition_config_selectorILNS1_17partition_subalgoE8EiNS0_10empty_typeEbEEZZNS1_14partition_implILS5_8ELb0ES3_jPKiPS6_PKS6_NS0_5tupleIJPiS6_EEENSE_IJSB_SB_EEENS0_18inequality_wrapperIN6hipcub16HIPCUB_304000_NS8EqualityEEEPlJS6_EEE10hipError_tPvRmT3_T4_T5_T6_T7_T9_mT8_P12ihipStream_tbDpT10_ENKUlT_T0_E_clISt17integral_constantIbLb1EES16_IbLb0EEEEDaS12_S13_EUlS12_E_NS1_11comp_targetILNS1_3genE5ELNS1_11target_archE942ELNS1_3gpuE9ELNS1_3repE0EEENS1_30default_config_static_selectorELNS0_4arch9wavefront6targetE1EEEvT1_
    .private_segment_fixed_size: 0
    .sgpr_count:     6
    .sgpr_spill_count: 0
    .symbol:         _ZN7rocprim17ROCPRIM_400000_NS6detail17trampoline_kernelINS0_14default_configENS1_25partition_config_selectorILNS1_17partition_subalgoE8EiNS0_10empty_typeEbEEZZNS1_14partition_implILS5_8ELb0ES3_jPKiPS6_PKS6_NS0_5tupleIJPiS6_EEENSE_IJSB_SB_EEENS0_18inequality_wrapperIN6hipcub16HIPCUB_304000_NS8EqualityEEEPlJS6_EEE10hipError_tPvRmT3_T4_T5_T6_T7_T9_mT8_P12ihipStream_tbDpT10_ENKUlT_T0_E_clISt17integral_constantIbLb1EES16_IbLb0EEEEDaS12_S13_EUlS12_E_NS1_11comp_targetILNS1_3genE5ELNS1_11target_archE942ELNS1_3gpuE9ELNS1_3repE0EEENS1_30default_config_static_selectorELNS0_4arch9wavefront6targetE1EEEvT1_.kd
    .uniform_work_group_size: 1
    .uses_dynamic_stack: false
    .vgpr_count:     0
    .vgpr_spill_count: 0
    .wavefront_size: 64
  - .agpr_count:     0
    .args:
      - .offset:         0
        .size:           112
        .value_kind:     by_value
    .group_segment_fixed_size: 0
    .kernarg_segment_align: 8
    .kernarg_segment_size: 112
    .language:       OpenCL C
    .language_version:
      - 2
      - 0
    .max_flat_workgroup_size: 256
    .name:           _ZN7rocprim17ROCPRIM_400000_NS6detail17trampoline_kernelINS0_14default_configENS1_25partition_config_selectorILNS1_17partition_subalgoE8EiNS0_10empty_typeEbEEZZNS1_14partition_implILS5_8ELb0ES3_jPKiPS6_PKS6_NS0_5tupleIJPiS6_EEENSE_IJSB_SB_EEENS0_18inequality_wrapperIN6hipcub16HIPCUB_304000_NS8EqualityEEEPlJS6_EEE10hipError_tPvRmT3_T4_T5_T6_T7_T9_mT8_P12ihipStream_tbDpT10_ENKUlT_T0_E_clISt17integral_constantIbLb1EES16_IbLb0EEEEDaS12_S13_EUlS12_E_NS1_11comp_targetILNS1_3genE4ELNS1_11target_archE910ELNS1_3gpuE8ELNS1_3repE0EEENS1_30default_config_static_selectorELNS0_4arch9wavefront6targetE1EEEvT1_
    .private_segment_fixed_size: 0
    .sgpr_count:     6
    .sgpr_spill_count: 0
    .symbol:         _ZN7rocprim17ROCPRIM_400000_NS6detail17trampoline_kernelINS0_14default_configENS1_25partition_config_selectorILNS1_17partition_subalgoE8EiNS0_10empty_typeEbEEZZNS1_14partition_implILS5_8ELb0ES3_jPKiPS6_PKS6_NS0_5tupleIJPiS6_EEENSE_IJSB_SB_EEENS0_18inequality_wrapperIN6hipcub16HIPCUB_304000_NS8EqualityEEEPlJS6_EEE10hipError_tPvRmT3_T4_T5_T6_T7_T9_mT8_P12ihipStream_tbDpT10_ENKUlT_T0_E_clISt17integral_constantIbLb1EES16_IbLb0EEEEDaS12_S13_EUlS12_E_NS1_11comp_targetILNS1_3genE4ELNS1_11target_archE910ELNS1_3gpuE8ELNS1_3repE0EEENS1_30default_config_static_selectorELNS0_4arch9wavefront6targetE1EEEvT1_.kd
    .uniform_work_group_size: 1
    .uses_dynamic_stack: false
    .vgpr_count:     0
    .vgpr_spill_count: 0
    .wavefront_size: 64
  - .agpr_count:     0
    .args:
      - .offset:         0
        .size:           112
        .value_kind:     by_value
    .group_segment_fixed_size: 0
    .kernarg_segment_align: 8
    .kernarg_segment_size: 112
    .language:       OpenCL C
    .language_version:
      - 2
      - 0
    .max_flat_workgroup_size: 512
    .name:           _ZN7rocprim17ROCPRIM_400000_NS6detail17trampoline_kernelINS0_14default_configENS1_25partition_config_selectorILNS1_17partition_subalgoE8EiNS0_10empty_typeEbEEZZNS1_14partition_implILS5_8ELb0ES3_jPKiPS6_PKS6_NS0_5tupleIJPiS6_EEENSE_IJSB_SB_EEENS0_18inequality_wrapperIN6hipcub16HIPCUB_304000_NS8EqualityEEEPlJS6_EEE10hipError_tPvRmT3_T4_T5_T6_T7_T9_mT8_P12ihipStream_tbDpT10_ENKUlT_T0_E_clISt17integral_constantIbLb1EES16_IbLb0EEEEDaS12_S13_EUlS12_E_NS1_11comp_targetILNS1_3genE3ELNS1_11target_archE908ELNS1_3gpuE7ELNS1_3repE0EEENS1_30default_config_static_selectorELNS0_4arch9wavefront6targetE1EEEvT1_
    .private_segment_fixed_size: 0
    .sgpr_count:     6
    .sgpr_spill_count: 0
    .symbol:         _ZN7rocprim17ROCPRIM_400000_NS6detail17trampoline_kernelINS0_14default_configENS1_25partition_config_selectorILNS1_17partition_subalgoE8EiNS0_10empty_typeEbEEZZNS1_14partition_implILS5_8ELb0ES3_jPKiPS6_PKS6_NS0_5tupleIJPiS6_EEENSE_IJSB_SB_EEENS0_18inequality_wrapperIN6hipcub16HIPCUB_304000_NS8EqualityEEEPlJS6_EEE10hipError_tPvRmT3_T4_T5_T6_T7_T9_mT8_P12ihipStream_tbDpT10_ENKUlT_T0_E_clISt17integral_constantIbLb1EES16_IbLb0EEEEDaS12_S13_EUlS12_E_NS1_11comp_targetILNS1_3genE3ELNS1_11target_archE908ELNS1_3gpuE7ELNS1_3repE0EEENS1_30default_config_static_selectorELNS0_4arch9wavefront6targetE1EEEvT1_.kd
    .uniform_work_group_size: 1
    .uses_dynamic_stack: false
    .vgpr_count:     0
    .vgpr_spill_count: 0
    .wavefront_size: 64
  - .agpr_count:     0
    .args:
      - .offset:         0
        .size:           112
        .value_kind:     by_value
    .group_segment_fixed_size: 0
    .kernarg_segment_align: 8
    .kernarg_segment_size: 112
    .language:       OpenCL C
    .language_version:
      - 2
      - 0
    .max_flat_workgroup_size: 256
    .name:           _ZN7rocprim17ROCPRIM_400000_NS6detail17trampoline_kernelINS0_14default_configENS1_25partition_config_selectorILNS1_17partition_subalgoE8EiNS0_10empty_typeEbEEZZNS1_14partition_implILS5_8ELb0ES3_jPKiPS6_PKS6_NS0_5tupleIJPiS6_EEENSE_IJSB_SB_EEENS0_18inequality_wrapperIN6hipcub16HIPCUB_304000_NS8EqualityEEEPlJS6_EEE10hipError_tPvRmT3_T4_T5_T6_T7_T9_mT8_P12ihipStream_tbDpT10_ENKUlT_T0_E_clISt17integral_constantIbLb1EES16_IbLb0EEEEDaS12_S13_EUlS12_E_NS1_11comp_targetILNS1_3genE2ELNS1_11target_archE906ELNS1_3gpuE6ELNS1_3repE0EEENS1_30default_config_static_selectorELNS0_4arch9wavefront6targetE1EEEvT1_
    .private_segment_fixed_size: 0
    .sgpr_count:     6
    .sgpr_spill_count: 0
    .symbol:         _ZN7rocprim17ROCPRIM_400000_NS6detail17trampoline_kernelINS0_14default_configENS1_25partition_config_selectorILNS1_17partition_subalgoE8EiNS0_10empty_typeEbEEZZNS1_14partition_implILS5_8ELb0ES3_jPKiPS6_PKS6_NS0_5tupleIJPiS6_EEENSE_IJSB_SB_EEENS0_18inequality_wrapperIN6hipcub16HIPCUB_304000_NS8EqualityEEEPlJS6_EEE10hipError_tPvRmT3_T4_T5_T6_T7_T9_mT8_P12ihipStream_tbDpT10_ENKUlT_T0_E_clISt17integral_constantIbLb1EES16_IbLb0EEEEDaS12_S13_EUlS12_E_NS1_11comp_targetILNS1_3genE2ELNS1_11target_archE906ELNS1_3gpuE6ELNS1_3repE0EEENS1_30default_config_static_selectorELNS0_4arch9wavefront6targetE1EEEvT1_.kd
    .uniform_work_group_size: 1
    .uses_dynamic_stack: false
    .vgpr_count:     0
    .vgpr_spill_count: 0
    .wavefront_size: 64
  - .agpr_count:     0
    .args:
      - .offset:         0
        .size:           112
        .value_kind:     by_value
    .group_segment_fixed_size: 0
    .kernarg_segment_align: 8
    .kernarg_segment_size: 112
    .language:       OpenCL C
    .language_version:
      - 2
      - 0
    .max_flat_workgroup_size: 384
    .name:           _ZN7rocprim17ROCPRIM_400000_NS6detail17trampoline_kernelINS0_14default_configENS1_25partition_config_selectorILNS1_17partition_subalgoE8EiNS0_10empty_typeEbEEZZNS1_14partition_implILS5_8ELb0ES3_jPKiPS6_PKS6_NS0_5tupleIJPiS6_EEENSE_IJSB_SB_EEENS0_18inequality_wrapperIN6hipcub16HIPCUB_304000_NS8EqualityEEEPlJS6_EEE10hipError_tPvRmT3_T4_T5_T6_T7_T9_mT8_P12ihipStream_tbDpT10_ENKUlT_T0_E_clISt17integral_constantIbLb1EES16_IbLb0EEEEDaS12_S13_EUlS12_E_NS1_11comp_targetILNS1_3genE10ELNS1_11target_archE1200ELNS1_3gpuE4ELNS1_3repE0EEENS1_30default_config_static_selectorELNS0_4arch9wavefront6targetE1EEEvT1_
    .private_segment_fixed_size: 0
    .sgpr_count:     6
    .sgpr_spill_count: 0
    .symbol:         _ZN7rocprim17ROCPRIM_400000_NS6detail17trampoline_kernelINS0_14default_configENS1_25partition_config_selectorILNS1_17partition_subalgoE8EiNS0_10empty_typeEbEEZZNS1_14partition_implILS5_8ELb0ES3_jPKiPS6_PKS6_NS0_5tupleIJPiS6_EEENSE_IJSB_SB_EEENS0_18inequality_wrapperIN6hipcub16HIPCUB_304000_NS8EqualityEEEPlJS6_EEE10hipError_tPvRmT3_T4_T5_T6_T7_T9_mT8_P12ihipStream_tbDpT10_ENKUlT_T0_E_clISt17integral_constantIbLb1EES16_IbLb0EEEEDaS12_S13_EUlS12_E_NS1_11comp_targetILNS1_3genE10ELNS1_11target_archE1200ELNS1_3gpuE4ELNS1_3repE0EEENS1_30default_config_static_selectorELNS0_4arch9wavefront6targetE1EEEvT1_.kd
    .uniform_work_group_size: 1
    .uses_dynamic_stack: false
    .vgpr_count:     0
    .vgpr_spill_count: 0
    .wavefront_size: 64
  - .agpr_count:     0
    .args:
      - .offset:         0
        .size:           112
        .value_kind:     by_value
    .group_segment_fixed_size: 0
    .kernarg_segment_align: 8
    .kernarg_segment_size: 112
    .language:       OpenCL C
    .language_version:
      - 2
      - 0
    .max_flat_workgroup_size: 384
    .name:           _ZN7rocprim17ROCPRIM_400000_NS6detail17trampoline_kernelINS0_14default_configENS1_25partition_config_selectorILNS1_17partition_subalgoE8EiNS0_10empty_typeEbEEZZNS1_14partition_implILS5_8ELb0ES3_jPKiPS6_PKS6_NS0_5tupleIJPiS6_EEENSE_IJSB_SB_EEENS0_18inequality_wrapperIN6hipcub16HIPCUB_304000_NS8EqualityEEEPlJS6_EEE10hipError_tPvRmT3_T4_T5_T6_T7_T9_mT8_P12ihipStream_tbDpT10_ENKUlT_T0_E_clISt17integral_constantIbLb1EES16_IbLb0EEEEDaS12_S13_EUlS12_E_NS1_11comp_targetILNS1_3genE9ELNS1_11target_archE1100ELNS1_3gpuE3ELNS1_3repE0EEENS1_30default_config_static_selectorELNS0_4arch9wavefront6targetE1EEEvT1_
    .private_segment_fixed_size: 0
    .sgpr_count:     6
    .sgpr_spill_count: 0
    .symbol:         _ZN7rocprim17ROCPRIM_400000_NS6detail17trampoline_kernelINS0_14default_configENS1_25partition_config_selectorILNS1_17partition_subalgoE8EiNS0_10empty_typeEbEEZZNS1_14partition_implILS5_8ELb0ES3_jPKiPS6_PKS6_NS0_5tupleIJPiS6_EEENSE_IJSB_SB_EEENS0_18inequality_wrapperIN6hipcub16HIPCUB_304000_NS8EqualityEEEPlJS6_EEE10hipError_tPvRmT3_T4_T5_T6_T7_T9_mT8_P12ihipStream_tbDpT10_ENKUlT_T0_E_clISt17integral_constantIbLb1EES16_IbLb0EEEEDaS12_S13_EUlS12_E_NS1_11comp_targetILNS1_3genE9ELNS1_11target_archE1100ELNS1_3gpuE3ELNS1_3repE0EEENS1_30default_config_static_selectorELNS0_4arch9wavefront6targetE1EEEvT1_.kd
    .uniform_work_group_size: 1
    .uses_dynamic_stack: false
    .vgpr_count:     0
    .vgpr_spill_count: 0
    .wavefront_size: 64
  - .agpr_count:     0
    .args:
      - .offset:         0
        .size:           112
        .value_kind:     by_value
    .group_segment_fixed_size: 0
    .kernarg_segment_align: 8
    .kernarg_segment_size: 112
    .language:       OpenCL C
    .language_version:
      - 2
      - 0
    .max_flat_workgroup_size: 512
    .name:           _ZN7rocprim17ROCPRIM_400000_NS6detail17trampoline_kernelINS0_14default_configENS1_25partition_config_selectorILNS1_17partition_subalgoE8EiNS0_10empty_typeEbEEZZNS1_14partition_implILS5_8ELb0ES3_jPKiPS6_PKS6_NS0_5tupleIJPiS6_EEENSE_IJSB_SB_EEENS0_18inequality_wrapperIN6hipcub16HIPCUB_304000_NS8EqualityEEEPlJS6_EEE10hipError_tPvRmT3_T4_T5_T6_T7_T9_mT8_P12ihipStream_tbDpT10_ENKUlT_T0_E_clISt17integral_constantIbLb1EES16_IbLb0EEEEDaS12_S13_EUlS12_E_NS1_11comp_targetILNS1_3genE8ELNS1_11target_archE1030ELNS1_3gpuE2ELNS1_3repE0EEENS1_30default_config_static_selectorELNS0_4arch9wavefront6targetE1EEEvT1_
    .private_segment_fixed_size: 0
    .sgpr_count:     6
    .sgpr_spill_count: 0
    .symbol:         _ZN7rocprim17ROCPRIM_400000_NS6detail17trampoline_kernelINS0_14default_configENS1_25partition_config_selectorILNS1_17partition_subalgoE8EiNS0_10empty_typeEbEEZZNS1_14partition_implILS5_8ELb0ES3_jPKiPS6_PKS6_NS0_5tupleIJPiS6_EEENSE_IJSB_SB_EEENS0_18inequality_wrapperIN6hipcub16HIPCUB_304000_NS8EqualityEEEPlJS6_EEE10hipError_tPvRmT3_T4_T5_T6_T7_T9_mT8_P12ihipStream_tbDpT10_ENKUlT_T0_E_clISt17integral_constantIbLb1EES16_IbLb0EEEEDaS12_S13_EUlS12_E_NS1_11comp_targetILNS1_3genE8ELNS1_11target_archE1030ELNS1_3gpuE2ELNS1_3repE0EEENS1_30default_config_static_selectorELNS0_4arch9wavefront6targetE1EEEvT1_.kd
    .uniform_work_group_size: 1
    .uses_dynamic_stack: false
    .vgpr_count:     0
    .vgpr_spill_count: 0
    .wavefront_size: 64
  - .agpr_count:     0
    .args:
      - .address_space:  global
        .offset:         0
        .size:           8
        .value_kind:     global_buffer
      - .offset:         8
        .size:           4
        .value_kind:     by_value
      - .address_space:  global
        .offset:         16
        .size:           8
        .value_kind:     global_buffer
      - .offset:         24
        .size:           4
        .value_kind:     by_value
      - .address_space:  global
        .offset:         32
        .size:           8
        .value_kind:     global_buffer
      - .offset:         40
        .size:           4
        .value_kind:     hidden_block_count_x
      - .offset:         44
        .size:           4
        .value_kind:     hidden_block_count_y
      - .offset:         48
        .size:           4
        .value_kind:     hidden_block_count_z
      - .offset:         52
        .size:           2
        .value_kind:     hidden_group_size_x
      - .offset:         54
        .size:           2
        .value_kind:     hidden_group_size_y
      - .offset:         56
        .size:           2
        .value_kind:     hidden_group_size_z
      - .offset:         58
        .size:           2
        .value_kind:     hidden_remainder_x
      - .offset:         60
        .size:           2
        .value_kind:     hidden_remainder_y
      - .offset:         62
        .size:           2
        .value_kind:     hidden_remainder_z
      - .offset:         80
        .size:           8
        .value_kind:     hidden_global_offset_x
      - .offset:         88
        .size:           8
        .value_kind:     hidden_global_offset_y
      - .offset:         96
        .size:           8
        .value_kind:     hidden_global_offset_z
      - .offset:         104
        .size:           2
        .value_kind:     hidden_grid_dims
    .group_segment_fixed_size: 0
    .kernarg_segment_align: 8
    .kernarg_segment_size: 296
    .language:       OpenCL C
    .language_version:
      - 2
      - 0
    .max_flat_workgroup_size: 256
    .name:           _ZN7rocprim17ROCPRIM_400000_NS6detail31init_lookback_scan_state_kernelINS1_19lookback_scan_stateIjLb0ELb1EEENS1_16block_id_wrapperIjLb1EEEEEvT_jT0_jPNS7_10value_typeE
    .private_segment_fixed_size: 0
    .sgpr_count:     17
    .sgpr_spill_count: 0
    .symbol:         _ZN7rocprim17ROCPRIM_400000_NS6detail31init_lookback_scan_state_kernelINS1_19lookback_scan_stateIjLb0ELb1EEENS1_16block_id_wrapperIjLb1EEEEEvT_jT0_jPNS7_10value_typeE.kd
    .uniform_work_group_size: 1
    .uses_dynamic_stack: false
    .vgpr_count:     6
    .vgpr_spill_count: 0
    .wavefront_size: 64
  - .agpr_count:     0
    .args:
      - .offset:         0
        .size:           128
        .value_kind:     by_value
    .group_segment_fixed_size: 22536
    .kernarg_segment_align: 8
    .kernarg_segment_size: 128
    .language:       OpenCL C
    .language_version:
      - 2
      - 0
    .max_flat_workgroup_size: 512
    .name:           _ZN7rocprim17ROCPRIM_400000_NS6detail17trampoline_kernelINS0_14default_configENS1_25partition_config_selectorILNS1_17partition_subalgoE8EiNS0_10empty_typeEbEEZZNS1_14partition_implILS5_8ELb0ES3_jPKiPS6_PKS6_NS0_5tupleIJPiS6_EEENSE_IJSB_SB_EEENS0_18inequality_wrapperIN6hipcub16HIPCUB_304000_NS8EqualityEEEPlJS6_EEE10hipError_tPvRmT3_T4_T5_T6_T7_T9_mT8_P12ihipStream_tbDpT10_ENKUlT_T0_E_clISt17integral_constantIbLb0EES16_IbLb1EEEEDaS12_S13_EUlS12_E_NS1_11comp_targetILNS1_3genE0ELNS1_11target_archE4294967295ELNS1_3gpuE0ELNS1_3repE0EEENS1_30default_config_static_selectorELNS0_4arch9wavefront6targetE1EEEvT1_
    .private_segment_fixed_size: 0
    .sgpr_count:     67
    .sgpr_spill_count: 0
    .symbol:         _ZN7rocprim17ROCPRIM_400000_NS6detail17trampoline_kernelINS0_14default_configENS1_25partition_config_selectorILNS1_17partition_subalgoE8EiNS0_10empty_typeEbEEZZNS1_14partition_implILS5_8ELb0ES3_jPKiPS6_PKS6_NS0_5tupleIJPiS6_EEENSE_IJSB_SB_EEENS0_18inequality_wrapperIN6hipcub16HIPCUB_304000_NS8EqualityEEEPlJS6_EEE10hipError_tPvRmT3_T4_T5_T6_T7_T9_mT8_P12ihipStream_tbDpT10_ENKUlT_T0_E_clISt17integral_constantIbLb0EES16_IbLb1EEEEDaS12_S13_EUlS12_E_NS1_11comp_targetILNS1_3genE0ELNS1_11target_archE4294967295ELNS1_3gpuE0ELNS1_3repE0EEENS1_30default_config_static_selectorELNS0_4arch9wavefront6targetE1EEEvT1_.kd
    .uniform_work_group_size: 1
    .uses_dynamic_stack: false
    .vgpr_count:     64
    .vgpr_spill_count: 0
    .wavefront_size: 64
  - .agpr_count:     0
    .args:
      - .offset:         0
        .size:           128
        .value_kind:     by_value
    .group_segment_fixed_size: 0
    .kernarg_segment_align: 8
    .kernarg_segment_size: 128
    .language:       OpenCL C
    .language_version:
      - 2
      - 0
    .max_flat_workgroup_size: 512
    .name:           _ZN7rocprim17ROCPRIM_400000_NS6detail17trampoline_kernelINS0_14default_configENS1_25partition_config_selectorILNS1_17partition_subalgoE8EiNS0_10empty_typeEbEEZZNS1_14partition_implILS5_8ELb0ES3_jPKiPS6_PKS6_NS0_5tupleIJPiS6_EEENSE_IJSB_SB_EEENS0_18inequality_wrapperIN6hipcub16HIPCUB_304000_NS8EqualityEEEPlJS6_EEE10hipError_tPvRmT3_T4_T5_T6_T7_T9_mT8_P12ihipStream_tbDpT10_ENKUlT_T0_E_clISt17integral_constantIbLb0EES16_IbLb1EEEEDaS12_S13_EUlS12_E_NS1_11comp_targetILNS1_3genE5ELNS1_11target_archE942ELNS1_3gpuE9ELNS1_3repE0EEENS1_30default_config_static_selectorELNS0_4arch9wavefront6targetE1EEEvT1_
    .private_segment_fixed_size: 0
    .sgpr_count:     6
    .sgpr_spill_count: 0
    .symbol:         _ZN7rocprim17ROCPRIM_400000_NS6detail17trampoline_kernelINS0_14default_configENS1_25partition_config_selectorILNS1_17partition_subalgoE8EiNS0_10empty_typeEbEEZZNS1_14partition_implILS5_8ELb0ES3_jPKiPS6_PKS6_NS0_5tupleIJPiS6_EEENSE_IJSB_SB_EEENS0_18inequality_wrapperIN6hipcub16HIPCUB_304000_NS8EqualityEEEPlJS6_EEE10hipError_tPvRmT3_T4_T5_T6_T7_T9_mT8_P12ihipStream_tbDpT10_ENKUlT_T0_E_clISt17integral_constantIbLb0EES16_IbLb1EEEEDaS12_S13_EUlS12_E_NS1_11comp_targetILNS1_3genE5ELNS1_11target_archE942ELNS1_3gpuE9ELNS1_3repE0EEENS1_30default_config_static_selectorELNS0_4arch9wavefront6targetE1EEEvT1_.kd
    .uniform_work_group_size: 1
    .uses_dynamic_stack: false
    .vgpr_count:     0
    .vgpr_spill_count: 0
    .wavefront_size: 64
  - .agpr_count:     0
    .args:
      - .offset:         0
        .size:           128
        .value_kind:     by_value
    .group_segment_fixed_size: 0
    .kernarg_segment_align: 8
    .kernarg_segment_size: 128
    .language:       OpenCL C
    .language_version:
      - 2
      - 0
    .max_flat_workgroup_size: 256
    .name:           _ZN7rocprim17ROCPRIM_400000_NS6detail17trampoline_kernelINS0_14default_configENS1_25partition_config_selectorILNS1_17partition_subalgoE8EiNS0_10empty_typeEbEEZZNS1_14partition_implILS5_8ELb0ES3_jPKiPS6_PKS6_NS0_5tupleIJPiS6_EEENSE_IJSB_SB_EEENS0_18inequality_wrapperIN6hipcub16HIPCUB_304000_NS8EqualityEEEPlJS6_EEE10hipError_tPvRmT3_T4_T5_T6_T7_T9_mT8_P12ihipStream_tbDpT10_ENKUlT_T0_E_clISt17integral_constantIbLb0EES16_IbLb1EEEEDaS12_S13_EUlS12_E_NS1_11comp_targetILNS1_3genE4ELNS1_11target_archE910ELNS1_3gpuE8ELNS1_3repE0EEENS1_30default_config_static_selectorELNS0_4arch9wavefront6targetE1EEEvT1_
    .private_segment_fixed_size: 0
    .sgpr_count:     6
    .sgpr_spill_count: 0
    .symbol:         _ZN7rocprim17ROCPRIM_400000_NS6detail17trampoline_kernelINS0_14default_configENS1_25partition_config_selectorILNS1_17partition_subalgoE8EiNS0_10empty_typeEbEEZZNS1_14partition_implILS5_8ELb0ES3_jPKiPS6_PKS6_NS0_5tupleIJPiS6_EEENSE_IJSB_SB_EEENS0_18inequality_wrapperIN6hipcub16HIPCUB_304000_NS8EqualityEEEPlJS6_EEE10hipError_tPvRmT3_T4_T5_T6_T7_T9_mT8_P12ihipStream_tbDpT10_ENKUlT_T0_E_clISt17integral_constantIbLb0EES16_IbLb1EEEEDaS12_S13_EUlS12_E_NS1_11comp_targetILNS1_3genE4ELNS1_11target_archE910ELNS1_3gpuE8ELNS1_3repE0EEENS1_30default_config_static_selectorELNS0_4arch9wavefront6targetE1EEEvT1_.kd
    .uniform_work_group_size: 1
    .uses_dynamic_stack: false
    .vgpr_count:     0
    .vgpr_spill_count: 0
    .wavefront_size: 64
  - .agpr_count:     0
    .args:
      - .offset:         0
        .size:           128
        .value_kind:     by_value
    .group_segment_fixed_size: 0
    .kernarg_segment_align: 8
    .kernarg_segment_size: 128
    .language:       OpenCL C
    .language_version:
      - 2
      - 0
    .max_flat_workgroup_size: 512
    .name:           _ZN7rocprim17ROCPRIM_400000_NS6detail17trampoline_kernelINS0_14default_configENS1_25partition_config_selectorILNS1_17partition_subalgoE8EiNS0_10empty_typeEbEEZZNS1_14partition_implILS5_8ELb0ES3_jPKiPS6_PKS6_NS0_5tupleIJPiS6_EEENSE_IJSB_SB_EEENS0_18inequality_wrapperIN6hipcub16HIPCUB_304000_NS8EqualityEEEPlJS6_EEE10hipError_tPvRmT3_T4_T5_T6_T7_T9_mT8_P12ihipStream_tbDpT10_ENKUlT_T0_E_clISt17integral_constantIbLb0EES16_IbLb1EEEEDaS12_S13_EUlS12_E_NS1_11comp_targetILNS1_3genE3ELNS1_11target_archE908ELNS1_3gpuE7ELNS1_3repE0EEENS1_30default_config_static_selectorELNS0_4arch9wavefront6targetE1EEEvT1_
    .private_segment_fixed_size: 0
    .sgpr_count:     6
    .sgpr_spill_count: 0
    .symbol:         _ZN7rocprim17ROCPRIM_400000_NS6detail17trampoline_kernelINS0_14default_configENS1_25partition_config_selectorILNS1_17partition_subalgoE8EiNS0_10empty_typeEbEEZZNS1_14partition_implILS5_8ELb0ES3_jPKiPS6_PKS6_NS0_5tupleIJPiS6_EEENSE_IJSB_SB_EEENS0_18inequality_wrapperIN6hipcub16HIPCUB_304000_NS8EqualityEEEPlJS6_EEE10hipError_tPvRmT3_T4_T5_T6_T7_T9_mT8_P12ihipStream_tbDpT10_ENKUlT_T0_E_clISt17integral_constantIbLb0EES16_IbLb1EEEEDaS12_S13_EUlS12_E_NS1_11comp_targetILNS1_3genE3ELNS1_11target_archE908ELNS1_3gpuE7ELNS1_3repE0EEENS1_30default_config_static_selectorELNS0_4arch9wavefront6targetE1EEEvT1_.kd
    .uniform_work_group_size: 1
    .uses_dynamic_stack: false
    .vgpr_count:     0
    .vgpr_spill_count: 0
    .wavefront_size: 64
  - .agpr_count:     0
    .args:
      - .offset:         0
        .size:           128
        .value_kind:     by_value
    .group_segment_fixed_size: 0
    .kernarg_segment_align: 8
    .kernarg_segment_size: 128
    .language:       OpenCL C
    .language_version:
      - 2
      - 0
    .max_flat_workgroup_size: 256
    .name:           _ZN7rocprim17ROCPRIM_400000_NS6detail17trampoline_kernelINS0_14default_configENS1_25partition_config_selectorILNS1_17partition_subalgoE8EiNS0_10empty_typeEbEEZZNS1_14partition_implILS5_8ELb0ES3_jPKiPS6_PKS6_NS0_5tupleIJPiS6_EEENSE_IJSB_SB_EEENS0_18inequality_wrapperIN6hipcub16HIPCUB_304000_NS8EqualityEEEPlJS6_EEE10hipError_tPvRmT3_T4_T5_T6_T7_T9_mT8_P12ihipStream_tbDpT10_ENKUlT_T0_E_clISt17integral_constantIbLb0EES16_IbLb1EEEEDaS12_S13_EUlS12_E_NS1_11comp_targetILNS1_3genE2ELNS1_11target_archE906ELNS1_3gpuE6ELNS1_3repE0EEENS1_30default_config_static_selectorELNS0_4arch9wavefront6targetE1EEEvT1_
    .private_segment_fixed_size: 0
    .sgpr_count:     6
    .sgpr_spill_count: 0
    .symbol:         _ZN7rocprim17ROCPRIM_400000_NS6detail17trampoline_kernelINS0_14default_configENS1_25partition_config_selectorILNS1_17partition_subalgoE8EiNS0_10empty_typeEbEEZZNS1_14partition_implILS5_8ELb0ES3_jPKiPS6_PKS6_NS0_5tupleIJPiS6_EEENSE_IJSB_SB_EEENS0_18inequality_wrapperIN6hipcub16HIPCUB_304000_NS8EqualityEEEPlJS6_EEE10hipError_tPvRmT3_T4_T5_T6_T7_T9_mT8_P12ihipStream_tbDpT10_ENKUlT_T0_E_clISt17integral_constantIbLb0EES16_IbLb1EEEEDaS12_S13_EUlS12_E_NS1_11comp_targetILNS1_3genE2ELNS1_11target_archE906ELNS1_3gpuE6ELNS1_3repE0EEENS1_30default_config_static_selectorELNS0_4arch9wavefront6targetE1EEEvT1_.kd
    .uniform_work_group_size: 1
    .uses_dynamic_stack: false
    .vgpr_count:     0
    .vgpr_spill_count: 0
    .wavefront_size: 64
  - .agpr_count:     0
    .args:
      - .offset:         0
        .size:           128
        .value_kind:     by_value
    .group_segment_fixed_size: 0
    .kernarg_segment_align: 8
    .kernarg_segment_size: 128
    .language:       OpenCL C
    .language_version:
      - 2
      - 0
    .max_flat_workgroup_size: 384
    .name:           _ZN7rocprim17ROCPRIM_400000_NS6detail17trampoline_kernelINS0_14default_configENS1_25partition_config_selectorILNS1_17partition_subalgoE8EiNS0_10empty_typeEbEEZZNS1_14partition_implILS5_8ELb0ES3_jPKiPS6_PKS6_NS0_5tupleIJPiS6_EEENSE_IJSB_SB_EEENS0_18inequality_wrapperIN6hipcub16HIPCUB_304000_NS8EqualityEEEPlJS6_EEE10hipError_tPvRmT3_T4_T5_T6_T7_T9_mT8_P12ihipStream_tbDpT10_ENKUlT_T0_E_clISt17integral_constantIbLb0EES16_IbLb1EEEEDaS12_S13_EUlS12_E_NS1_11comp_targetILNS1_3genE10ELNS1_11target_archE1200ELNS1_3gpuE4ELNS1_3repE0EEENS1_30default_config_static_selectorELNS0_4arch9wavefront6targetE1EEEvT1_
    .private_segment_fixed_size: 0
    .sgpr_count:     6
    .sgpr_spill_count: 0
    .symbol:         _ZN7rocprim17ROCPRIM_400000_NS6detail17trampoline_kernelINS0_14default_configENS1_25partition_config_selectorILNS1_17partition_subalgoE8EiNS0_10empty_typeEbEEZZNS1_14partition_implILS5_8ELb0ES3_jPKiPS6_PKS6_NS0_5tupleIJPiS6_EEENSE_IJSB_SB_EEENS0_18inequality_wrapperIN6hipcub16HIPCUB_304000_NS8EqualityEEEPlJS6_EEE10hipError_tPvRmT3_T4_T5_T6_T7_T9_mT8_P12ihipStream_tbDpT10_ENKUlT_T0_E_clISt17integral_constantIbLb0EES16_IbLb1EEEEDaS12_S13_EUlS12_E_NS1_11comp_targetILNS1_3genE10ELNS1_11target_archE1200ELNS1_3gpuE4ELNS1_3repE0EEENS1_30default_config_static_selectorELNS0_4arch9wavefront6targetE1EEEvT1_.kd
    .uniform_work_group_size: 1
    .uses_dynamic_stack: false
    .vgpr_count:     0
    .vgpr_spill_count: 0
    .wavefront_size: 64
  - .agpr_count:     0
    .args:
      - .offset:         0
        .size:           128
        .value_kind:     by_value
    .group_segment_fixed_size: 0
    .kernarg_segment_align: 8
    .kernarg_segment_size: 128
    .language:       OpenCL C
    .language_version:
      - 2
      - 0
    .max_flat_workgroup_size: 384
    .name:           _ZN7rocprim17ROCPRIM_400000_NS6detail17trampoline_kernelINS0_14default_configENS1_25partition_config_selectorILNS1_17partition_subalgoE8EiNS0_10empty_typeEbEEZZNS1_14partition_implILS5_8ELb0ES3_jPKiPS6_PKS6_NS0_5tupleIJPiS6_EEENSE_IJSB_SB_EEENS0_18inequality_wrapperIN6hipcub16HIPCUB_304000_NS8EqualityEEEPlJS6_EEE10hipError_tPvRmT3_T4_T5_T6_T7_T9_mT8_P12ihipStream_tbDpT10_ENKUlT_T0_E_clISt17integral_constantIbLb0EES16_IbLb1EEEEDaS12_S13_EUlS12_E_NS1_11comp_targetILNS1_3genE9ELNS1_11target_archE1100ELNS1_3gpuE3ELNS1_3repE0EEENS1_30default_config_static_selectorELNS0_4arch9wavefront6targetE1EEEvT1_
    .private_segment_fixed_size: 0
    .sgpr_count:     6
    .sgpr_spill_count: 0
    .symbol:         _ZN7rocprim17ROCPRIM_400000_NS6detail17trampoline_kernelINS0_14default_configENS1_25partition_config_selectorILNS1_17partition_subalgoE8EiNS0_10empty_typeEbEEZZNS1_14partition_implILS5_8ELb0ES3_jPKiPS6_PKS6_NS0_5tupleIJPiS6_EEENSE_IJSB_SB_EEENS0_18inequality_wrapperIN6hipcub16HIPCUB_304000_NS8EqualityEEEPlJS6_EEE10hipError_tPvRmT3_T4_T5_T6_T7_T9_mT8_P12ihipStream_tbDpT10_ENKUlT_T0_E_clISt17integral_constantIbLb0EES16_IbLb1EEEEDaS12_S13_EUlS12_E_NS1_11comp_targetILNS1_3genE9ELNS1_11target_archE1100ELNS1_3gpuE3ELNS1_3repE0EEENS1_30default_config_static_selectorELNS0_4arch9wavefront6targetE1EEEvT1_.kd
    .uniform_work_group_size: 1
    .uses_dynamic_stack: false
    .vgpr_count:     0
    .vgpr_spill_count: 0
    .wavefront_size: 64
  - .agpr_count:     0
    .args:
      - .offset:         0
        .size:           128
        .value_kind:     by_value
    .group_segment_fixed_size: 0
    .kernarg_segment_align: 8
    .kernarg_segment_size: 128
    .language:       OpenCL C
    .language_version:
      - 2
      - 0
    .max_flat_workgroup_size: 512
    .name:           _ZN7rocprim17ROCPRIM_400000_NS6detail17trampoline_kernelINS0_14default_configENS1_25partition_config_selectorILNS1_17partition_subalgoE8EiNS0_10empty_typeEbEEZZNS1_14partition_implILS5_8ELb0ES3_jPKiPS6_PKS6_NS0_5tupleIJPiS6_EEENSE_IJSB_SB_EEENS0_18inequality_wrapperIN6hipcub16HIPCUB_304000_NS8EqualityEEEPlJS6_EEE10hipError_tPvRmT3_T4_T5_T6_T7_T9_mT8_P12ihipStream_tbDpT10_ENKUlT_T0_E_clISt17integral_constantIbLb0EES16_IbLb1EEEEDaS12_S13_EUlS12_E_NS1_11comp_targetILNS1_3genE8ELNS1_11target_archE1030ELNS1_3gpuE2ELNS1_3repE0EEENS1_30default_config_static_selectorELNS0_4arch9wavefront6targetE1EEEvT1_
    .private_segment_fixed_size: 0
    .sgpr_count:     6
    .sgpr_spill_count: 0
    .symbol:         _ZN7rocprim17ROCPRIM_400000_NS6detail17trampoline_kernelINS0_14default_configENS1_25partition_config_selectorILNS1_17partition_subalgoE8EiNS0_10empty_typeEbEEZZNS1_14partition_implILS5_8ELb0ES3_jPKiPS6_PKS6_NS0_5tupleIJPiS6_EEENSE_IJSB_SB_EEENS0_18inequality_wrapperIN6hipcub16HIPCUB_304000_NS8EqualityEEEPlJS6_EEE10hipError_tPvRmT3_T4_T5_T6_T7_T9_mT8_P12ihipStream_tbDpT10_ENKUlT_T0_E_clISt17integral_constantIbLb0EES16_IbLb1EEEEDaS12_S13_EUlS12_E_NS1_11comp_targetILNS1_3genE8ELNS1_11target_archE1030ELNS1_3gpuE2ELNS1_3repE0EEENS1_30default_config_static_selectorELNS0_4arch9wavefront6targetE1EEEvT1_.kd
    .uniform_work_group_size: 1
    .uses_dynamic_stack: false
    .vgpr_count:     0
    .vgpr_spill_count: 0
    .wavefront_size: 64
  - .agpr_count:     0
    .args:
      - .address_space:  global
        .offset:         0
        .size:           8
        .value_kind:     global_buffer
      - .address_space:  global
        .offset:         8
        .size:           8
        .value_kind:     global_buffer
      - .offset:         16
        .size:           8
        .value_kind:     by_value
      - .offset:         24
        .size:           8
        .value_kind:     by_value
      - .offset:         32
        .size:           8
        .value_kind:     by_value
      - .offset:         40
        .size:           8
        .value_kind:     by_value
      - .offset:         48
        .size:           8
        .value_kind:     by_value
      - .offset:         56
        .size:           8
        .value_kind:     by_value
      - .address_space:  global
        .offset:         64
        .size:           8
        .value_kind:     global_buffer
      - .offset:         72
        .size:           4
        .value_kind:     hidden_block_count_x
      - .offset:         76
        .size:           4
        .value_kind:     hidden_block_count_y
      - .offset:         80
        .size:           4
        .value_kind:     hidden_block_count_z
      - .offset:         84
        .size:           2
        .value_kind:     hidden_group_size_x
      - .offset:         86
        .size:           2
        .value_kind:     hidden_group_size_y
      - .offset:         88
        .size:           2
        .value_kind:     hidden_group_size_z
      - .offset:         90
        .size:           2
        .value_kind:     hidden_remainder_x
      - .offset:         92
        .size:           2
        .value_kind:     hidden_remainder_y
      - .offset:         94
        .size:           2
        .value_kind:     hidden_remainder_z
      - .offset:         112
        .size:           8
        .value_kind:     hidden_global_offset_x
      - .offset:         120
        .size:           8
        .value_kind:     hidden_global_offset_y
      - .offset:         128
        .size:           8
        .value_kind:     hidden_global_offset_z
      - .offset:         136
        .size:           2
        .value_kind:     hidden_grid_dims
      - .offset:         192
        .size:           4
        .value_kind:     hidden_dynamic_lds_size
    .group_segment_fixed_size: 0
    .kernarg_segment_align: 8
    .kernarg_segment_size: 328
    .language:       OpenCL C
    .language_version:
      - 2
      - 0
    .max_flat_workgroup_size: 1024
    .name:           _ZN2at6native12_GLOBAL__N_113renorm_kernelIddKiEEvPT_PT1_T0_S8_llllPKl
    .private_segment_fixed_size: 0
    .sgpr_count:     72
    .sgpr_spill_count: 0
    .symbol:         _ZN2at6native12_GLOBAL__N_113renorm_kernelIddKiEEvPT_PT1_T0_S8_llllPKl.kd
    .uniform_work_group_size: 1
    .uses_dynamic_stack: false
    .vgpr_count:     68
    .vgpr_spill_count: 0
    .wavefront_size: 64
  - .agpr_count:     0
    .args:
      - .address_space:  global
        .offset:         0
        .size:           8
        .value_kind:     global_buffer
      - .address_space:  global
        .offset:         8
        .size:           8
        .value_kind:     global_buffer
      - .offset:         16
        .size:           4
        .value_kind:     by_value
      - .offset:         20
        .size:           4
        .value_kind:     by_value
      - .offset:         24
        .size:           8
        .value_kind:     by_value
      - .offset:         32
        .size:           8
        .value_kind:     by_value
      - .offset:         40
        .size:           8
        .value_kind:     by_value
      - .offset:         48
        .size:           8
        .value_kind:     by_value
      - .address_space:  global
        .offset:         56
        .size:           8
        .value_kind:     global_buffer
      - .offset:         64
        .size:           4
        .value_kind:     hidden_block_count_x
      - .offset:         68
        .size:           4
        .value_kind:     hidden_block_count_y
      - .offset:         72
        .size:           4
        .value_kind:     hidden_block_count_z
      - .offset:         76
        .size:           2
        .value_kind:     hidden_group_size_x
      - .offset:         78
        .size:           2
        .value_kind:     hidden_group_size_y
      - .offset:         80
        .size:           2
        .value_kind:     hidden_group_size_z
      - .offset:         82
        .size:           2
        .value_kind:     hidden_remainder_x
      - .offset:         84
        .size:           2
        .value_kind:     hidden_remainder_y
      - .offset:         86
        .size:           2
        .value_kind:     hidden_remainder_z
      - .offset:         104
        .size:           8
        .value_kind:     hidden_global_offset_x
      - .offset:         112
        .size:           8
        .value_kind:     hidden_global_offset_y
      - .offset:         120
        .size:           8
        .value_kind:     hidden_global_offset_z
      - .offset:         128
        .size:           2
        .value_kind:     hidden_grid_dims
      - .offset:         184
        .size:           4
        .value_kind:     hidden_dynamic_lds_size
    .group_segment_fixed_size: 0
    .kernarg_segment_align: 8
    .kernarg_segment_size: 320
    .language:       OpenCL C
    .language_version:
      - 2
      - 0
    .max_flat_workgroup_size: 1024
    .name:           _ZN2at6native12_GLOBAL__N_113renorm_kernelIffKiEEvPT_PT1_T0_S8_llllPKl
    .private_segment_fixed_size: 0
    .sgpr_count:     48
    .sgpr_spill_count: 0
    .symbol:         _ZN2at6native12_GLOBAL__N_113renorm_kernelIffKiEEvPT_PT1_T0_S8_llllPKl.kd
    .uniform_work_group_size: 1
    .uses_dynamic_stack: false
    .vgpr_count:     25
    .vgpr_spill_count: 0
    .wavefront_size: 64
  - .agpr_count:     0
    .args:
      - .address_space:  global
        .offset:         0
        .size:           8
        .value_kind:     global_buffer
      - .address_space:  global
        .offset:         8
        .size:           8
        .value_kind:     global_buffer
      - .offset:         16
        .size:           4
        .value_kind:     by_value
      - .offset:         20
        .size:           4
        .value_kind:     by_value
      - .offset:         24
        .size:           8
        .value_kind:     by_value
      - .offset:         32
        .size:           8
        .value_kind:     by_value
      - .offset:         40
        .size:           8
        .value_kind:     by_value
      - .offset:         48
        .size:           8
        .value_kind:     by_value
      - .address_space:  global
        .offset:         56
        .size:           8
        .value_kind:     global_buffer
      - .offset:         64
        .size:           4
        .value_kind:     hidden_block_count_x
      - .offset:         68
        .size:           4
        .value_kind:     hidden_block_count_y
      - .offset:         72
        .size:           4
        .value_kind:     hidden_block_count_z
      - .offset:         76
        .size:           2
        .value_kind:     hidden_group_size_x
      - .offset:         78
        .size:           2
        .value_kind:     hidden_group_size_y
      - .offset:         80
        .size:           2
        .value_kind:     hidden_group_size_z
      - .offset:         82
        .size:           2
        .value_kind:     hidden_remainder_x
      - .offset:         84
        .size:           2
        .value_kind:     hidden_remainder_y
      - .offset:         86
        .size:           2
        .value_kind:     hidden_remainder_z
      - .offset:         104
        .size:           8
        .value_kind:     hidden_global_offset_x
      - .offset:         112
        .size:           8
        .value_kind:     hidden_global_offset_y
      - .offset:         120
        .size:           8
        .value_kind:     hidden_global_offset_z
      - .offset:         128
        .size:           2
        .value_kind:     hidden_grid_dims
      - .offset:         184
        .size:           4
        .value_kind:     hidden_dynamic_lds_size
    .group_segment_fixed_size: 0
    .kernarg_segment_align: 8
    .kernarg_segment_size: 320
    .language:       OpenCL C
    .language_version:
      - 2
      - 0
    .max_flat_workgroup_size: 1024
    .name:           _ZN2at6native12_GLOBAL__N_113renorm_kernelIN3c104HalfEfKiEEvPT_PT1_T0_SA_llllPKl
    .private_segment_fixed_size: 0
    .sgpr_count:     48
    .sgpr_spill_count: 0
    .symbol:         _ZN2at6native12_GLOBAL__N_113renorm_kernelIN3c104HalfEfKiEEvPT_PT1_T0_SA_llllPKl.kd
    .uniform_work_group_size: 1
    .uses_dynamic_stack: false
    .vgpr_count:     25
    .vgpr_spill_count: 0
    .wavefront_size: 64
  - .agpr_count:     0
    .args:
      - .address_space:  global
        .offset:         0
        .size:           8
        .value_kind:     global_buffer
      - .address_space:  global
        .offset:         8
        .size:           8
        .value_kind:     global_buffer
      - .offset:         16
        .size:           4
        .value_kind:     by_value
      - .offset:         20
        .size:           4
        .value_kind:     by_value
      - .offset:         24
        .size:           8
        .value_kind:     by_value
      - .offset:         32
        .size:           8
        .value_kind:     by_value
      - .offset:         40
        .size:           8
        .value_kind:     by_value
      - .offset:         48
        .size:           8
        .value_kind:     by_value
      - .address_space:  global
        .offset:         56
        .size:           8
        .value_kind:     global_buffer
      - .offset:         64
        .size:           4
        .value_kind:     hidden_block_count_x
      - .offset:         68
        .size:           4
        .value_kind:     hidden_block_count_y
      - .offset:         72
        .size:           4
        .value_kind:     hidden_block_count_z
      - .offset:         76
        .size:           2
        .value_kind:     hidden_group_size_x
      - .offset:         78
        .size:           2
        .value_kind:     hidden_group_size_y
      - .offset:         80
        .size:           2
        .value_kind:     hidden_group_size_z
      - .offset:         82
        .size:           2
        .value_kind:     hidden_remainder_x
      - .offset:         84
        .size:           2
        .value_kind:     hidden_remainder_y
      - .offset:         86
        .size:           2
        .value_kind:     hidden_remainder_z
      - .offset:         104
        .size:           8
        .value_kind:     hidden_global_offset_x
      - .offset:         112
        .size:           8
        .value_kind:     hidden_global_offset_y
      - .offset:         120
        .size:           8
        .value_kind:     hidden_global_offset_z
      - .offset:         128
        .size:           2
        .value_kind:     hidden_grid_dims
      - .offset:         184
        .size:           4
        .value_kind:     hidden_dynamic_lds_size
    .group_segment_fixed_size: 0
    .kernarg_segment_align: 8
    .kernarg_segment_size: 320
    .language:       OpenCL C
    .language_version:
      - 2
      - 0
    .max_flat_workgroup_size: 1024
    .name:           _ZN2at6native12_GLOBAL__N_113renorm_kernelIN3c108BFloat16EfKiEEvPT_PT1_T0_SA_llllPKl
    .private_segment_fixed_size: 0
    .sgpr_count:     48
    .sgpr_spill_count: 0
    .symbol:         _ZN2at6native12_GLOBAL__N_113renorm_kernelIN3c108BFloat16EfKiEEvPT_PT1_T0_SA_llllPKl.kd
    .uniform_work_group_size: 1
    .uses_dynamic_stack: false
    .vgpr_count:     25
    .vgpr_spill_count: 0
    .wavefront_size: 64
  - .agpr_count:     0
    .args:
      - .address_space:  global
        .offset:         0
        .size:           8
        .value_kind:     global_buffer
      - .address_space:  global
        .offset:         8
        .size:           8
        .value_kind:     global_buffer
      - .offset:         16
        .size:           8
        .value_kind:     by_value
      - .offset:         24
        .size:           8
        .value_kind:     by_value
      - .offset:         32
        .size:           4
        .value_kind:     hidden_block_count_x
      - .offset:         36
        .size:           4
        .value_kind:     hidden_block_count_y
      - .offset:         40
        .size:           4
        .value_kind:     hidden_block_count_z
      - .offset:         44
        .size:           2
        .value_kind:     hidden_group_size_x
      - .offset:         46
        .size:           2
        .value_kind:     hidden_group_size_y
      - .offset:         48
        .size:           2
        .value_kind:     hidden_group_size_z
      - .offset:         50
        .size:           2
        .value_kind:     hidden_remainder_x
      - .offset:         52
        .size:           2
        .value_kind:     hidden_remainder_y
      - .offset:         54
        .size:           2
        .value_kind:     hidden_remainder_z
      - .offset:         72
        .size:           8
        .value_kind:     hidden_global_offset_x
      - .offset:         80
        .size:           8
        .value_kind:     hidden_global_offset_y
      - .offset:         88
        .size:           8
        .value_kind:     hidden_global_offset_z
      - .offset:         96
        .size:           2
        .value_kind:     hidden_grid_dims
    .group_segment_fixed_size: 0
    .kernarg_segment_align: 8
    .kernarg_segment_size: 288
    .language:       OpenCL C
    .language_version:
      - 2
      - 0
    .max_flat_workgroup_size: 1024
    .name:           _ZN2at6native12_GLOBAL__N_136embedding_renorm_wrap_indices_kernelIlEEvPKT_PS3_ll
    .private_segment_fixed_size: 0
    .sgpr_count:     18
    .sgpr_spill_count: 0
    .symbol:         _ZN2at6native12_GLOBAL__N_136embedding_renorm_wrap_indices_kernelIlEEvPKT_PS3_ll.kd
    .uniform_work_group_size: 1
    .uses_dynamic_stack: false
    .vgpr_count:     8
    .vgpr_spill_count: 0
    .wavefront_size: 64
  - .agpr_count:     0
    .args:
      - .offset:         0
        .size:           112
        .value_kind:     by_value
    .group_segment_fixed_size: 28680
    .kernarg_segment_align: 8
    .kernarg_segment_size: 112
    .language:       OpenCL C
    .language_version:
      - 2
      - 0
    .max_flat_workgroup_size: 512
    .name:           _ZN7rocprim17ROCPRIM_400000_NS6detail17trampoline_kernelINS0_14default_configENS1_25partition_config_selectorILNS1_17partition_subalgoE8ElNS0_10empty_typeEbEEZZNS1_14partition_implILS5_8ELb0ES3_jPKlPS6_PKS6_NS0_5tupleIJPlS6_EEENSE_IJSB_SB_EEENS0_18inequality_wrapperIN6hipcub16HIPCUB_304000_NS8EqualityEEESF_JS6_EEE10hipError_tPvRmT3_T4_T5_T6_T7_T9_mT8_P12ihipStream_tbDpT10_ENKUlT_T0_E_clISt17integral_constantIbLb0EES16_EEDaS11_S12_EUlS11_E_NS1_11comp_targetILNS1_3genE0ELNS1_11target_archE4294967295ELNS1_3gpuE0ELNS1_3repE0EEENS1_30default_config_static_selectorELNS0_4arch9wavefront6targetE1EEEvT1_
    .private_segment_fixed_size: 0
    .sgpr_count:     46
    .sgpr_spill_count: 0
    .symbol:         _ZN7rocprim17ROCPRIM_400000_NS6detail17trampoline_kernelINS0_14default_configENS1_25partition_config_selectorILNS1_17partition_subalgoE8ElNS0_10empty_typeEbEEZZNS1_14partition_implILS5_8ELb0ES3_jPKlPS6_PKS6_NS0_5tupleIJPlS6_EEENSE_IJSB_SB_EEENS0_18inequality_wrapperIN6hipcub16HIPCUB_304000_NS8EqualityEEESF_JS6_EEE10hipError_tPvRmT3_T4_T5_T6_T7_T9_mT8_P12ihipStream_tbDpT10_ENKUlT_T0_E_clISt17integral_constantIbLb0EES16_EEDaS11_S12_EUlS11_E_NS1_11comp_targetILNS1_3genE0ELNS1_11target_archE4294967295ELNS1_3gpuE0ELNS1_3repE0EEENS1_30default_config_static_selectorELNS0_4arch9wavefront6targetE1EEEvT1_.kd
    .uniform_work_group_size: 1
    .uses_dynamic_stack: false
    .vgpr_count:     59
    .vgpr_spill_count: 0
    .wavefront_size: 64
  - .agpr_count:     0
    .args:
      - .offset:         0
        .size:           112
        .value_kind:     by_value
    .group_segment_fixed_size: 0
    .kernarg_segment_align: 8
    .kernarg_segment_size: 112
    .language:       OpenCL C
    .language_version:
      - 2
      - 0
    .max_flat_workgroup_size: 512
    .name:           _ZN7rocprim17ROCPRIM_400000_NS6detail17trampoline_kernelINS0_14default_configENS1_25partition_config_selectorILNS1_17partition_subalgoE8ElNS0_10empty_typeEbEEZZNS1_14partition_implILS5_8ELb0ES3_jPKlPS6_PKS6_NS0_5tupleIJPlS6_EEENSE_IJSB_SB_EEENS0_18inequality_wrapperIN6hipcub16HIPCUB_304000_NS8EqualityEEESF_JS6_EEE10hipError_tPvRmT3_T4_T5_T6_T7_T9_mT8_P12ihipStream_tbDpT10_ENKUlT_T0_E_clISt17integral_constantIbLb0EES16_EEDaS11_S12_EUlS11_E_NS1_11comp_targetILNS1_3genE5ELNS1_11target_archE942ELNS1_3gpuE9ELNS1_3repE0EEENS1_30default_config_static_selectorELNS0_4arch9wavefront6targetE1EEEvT1_
    .private_segment_fixed_size: 0
    .sgpr_count:     6
    .sgpr_spill_count: 0
    .symbol:         _ZN7rocprim17ROCPRIM_400000_NS6detail17trampoline_kernelINS0_14default_configENS1_25partition_config_selectorILNS1_17partition_subalgoE8ElNS0_10empty_typeEbEEZZNS1_14partition_implILS5_8ELb0ES3_jPKlPS6_PKS6_NS0_5tupleIJPlS6_EEENSE_IJSB_SB_EEENS0_18inequality_wrapperIN6hipcub16HIPCUB_304000_NS8EqualityEEESF_JS6_EEE10hipError_tPvRmT3_T4_T5_T6_T7_T9_mT8_P12ihipStream_tbDpT10_ENKUlT_T0_E_clISt17integral_constantIbLb0EES16_EEDaS11_S12_EUlS11_E_NS1_11comp_targetILNS1_3genE5ELNS1_11target_archE942ELNS1_3gpuE9ELNS1_3repE0EEENS1_30default_config_static_selectorELNS0_4arch9wavefront6targetE1EEEvT1_.kd
    .uniform_work_group_size: 1
    .uses_dynamic_stack: false
    .vgpr_count:     0
    .vgpr_spill_count: 0
    .wavefront_size: 64
  - .agpr_count:     0
    .args:
      - .offset:         0
        .size:           112
        .value_kind:     by_value
    .group_segment_fixed_size: 0
    .kernarg_segment_align: 8
    .kernarg_segment_size: 112
    .language:       OpenCL C
    .language_version:
      - 2
      - 0
    .max_flat_workgroup_size: 256
    .name:           _ZN7rocprim17ROCPRIM_400000_NS6detail17trampoline_kernelINS0_14default_configENS1_25partition_config_selectorILNS1_17partition_subalgoE8ElNS0_10empty_typeEbEEZZNS1_14partition_implILS5_8ELb0ES3_jPKlPS6_PKS6_NS0_5tupleIJPlS6_EEENSE_IJSB_SB_EEENS0_18inequality_wrapperIN6hipcub16HIPCUB_304000_NS8EqualityEEESF_JS6_EEE10hipError_tPvRmT3_T4_T5_T6_T7_T9_mT8_P12ihipStream_tbDpT10_ENKUlT_T0_E_clISt17integral_constantIbLb0EES16_EEDaS11_S12_EUlS11_E_NS1_11comp_targetILNS1_3genE4ELNS1_11target_archE910ELNS1_3gpuE8ELNS1_3repE0EEENS1_30default_config_static_selectorELNS0_4arch9wavefront6targetE1EEEvT1_
    .private_segment_fixed_size: 0
    .sgpr_count:     6
    .sgpr_spill_count: 0
    .symbol:         _ZN7rocprim17ROCPRIM_400000_NS6detail17trampoline_kernelINS0_14default_configENS1_25partition_config_selectorILNS1_17partition_subalgoE8ElNS0_10empty_typeEbEEZZNS1_14partition_implILS5_8ELb0ES3_jPKlPS6_PKS6_NS0_5tupleIJPlS6_EEENSE_IJSB_SB_EEENS0_18inequality_wrapperIN6hipcub16HIPCUB_304000_NS8EqualityEEESF_JS6_EEE10hipError_tPvRmT3_T4_T5_T6_T7_T9_mT8_P12ihipStream_tbDpT10_ENKUlT_T0_E_clISt17integral_constantIbLb0EES16_EEDaS11_S12_EUlS11_E_NS1_11comp_targetILNS1_3genE4ELNS1_11target_archE910ELNS1_3gpuE8ELNS1_3repE0EEENS1_30default_config_static_selectorELNS0_4arch9wavefront6targetE1EEEvT1_.kd
    .uniform_work_group_size: 1
    .uses_dynamic_stack: false
    .vgpr_count:     0
    .vgpr_spill_count: 0
    .wavefront_size: 64
  - .agpr_count:     0
    .args:
      - .offset:         0
        .size:           112
        .value_kind:     by_value
    .group_segment_fixed_size: 0
    .kernarg_segment_align: 8
    .kernarg_segment_size: 112
    .language:       OpenCL C
    .language_version:
      - 2
      - 0
    .max_flat_workgroup_size: 512
    .name:           _ZN7rocprim17ROCPRIM_400000_NS6detail17trampoline_kernelINS0_14default_configENS1_25partition_config_selectorILNS1_17partition_subalgoE8ElNS0_10empty_typeEbEEZZNS1_14partition_implILS5_8ELb0ES3_jPKlPS6_PKS6_NS0_5tupleIJPlS6_EEENSE_IJSB_SB_EEENS0_18inequality_wrapperIN6hipcub16HIPCUB_304000_NS8EqualityEEESF_JS6_EEE10hipError_tPvRmT3_T4_T5_T6_T7_T9_mT8_P12ihipStream_tbDpT10_ENKUlT_T0_E_clISt17integral_constantIbLb0EES16_EEDaS11_S12_EUlS11_E_NS1_11comp_targetILNS1_3genE3ELNS1_11target_archE908ELNS1_3gpuE7ELNS1_3repE0EEENS1_30default_config_static_selectorELNS0_4arch9wavefront6targetE1EEEvT1_
    .private_segment_fixed_size: 0
    .sgpr_count:     6
    .sgpr_spill_count: 0
    .symbol:         _ZN7rocprim17ROCPRIM_400000_NS6detail17trampoline_kernelINS0_14default_configENS1_25partition_config_selectorILNS1_17partition_subalgoE8ElNS0_10empty_typeEbEEZZNS1_14partition_implILS5_8ELb0ES3_jPKlPS6_PKS6_NS0_5tupleIJPlS6_EEENSE_IJSB_SB_EEENS0_18inequality_wrapperIN6hipcub16HIPCUB_304000_NS8EqualityEEESF_JS6_EEE10hipError_tPvRmT3_T4_T5_T6_T7_T9_mT8_P12ihipStream_tbDpT10_ENKUlT_T0_E_clISt17integral_constantIbLb0EES16_EEDaS11_S12_EUlS11_E_NS1_11comp_targetILNS1_3genE3ELNS1_11target_archE908ELNS1_3gpuE7ELNS1_3repE0EEENS1_30default_config_static_selectorELNS0_4arch9wavefront6targetE1EEEvT1_.kd
    .uniform_work_group_size: 1
    .uses_dynamic_stack: false
    .vgpr_count:     0
    .vgpr_spill_count: 0
    .wavefront_size: 64
  - .agpr_count:     0
    .args:
      - .offset:         0
        .size:           112
        .value_kind:     by_value
    .group_segment_fixed_size: 0
    .kernarg_segment_align: 8
    .kernarg_segment_size: 112
    .language:       OpenCL C
    .language_version:
      - 2
      - 0
    .max_flat_workgroup_size: 256
    .name:           _ZN7rocprim17ROCPRIM_400000_NS6detail17trampoline_kernelINS0_14default_configENS1_25partition_config_selectorILNS1_17partition_subalgoE8ElNS0_10empty_typeEbEEZZNS1_14partition_implILS5_8ELb0ES3_jPKlPS6_PKS6_NS0_5tupleIJPlS6_EEENSE_IJSB_SB_EEENS0_18inequality_wrapperIN6hipcub16HIPCUB_304000_NS8EqualityEEESF_JS6_EEE10hipError_tPvRmT3_T4_T5_T6_T7_T9_mT8_P12ihipStream_tbDpT10_ENKUlT_T0_E_clISt17integral_constantIbLb0EES16_EEDaS11_S12_EUlS11_E_NS1_11comp_targetILNS1_3genE2ELNS1_11target_archE906ELNS1_3gpuE6ELNS1_3repE0EEENS1_30default_config_static_selectorELNS0_4arch9wavefront6targetE1EEEvT1_
    .private_segment_fixed_size: 0
    .sgpr_count:     6
    .sgpr_spill_count: 0
    .symbol:         _ZN7rocprim17ROCPRIM_400000_NS6detail17trampoline_kernelINS0_14default_configENS1_25partition_config_selectorILNS1_17partition_subalgoE8ElNS0_10empty_typeEbEEZZNS1_14partition_implILS5_8ELb0ES3_jPKlPS6_PKS6_NS0_5tupleIJPlS6_EEENSE_IJSB_SB_EEENS0_18inequality_wrapperIN6hipcub16HIPCUB_304000_NS8EqualityEEESF_JS6_EEE10hipError_tPvRmT3_T4_T5_T6_T7_T9_mT8_P12ihipStream_tbDpT10_ENKUlT_T0_E_clISt17integral_constantIbLb0EES16_EEDaS11_S12_EUlS11_E_NS1_11comp_targetILNS1_3genE2ELNS1_11target_archE906ELNS1_3gpuE6ELNS1_3repE0EEENS1_30default_config_static_selectorELNS0_4arch9wavefront6targetE1EEEvT1_.kd
    .uniform_work_group_size: 1
    .uses_dynamic_stack: false
    .vgpr_count:     0
    .vgpr_spill_count: 0
    .wavefront_size: 64
  - .agpr_count:     0
    .args:
      - .offset:         0
        .size:           112
        .value_kind:     by_value
    .group_segment_fixed_size: 0
    .kernarg_segment_align: 8
    .kernarg_segment_size: 112
    .language:       OpenCL C
    .language_version:
      - 2
      - 0
    .max_flat_workgroup_size: 384
    .name:           _ZN7rocprim17ROCPRIM_400000_NS6detail17trampoline_kernelINS0_14default_configENS1_25partition_config_selectorILNS1_17partition_subalgoE8ElNS0_10empty_typeEbEEZZNS1_14partition_implILS5_8ELb0ES3_jPKlPS6_PKS6_NS0_5tupleIJPlS6_EEENSE_IJSB_SB_EEENS0_18inequality_wrapperIN6hipcub16HIPCUB_304000_NS8EqualityEEESF_JS6_EEE10hipError_tPvRmT3_T4_T5_T6_T7_T9_mT8_P12ihipStream_tbDpT10_ENKUlT_T0_E_clISt17integral_constantIbLb0EES16_EEDaS11_S12_EUlS11_E_NS1_11comp_targetILNS1_3genE10ELNS1_11target_archE1200ELNS1_3gpuE4ELNS1_3repE0EEENS1_30default_config_static_selectorELNS0_4arch9wavefront6targetE1EEEvT1_
    .private_segment_fixed_size: 0
    .sgpr_count:     6
    .sgpr_spill_count: 0
    .symbol:         _ZN7rocprim17ROCPRIM_400000_NS6detail17trampoline_kernelINS0_14default_configENS1_25partition_config_selectorILNS1_17partition_subalgoE8ElNS0_10empty_typeEbEEZZNS1_14partition_implILS5_8ELb0ES3_jPKlPS6_PKS6_NS0_5tupleIJPlS6_EEENSE_IJSB_SB_EEENS0_18inequality_wrapperIN6hipcub16HIPCUB_304000_NS8EqualityEEESF_JS6_EEE10hipError_tPvRmT3_T4_T5_T6_T7_T9_mT8_P12ihipStream_tbDpT10_ENKUlT_T0_E_clISt17integral_constantIbLb0EES16_EEDaS11_S12_EUlS11_E_NS1_11comp_targetILNS1_3genE10ELNS1_11target_archE1200ELNS1_3gpuE4ELNS1_3repE0EEENS1_30default_config_static_selectorELNS0_4arch9wavefront6targetE1EEEvT1_.kd
    .uniform_work_group_size: 1
    .uses_dynamic_stack: false
    .vgpr_count:     0
    .vgpr_spill_count: 0
    .wavefront_size: 64
  - .agpr_count:     0
    .args:
      - .offset:         0
        .size:           112
        .value_kind:     by_value
    .group_segment_fixed_size: 0
    .kernarg_segment_align: 8
    .kernarg_segment_size: 112
    .language:       OpenCL C
    .language_version:
      - 2
      - 0
    .max_flat_workgroup_size: 512
    .name:           _ZN7rocprim17ROCPRIM_400000_NS6detail17trampoline_kernelINS0_14default_configENS1_25partition_config_selectorILNS1_17partition_subalgoE8ElNS0_10empty_typeEbEEZZNS1_14partition_implILS5_8ELb0ES3_jPKlPS6_PKS6_NS0_5tupleIJPlS6_EEENSE_IJSB_SB_EEENS0_18inequality_wrapperIN6hipcub16HIPCUB_304000_NS8EqualityEEESF_JS6_EEE10hipError_tPvRmT3_T4_T5_T6_T7_T9_mT8_P12ihipStream_tbDpT10_ENKUlT_T0_E_clISt17integral_constantIbLb0EES16_EEDaS11_S12_EUlS11_E_NS1_11comp_targetILNS1_3genE9ELNS1_11target_archE1100ELNS1_3gpuE3ELNS1_3repE0EEENS1_30default_config_static_selectorELNS0_4arch9wavefront6targetE1EEEvT1_
    .private_segment_fixed_size: 0
    .sgpr_count:     6
    .sgpr_spill_count: 0
    .symbol:         _ZN7rocprim17ROCPRIM_400000_NS6detail17trampoline_kernelINS0_14default_configENS1_25partition_config_selectorILNS1_17partition_subalgoE8ElNS0_10empty_typeEbEEZZNS1_14partition_implILS5_8ELb0ES3_jPKlPS6_PKS6_NS0_5tupleIJPlS6_EEENSE_IJSB_SB_EEENS0_18inequality_wrapperIN6hipcub16HIPCUB_304000_NS8EqualityEEESF_JS6_EEE10hipError_tPvRmT3_T4_T5_T6_T7_T9_mT8_P12ihipStream_tbDpT10_ENKUlT_T0_E_clISt17integral_constantIbLb0EES16_EEDaS11_S12_EUlS11_E_NS1_11comp_targetILNS1_3genE9ELNS1_11target_archE1100ELNS1_3gpuE3ELNS1_3repE0EEENS1_30default_config_static_selectorELNS0_4arch9wavefront6targetE1EEEvT1_.kd
    .uniform_work_group_size: 1
    .uses_dynamic_stack: false
    .vgpr_count:     0
    .vgpr_spill_count: 0
    .wavefront_size: 64
  - .agpr_count:     0
    .args:
      - .offset:         0
        .size:           112
        .value_kind:     by_value
    .group_segment_fixed_size: 0
    .kernarg_segment_align: 8
    .kernarg_segment_size: 112
    .language:       OpenCL C
    .language_version:
      - 2
      - 0
    .max_flat_workgroup_size: 512
    .name:           _ZN7rocprim17ROCPRIM_400000_NS6detail17trampoline_kernelINS0_14default_configENS1_25partition_config_selectorILNS1_17partition_subalgoE8ElNS0_10empty_typeEbEEZZNS1_14partition_implILS5_8ELb0ES3_jPKlPS6_PKS6_NS0_5tupleIJPlS6_EEENSE_IJSB_SB_EEENS0_18inequality_wrapperIN6hipcub16HIPCUB_304000_NS8EqualityEEESF_JS6_EEE10hipError_tPvRmT3_T4_T5_T6_T7_T9_mT8_P12ihipStream_tbDpT10_ENKUlT_T0_E_clISt17integral_constantIbLb0EES16_EEDaS11_S12_EUlS11_E_NS1_11comp_targetILNS1_3genE8ELNS1_11target_archE1030ELNS1_3gpuE2ELNS1_3repE0EEENS1_30default_config_static_selectorELNS0_4arch9wavefront6targetE1EEEvT1_
    .private_segment_fixed_size: 0
    .sgpr_count:     6
    .sgpr_spill_count: 0
    .symbol:         _ZN7rocprim17ROCPRIM_400000_NS6detail17trampoline_kernelINS0_14default_configENS1_25partition_config_selectorILNS1_17partition_subalgoE8ElNS0_10empty_typeEbEEZZNS1_14partition_implILS5_8ELb0ES3_jPKlPS6_PKS6_NS0_5tupleIJPlS6_EEENSE_IJSB_SB_EEENS0_18inequality_wrapperIN6hipcub16HIPCUB_304000_NS8EqualityEEESF_JS6_EEE10hipError_tPvRmT3_T4_T5_T6_T7_T9_mT8_P12ihipStream_tbDpT10_ENKUlT_T0_E_clISt17integral_constantIbLb0EES16_EEDaS11_S12_EUlS11_E_NS1_11comp_targetILNS1_3genE8ELNS1_11target_archE1030ELNS1_3gpuE2ELNS1_3repE0EEENS1_30default_config_static_selectorELNS0_4arch9wavefront6targetE1EEEvT1_.kd
    .uniform_work_group_size: 1
    .uses_dynamic_stack: false
    .vgpr_count:     0
    .vgpr_spill_count: 0
    .wavefront_size: 64
  - .agpr_count:     0
    .args:
      - .offset:         0
        .size:           128
        .value_kind:     by_value
    .group_segment_fixed_size: 0
    .kernarg_segment_align: 8
    .kernarg_segment_size: 128
    .language:       OpenCL C
    .language_version:
      - 2
      - 0
    .max_flat_workgroup_size: 512
    .name:           _ZN7rocprim17ROCPRIM_400000_NS6detail17trampoline_kernelINS0_14default_configENS1_25partition_config_selectorILNS1_17partition_subalgoE8ElNS0_10empty_typeEbEEZZNS1_14partition_implILS5_8ELb0ES3_jPKlPS6_PKS6_NS0_5tupleIJPlS6_EEENSE_IJSB_SB_EEENS0_18inequality_wrapperIN6hipcub16HIPCUB_304000_NS8EqualityEEESF_JS6_EEE10hipError_tPvRmT3_T4_T5_T6_T7_T9_mT8_P12ihipStream_tbDpT10_ENKUlT_T0_E_clISt17integral_constantIbLb1EES16_EEDaS11_S12_EUlS11_E_NS1_11comp_targetILNS1_3genE0ELNS1_11target_archE4294967295ELNS1_3gpuE0ELNS1_3repE0EEENS1_30default_config_static_selectorELNS0_4arch9wavefront6targetE1EEEvT1_
    .private_segment_fixed_size: 0
    .sgpr_count:     6
    .sgpr_spill_count: 0
    .symbol:         _ZN7rocprim17ROCPRIM_400000_NS6detail17trampoline_kernelINS0_14default_configENS1_25partition_config_selectorILNS1_17partition_subalgoE8ElNS0_10empty_typeEbEEZZNS1_14partition_implILS5_8ELb0ES3_jPKlPS6_PKS6_NS0_5tupleIJPlS6_EEENSE_IJSB_SB_EEENS0_18inequality_wrapperIN6hipcub16HIPCUB_304000_NS8EqualityEEESF_JS6_EEE10hipError_tPvRmT3_T4_T5_T6_T7_T9_mT8_P12ihipStream_tbDpT10_ENKUlT_T0_E_clISt17integral_constantIbLb1EES16_EEDaS11_S12_EUlS11_E_NS1_11comp_targetILNS1_3genE0ELNS1_11target_archE4294967295ELNS1_3gpuE0ELNS1_3repE0EEENS1_30default_config_static_selectorELNS0_4arch9wavefront6targetE1EEEvT1_.kd
    .uniform_work_group_size: 1
    .uses_dynamic_stack: false
    .vgpr_count:     0
    .vgpr_spill_count: 0
    .wavefront_size: 64
  - .agpr_count:     0
    .args:
      - .offset:         0
        .size:           128
        .value_kind:     by_value
    .group_segment_fixed_size: 0
    .kernarg_segment_align: 8
    .kernarg_segment_size: 128
    .language:       OpenCL C
    .language_version:
      - 2
      - 0
    .max_flat_workgroup_size: 512
    .name:           _ZN7rocprim17ROCPRIM_400000_NS6detail17trampoline_kernelINS0_14default_configENS1_25partition_config_selectorILNS1_17partition_subalgoE8ElNS0_10empty_typeEbEEZZNS1_14partition_implILS5_8ELb0ES3_jPKlPS6_PKS6_NS0_5tupleIJPlS6_EEENSE_IJSB_SB_EEENS0_18inequality_wrapperIN6hipcub16HIPCUB_304000_NS8EqualityEEESF_JS6_EEE10hipError_tPvRmT3_T4_T5_T6_T7_T9_mT8_P12ihipStream_tbDpT10_ENKUlT_T0_E_clISt17integral_constantIbLb1EES16_EEDaS11_S12_EUlS11_E_NS1_11comp_targetILNS1_3genE5ELNS1_11target_archE942ELNS1_3gpuE9ELNS1_3repE0EEENS1_30default_config_static_selectorELNS0_4arch9wavefront6targetE1EEEvT1_
    .private_segment_fixed_size: 0
    .sgpr_count:     6
    .sgpr_spill_count: 0
    .symbol:         _ZN7rocprim17ROCPRIM_400000_NS6detail17trampoline_kernelINS0_14default_configENS1_25partition_config_selectorILNS1_17partition_subalgoE8ElNS0_10empty_typeEbEEZZNS1_14partition_implILS5_8ELb0ES3_jPKlPS6_PKS6_NS0_5tupleIJPlS6_EEENSE_IJSB_SB_EEENS0_18inequality_wrapperIN6hipcub16HIPCUB_304000_NS8EqualityEEESF_JS6_EEE10hipError_tPvRmT3_T4_T5_T6_T7_T9_mT8_P12ihipStream_tbDpT10_ENKUlT_T0_E_clISt17integral_constantIbLb1EES16_EEDaS11_S12_EUlS11_E_NS1_11comp_targetILNS1_3genE5ELNS1_11target_archE942ELNS1_3gpuE9ELNS1_3repE0EEENS1_30default_config_static_selectorELNS0_4arch9wavefront6targetE1EEEvT1_.kd
    .uniform_work_group_size: 1
    .uses_dynamic_stack: false
    .vgpr_count:     0
    .vgpr_spill_count: 0
    .wavefront_size: 64
  - .agpr_count:     0
    .args:
      - .offset:         0
        .size:           128
        .value_kind:     by_value
    .group_segment_fixed_size: 0
    .kernarg_segment_align: 8
    .kernarg_segment_size: 128
    .language:       OpenCL C
    .language_version:
      - 2
      - 0
    .max_flat_workgroup_size: 256
    .name:           _ZN7rocprim17ROCPRIM_400000_NS6detail17trampoline_kernelINS0_14default_configENS1_25partition_config_selectorILNS1_17partition_subalgoE8ElNS0_10empty_typeEbEEZZNS1_14partition_implILS5_8ELb0ES3_jPKlPS6_PKS6_NS0_5tupleIJPlS6_EEENSE_IJSB_SB_EEENS0_18inequality_wrapperIN6hipcub16HIPCUB_304000_NS8EqualityEEESF_JS6_EEE10hipError_tPvRmT3_T4_T5_T6_T7_T9_mT8_P12ihipStream_tbDpT10_ENKUlT_T0_E_clISt17integral_constantIbLb1EES16_EEDaS11_S12_EUlS11_E_NS1_11comp_targetILNS1_3genE4ELNS1_11target_archE910ELNS1_3gpuE8ELNS1_3repE0EEENS1_30default_config_static_selectorELNS0_4arch9wavefront6targetE1EEEvT1_
    .private_segment_fixed_size: 0
    .sgpr_count:     6
    .sgpr_spill_count: 0
    .symbol:         _ZN7rocprim17ROCPRIM_400000_NS6detail17trampoline_kernelINS0_14default_configENS1_25partition_config_selectorILNS1_17partition_subalgoE8ElNS0_10empty_typeEbEEZZNS1_14partition_implILS5_8ELb0ES3_jPKlPS6_PKS6_NS0_5tupleIJPlS6_EEENSE_IJSB_SB_EEENS0_18inequality_wrapperIN6hipcub16HIPCUB_304000_NS8EqualityEEESF_JS6_EEE10hipError_tPvRmT3_T4_T5_T6_T7_T9_mT8_P12ihipStream_tbDpT10_ENKUlT_T0_E_clISt17integral_constantIbLb1EES16_EEDaS11_S12_EUlS11_E_NS1_11comp_targetILNS1_3genE4ELNS1_11target_archE910ELNS1_3gpuE8ELNS1_3repE0EEENS1_30default_config_static_selectorELNS0_4arch9wavefront6targetE1EEEvT1_.kd
    .uniform_work_group_size: 1
    .uses_dynamic_stack: false
    .vgpr_count:     0
    .vgpr_spill_count: 0
    .wavefront_size: 64
  - .agpr_count:     0
    .args:
      - .offset:         0
        .size:           128
        .value_kind:     by_value
    .group_segment_fixed_size: 0
    .kernarg_segment_align: 8
    .kernarg_segment_size: 128
    .language:       OpenCL C
    .language_version:
      - 2
      - 0
    .max_flat_workgroup_size: 512
    .name:           _ZN7rocprim17ROCPRIM_400000_NS6detail17trampoline_kernelINS0_14default_configENS1_25partition_config_selectorILNS1_17partition_subalgoE8ElNS0_10empty_typeEbEEZZNS1_14partition_implILS5_8ELb0ES3_jPKlPS6_PKS6_NS0_5tupleIJPlS6_EEENSE_IJSB_SB_EEENS0_18inequality_wrapperIN6hipcub16HIPCUB_304000_NS8EqualityEEESF_JS6_EEE10hipError_tPvRmT3_T4_T5_T6_T7_T9_mT8_P12ihipStream_tbDpT10_ENKUlT_T0_E_clISt17integral_constantIbLb1EES16_EEDaS11_S12_EUlS11_E_NS1_11comp_targetILNS1_3genE3ELNS1_11target_archE908ELNS1_3gpuE7ELNS1_3repE0EEENS1_30default_config_static_selectorELNS0_4arch9wavefront6targetE1EEEvT1_
    .private_segment_fixed_size: 0
    .sgpr_count:     6
    .sgpr_spill_count: 0
    .symbol:         _ZN7rocprim17ROCPRIM_400000_NS6detail17trampoline_kernelINS0_14default_configENS1_25partition_config_selectorILNS1_17partition_subalgoE8ElNS0_10empty_typeEbEEZZNS1_14partition_implILS5_8ELb0ES3_jPKlPS6_PKS6_NS0_5tupleIJPlS6_EEENSE_IJSB_SB_EEENS0_18inequality_wrapperIN6hipcub16HIPCUB_304000_NS8EqualityEEESF_JS6_EEE10hipError_tPvRmT3_T4_T5_T6_T7_T9_mT8_P12ihipStream_tbDpT10_ENKUlT_T0_E_clISt17integral_constantIbLb1EES16_EEDaS11_S12_EUlS11_E_NS1_11comp_targetILNS1_3genE3ELNS1_11target_archE908ELNS1_3gpuE7ELNS1_3repE0EEENS1_30default_config_static_selectorELNS0_4arch9wavefront6targetE1EEEvT1_.kd
    .uniform_work_group_size: 1
    .uses_dynamic_stack: false
    .vgpr_count:     0
    .vgpr_spill_count: 0
    .wavefront_size: 64
  - .agpr_count:     0
    .args:
      - .offset:         0
        .size:           128
        .value_kind:     by_value
    .group_segment_fixed_size: 0
    .kernarg_segment_align: 8
    .kernarg_segment_size: 128
    .language:       OpenCL C
    .language_version:
      - 2
      - 0
    .max_flat_workgroup_size: 256
    .name:           _ZN7rocprim17ROCPRIM_400000_NS6detail17trampoline_kernelINS0_14default_configENS1_25partition_config_selectorILNS1_17partition_subalgoE8ElNS0_10empty_typeEbEEZZNS1_14partition_implILS5_8ELb0ES3_jPKlPS6_PKS6_NS0_5tupleIJPlS6_EEENSE_IJSB_SB_EEENS0_18inequality_wrapperIN6hipcub16HIPCUB_304000_NS8EqualityEEESF_JS6_EEE10hipError_tPvRmT3_T4_T5_T6_T7_T9_mT8_P12ihipStream_tbDpT10_ENKUlT_T0_E_clISt17integral_constantIbLb1EES16_EEDaS11_S12_EUlS11_E_NS1_11comp_targetILNS1_3genE2ELNS1_11target_archE906ELNS1_3gpuE6ELNS1_3repE0EEENS1_30default_config_static_selectorELNS0_4arch9wavefront6targetE1EEEvT1_
    .private_segment_fixed_size: 0
    .sgpr_count:     6
    .sgpr_spill_count: 0
    .symbol:         _ZN7rocprim17ROCPRIM_400000_NS6detail17trampoline_kernelINS0_14default_configENS1_25partition_config_selectorILNS1_17partition_subalgoE8ElNS0_10empty_typeEbEEZZNS1_14partition_implILS5_8ELb0ES3_jPKlPS6_PKS6_NS0_5tupleIJPlS6_EEENSE_IJSB_SB_EEENS0_18inequality_wrapperIN6hipcub16HIPCUB_304000_NS8EqualityEEESF_JS6_EEE10hipError_tPvRmT3_T4_T5_T6_T7_T9_mT8_P12ihipStream_tbDpT10_ENKUlT_T0_E_clISt17integral_constantIbLb1EES16_EEDaS11_S12_EUlS11_E_NS1_11comp_targetILNS1_3genE2ELNS1_11target_archE906ELNS1_3gpuE6ELNS1_3repE0EEENS1_30default_config_static_selectorELNS0_4arch9wavefront6targetE1EEEvT1_.kd
    .uniform_work_group_size: 1
    .uses_dynamic_stack: false
    .vgpr_count:     0
    .vgpr_spill_count: 0
    .wavefront_size: 64
  - .agpr_count:     0
    .args:
      - .offset:         0
        .size:           128
        .value_kind:     by_value
    .group_segment_fixed_size: 0
    .kernarg_segment_align: 8
    .kernarg_segment_size: 128
    .language:       OpenCL C
    .language_version:
      - 2
      - 0
    .max_flat_workgroup_size: 384
    .name:           _ZN7rocprim17ROCPRIM_400000_NS6detail17trampoline_kernelINS0_14default_configENS1_25partition_config_selectorILNS1_17partition_subalgoE8ElNS0_10empty_typeEbEEZZNS1_14partition_implILS5_8ELb0ES3_jPKlPS6_PKS6_NS0_5tupleIJPlS6_EEENSE_IJSB_SB_EEENS0_18inequality_wrapperIN6hipcub16HIPCUB_304000_NS8EqualityEEESF_JS6_EEE10hipError_tPvRmT3_T4_T5_T6_T7_T9_mT8_P12ihipStream_tbDpT10_ENKUlT_T0_E_clISt17integral_constantIbLb1EES16_EEDaS11_S12_EUlS11_E_NS1_11comp_targetILNS1_3genE10ELNS1_11target_archE1200ELNS1_3gpuE4ELNS1_3repE0EEENS1_30default_config_static_selectorELNS0_4arch9wavefront6targetE1EEEvT1_
    .private_segment_fixed_size: 0
    .sgpr_count:     6
    .sgpr_spill_count: 0
    .symbol:         _ZN7rocprim17ROCPRIM_400000_NS6detail17trampoline_kernelINS0_14default_configENS1_25partition_config_selectorILNS1_17partition_subalgoE8ElNS0_10empty_typeEbEEZZNS1_14partition_implILS5_8ELb0ES3_jPKlPS6_PKS6_NS0_5tupleIJPlS6_EEENSE_IJSB_SB_EEENS0_18inequality_wrapperIN6hipcub16HIPCUB_304000_NS8EqualityEEESF_JS6_EEE10hipError_tPvRmT3_T4_T5_T6_T7_T9_mT8_P12ihipStream_tbDpT10_ENKUlT_T0_E_clISt17integral_constantIbLb1EES16_EEDaS11_S12_EUlS11_E_NS1_11comp_targetILNS1_3genE10ELNS1_11target_archE1200ELNS1_3gpuE4ELNS1_3repE0EEENS1_30default_config_static_selectorELNS0_4arch9wavefront6targetE1EEEvT1_.kd
    .uniform_work_group_size: 1
    .uses_dynamic_stack: false
    .vgpr_count:     0
    .vgpr_spill_count: 0
    .wavefront_size: 64
  - .agpr_count:     0
    .args:
      - .offset:         0
        .size:           128
        .value_kind:     by_value
    .group_segment_fixed_size: 0
    .kernarg_segment_align: 8
    .kernarg_segment_size: 128
    .language:       OpenCL C
    .language_version:
      - 2
      - 0
    .max_flat_workgroup_size: 512
    .name:           _ZN7rocprim17ROCPRIM_400000_NS6detail17trampoline_kernelINS0_14default_configENS1_25partition_config_selectorILNS1_17partition_subalgoE8ElNS0_10empty_typeEbEEZZNS1_14partition_implILS5_8ELb0ES3_jPKlPS6_PKS6_NS0_5tupleIJPlS6_EEENSE_IJSB_SB_EEENS0_18inequality_wrapperIN6hipcub16HIPCUB_304000_NS8EqualityEEESF_JS6_EEE10hipError_tPvRmT3_T4_T5_T6_T7_T9_mT8_P12ihipStream_tbDpT10_ENKUlT_T0_E_clISt17integral_constantIbLb1EES16_EEDaS11_S12_EUlS11_E_NS1_11comp_targetILNS1_3genE9ELNS1_11target_archE1100ELNS1_3gpuE3ELNS1_3repE0EEENS1_30default_config_static_selectorELNS0_4arch9wavefront6targetE1EEEvT1_
    .private_segment_fixed_size: 0
    .sgpr_count:     6
    .sgpr_spill_count: 0
    .symbol:         _ZN7rocprim17ROCPRIM_400000_NS6detail17trampoline_kernelINS0_14default_configENS1_25partition_config_selectorILNS1_17partition_subalgoE8ElNS0_10empty_typeEbEEZZNS1_14partition_implILS5_8ELb0ES3_jPKlPS6_PKS6_NS0_5tupleIJPlS6_EEENSE_IJSB_SB_EEENS0_18inequality_wrapperIN6hipcub16HIPCUB_304000_NS8EqualityEEESF_JS6_EEE10hipError_tPvRmT3_T4_T5_T6_T7_T9_mT8_P12ihipStream_tbDpT10_ENKUlT_T0_E_clISt17integral_constantIbLb1EES16_EEDaS11_S12_EUlS11_E_NS1_11comp_targetILNS1_3genE9ELNS1_11target_archE1100ELNS1_3gpuE3ELNS1_3repE0EEENS1_30default_config_static_selectorELNS0_4arch9wavefront6targetE1EEEvT1_.kd
    .uniform_work_group_size: 1
    .uses_dynamic_stack: false
    .vgpr_count:     0
    .vgpr_spill_count: 0
    .wavefront_size: 64
  - .agpr_count:     0
    .args:
      - .offset:         0
        .size:           128
        .value_kind:     by_value
    .group_segment_fixed_size: 0
    .kernarg_segment_align: 8
    .kernarg_segment_size: 128
    .language:       OpenCL C
    .language_version:
      - 2
      - 0
    .max_flat_workgroup_size: 512
    .name:           _ZN7rocprim17ROCPRIM_400000_NS6detail17trampoline_kernelINS0_14default_configENS1_25partition_config_selectorILNS1_17partition_subalgoE8ElNS0_10empty_typeEbEEZZNS1_14partition_implILS5_8ELb0ES3_jPKlPS6_PKS6_NS0_5tupleIJPlS6_EEENSE_IJSB_SB_EEENS0_18inequality_wrapperIN6hipcub16HIPCUB_304000_NS8EqualityEEESF_JS6_EEE10hipError_tPvRmT3_T4_T5_T6_T7_T9_mT8_P12ihipStream_tbDpT10_ENKUlT_T0_E_clISt17integral_constantIbLb1EES16_EEDaS11_S12_EUlS11_E_NS1_11comp_targetILNS1_3genE8ELNS1_11target_archE1030ELNS1_3gpuE2ELNS1_3repE0EEENS1_30default_config_static_selectorELNS0_4arch9wavefront6targetE1EEEvT1_
    .private_segment_fixed_size: 0
    .sgpr_count:     6
    .sgpr_spill_count: 0
    .symbol:         _ZN7rocprim17ROCPRIM_400000_NS6detail17trampoline_kernelINS0_14default_configENS1_25partition_config_selectorILNS1_17partition_subalgoE8ElNS0_10empty_typeEbEEZZNS1_14partition_implILS5_8ELb0ES3_jPKlPS6_PKS6_NS0_5tupleIJPlS6_EEENSE_IJSB_SB_EEENS0_18inequality_wrapperIN6hipcub16HIPCUB_304000_NS8EqualityEEESF_JS6_EEE10hipError_tPvRmT3_T4_T5_T6_T7_T9_mT8_P12ihipStream_tbDpT10_ENKUlT_T0_E_clISt17integral_constantIbLb1EES16_EEDaS11_S12_EUlS11_E_NS1_11comp_targetILNS1_3genE8ELNS1_11target_archE1030ELNS1_3gpuE2ELNS1_3repE0EEENS1_30default_config_static_selectorELNS0_4arch9wavefront6targetE1EEEvT1_.kd
    .uniform_work_group_size: 1
    .uses_dynamic_stack: false
    .vgpr_count:     0
    .vgpr_spill_count: 0
    .wavefront_size: 64
  - .agpr_count:     0
    .args:
      - .offset:         0
        .size:           112
        .value_kind:     by_value
    .group_segment_fixed_size: 0
    .kernarg_segment_align: 8
    .kernarg_segment_size: 112
    .language:       OpenCL C
    .language_version:
      - 2
      - 0
    .max_flat_workgroup_size: 512
    .name:           _ZN7rocprim17ROCPRIM_400000_NS6detail17trampoline_kernelINS0_14default_configENS1_25partition_config_selectorILNS1_17partition_subalgoE8ElNS0_10empty_typeEbEEZZNS1_14partition_implILS5_8ELb0ES3_jPKlPS6_PKS6_NS0_5tupleIJPlS6_EEENSE_IJSB_SB_EEENS0_18inequality_wrapperIN6hipcub16HIPCUB_304000_NS8EqualityEEESF_JS6_EEE10hipError_tPvRmT3_T4_T5_T6_T7_T9_mT8_P12ihipStream_tbDpT10_ENKUlT_T0_E_clISt17integral_constantIbLb1EES15_IbLb0EEEEDaS11_S12_EUlS11_E_NS1_11comp_targetILNS1_3genE0ELNS1_11target_archE4294967295ELNS1_3gpuE0ELNS1_3repE0EEENS1_30default_config_static_selectorELNS0_4arch9wavefront6targetE1EEEvT1_
    .private_segment_fixed_size: 0
    .sgpr_count:     6
    .sgpr_spill_count: 0
    .symbol:         _ZN7rocprim17ROCPRIM_400000_NS6detail17trampoline_kernelINS0_14default_configENS1_25partition_config_selectorILNS1_17partition_subalgoE8ElNS0_10empty_typeEbEEZZNS1_14partition_implILS5_8ELb0ES3_jPKlPS6_PKS6_NS0_5tupleIJPlS6_EEENSE_IJSB_SB_EEENS0_18inequality_wrapperIN6hipcub16HIPCUB_304000_NS8EqualityEEESF_JS6_EEE10hipError_tPvRmT3_T4_T5_T6_T7_T9_mT8_P12ihipStream_tbDpT10_ENKUlT_T0_E_clISt17integral_constantIbLb1EES15_IbLb0EEEEDaS11_S12_EUlS11_E_NS1_11comp_targetILNS1_3genE0ELNS1_11target_archE4294967295ELNS1_3gpuE0ELNS1_3repE0EEENS1_30default_config_static_selectorELNS0_4arch9wavefront6targetE1EEEvT1_.kd
    .uniform_work_group_size: 1
    .uses_dynamic_stack: false
    .vgpr_count:     0
    .vgpr_spill_count: 0
    .wavefront_size: 64
  - .agpr_count:     0
    .args:
      - .offset:         0
        .size:           112
        .value_kind:     by_value
    .group_segment_fixed_size: 0
    .kernarg_segment_align: 8
    .kernarg_segment_size: 112
    .language:       OpenCL C
    .language_version:
      - 2
      - 0
    .max_flat_workgroup_size: 512
    .name:           _ZN7rocprim17ROCPRIM_400000_NS6detail17trampoline_kernelINS0_14default_configENS1_25partition_config_selectorILNS1_17partition_subalgoE8ElNS0_10empty_typeEbEEZZNS1_14partition_implILS5_8ELb0ES3_jPKlPS6_PKS6_NS0_5tupleIJPlS6_EEENSE_IJSB_SB_EEENS0_18inequality_wrapperIN6hipcub16HIPCUB_304000_NS8EqualityEEESF_JS6_EEE10hipError_tPvRmT3_T4_T5_T6_T7_T9_mT8_P12ihipStream_tbDpT10_ENKUlT_T0_E_clISt17integral_constantIbLb1EES15_IbLb0EEEEDaS11_S12_EUlS11_E_NS1_11comp_targetILNS1_3genE5ELNS1_11target_archE942ELNS1_3gpuE9ELNS1_3repE0EEENS1_30default_config_static_selectorELNS0_4arch9wavefront6targetE1EEEvT1_
    .private_segment_fixed_size: 0
    .sgpr_count:     6
    .sgpr_spill_count: 0
    .symbol:         _ZN7rocprim17ROCPRIM_400000_NS6detail17trampoline_kernelINS0_14default_configENS1_25partition_config_selectorILNS1_17partition_subalgoE8ElNS0_10empty_typeEbEEZZNS1_14partition_implILS5_8ELb0ES3_jPKlPS6_PKS6_NS0_5tupleIJPlS6_EEENSE_IJSB_SB_EEENS0_18inequality_wrapperIN6hipcub16HIPCUB_304000_NS8EqualityEEESF_JS6_EEE10hipError_tPvRmT3_T4_T5_T6_T7_T9_mT8_P12ihipStream_tbDpT10_ENKUlT_T0_E_clISt17integral_constantIbLb1EES15_IbLb0EEEEDaS11_S12_EUlS11_E_NS1_11comp_targetILNS1_3genE5ELNS1_11target_archE942ELNS1_3gpuE9ELNS1_3repE0EEENS1_30default_config_static_selectorELNS0_4arch9wavefront6targetE1EEEvT1_.kd
    .uniform_work_group_size: 1
    .uses_dynamic_stack: false
    .vgpr_count:     0
    .vgpr_spill_count: 0
    .wavefront_size: 64
  - .agpr_count:     0
    .args:
      - .offset:         0
        .size:           112
        .value_kind:     by_value
    .group_segment_fixed_size: 0
    .kernarg_segment_align: 8
    .kernarg_segment_size: 112
    .language:       OpenCL C
    .language_version:
      - 2
      - 0
    .max_flat_workgroup_size: 256
    .name:           _ZN7rocprim17ROCPRIM_400000_NS6detail17trampoline_kernelINS0_14default_configENS1_25partition_config_selectorILNS1_17partition_subalgoE8ElNS0_10empty_typeEbEEZZNS1_14partition_implILS5_8ELb0ES3_jPKlPS6_PKS6_NS0_5tupleIJPlS6_EEENSE_IJSB_SB_EEENS0_18inequality_wrapperIN6hipcub16HIPCUB_304000_NS8EqualityEEESF_JS6_EEE10hipError_tPvRmT3_T4_T5_T6_T7_T9_mT8_P12ihipStream_tbDpT10_ENKUlT_T0_E_clISt17integral_constantIbLb1EES15_IbLb0EEEEDaS11_S12_EUlS11_E_NS1_11comp_targetILNS1_3genE4ELNS1_11target_archE910ELNS1_3gpuE8ELNS1_3repE0EEENS1_30default_config_static_selectorELNS0_4arch9wavefront6targetE1EEEvT1_
    .private_segment_fixed_size: 0
    .sgpr_count:     6
    .sgpr_spill_count: 0
    .symbol:         _ZN7rocprim17ROCPRIM_400000_NS6detail17trampoline_kernelINS0_14default_configENS1_25partition_config_selectorILNS1_17partition_subalgoE8ElNS0_10empty_typeEbEEZZNS1_14partition_implILS5_8ELb0ES3_jPKlPS6_PKS6_NS0_5tupleIJPlS6_EEENSE_IJSB_SB_EEENS0_18inequality_wrapperIN6hipcub16HIPCUB_304000_NS8EqualityEEESF_JS6_EEE10hipError_tPvRmT3_T4_T5_T6_T7_T9_mT8_P12ihipStream_tbDpT10_ENKUlT_T0_E_clISt17integral_constantIbLb1EES15_IbLb0EEEEDaS11_S12_EUlS11_E_NS1_11comp_targetILNS1_3genE4ELNS1_11target_archE910ELNS1_3gpuE8ELNS1_3repE0EEENS1_30default_config_static_selectorELNS0_4arch9wavefront6targetE1EEEvT1_.kd
    .uniform_work_group_size: 1
    .uses_dynamic_stack: false
    .vgpr_count:     0
    .vgpr_spill_count: 0
    .wavefront_size: 64
  - .agpr_count:     0
    .args:
      - .offset:         0
        .size:           112
        .value_kind:     by_value
    .group_segment_fixed_size: 0
    .kernarg_segment_align: 8
    .kernarg_segment_size: 112
    .language:       OpenCL C
    .language_version:
      - 2
      - 0
    .max_flat_workgroup_size: 512
    .name:           _ZN7rocprim17ROCPRIM_400000_NS6detail17trampoline_kernelINS0_14default_configENS1_25partition_config_selectorILNS1_17partition_subalgoE8ElNS0_10empty_typeEbEEZZNS1_14partition_implILS5_8ELb0ES3_jPKlPS6_PKS6_NS0_5tupleIJPlS6_EEENSE_IJSB_SB_EEENS0_18inequality_wrapperIN6hipcub16HIPCUB_304000_NS8EqualityEEESF_JS6_EEE10hipError_tPvRmT3_T4_T5_T6_T7_T9_mT8_P12ihipStream_tbDpT10_ENKUlT_T0_E_clISt17integral_constantIbLb1EES15_IbLb0EEEEDaS11_S12_EUlS11_E_NS1_11comp_targetILNS1_3genE3ELNS1_11target_archE908ELNS1_3gpuE7ELNS1_3repE0EEENS1_30default_config_static_selectorELNS0_4arch9wavefront6targetE1EEEvT1_
    .private_segment_fixed_size: 0
    .sgpr_count:     6
    .sgpr_spill_count: 0
    .symbol:         _ZN7rocprim17ROCPRIM_400000_NS6detail17trampoline_kernelINS0_14default_configENS1_25partition_config_selectorILNS1_17partition_subalgoE8ElNS0_10empty_typeEbEEZZNS1_14partition_implILS5_8ELb0ES3_jPKlPS6_PKS6_NS0_5tupleIJPlS6_EEENSE_IJSB_SB_EEENS0_18inequality_wrapperIN6hipcub16HIPCUB_304000_NS8EqualityEEESF_JS6_EEE10hipError_tPvRmT3_T4_T5_T6_T7_T9_mT8_P12ihipStream_tbDpT10_ENKUlT_T0_E_clISt17integral_constantIbLb1EES15_IbLb0EEEEDaS11_S12_EUlS11_E_NS1_11comp_targetILNS1_3genE3ELNS1_11target_archE908ELNS1_3gpuE7ELNS1_3repE0EEENS1_30default_config_static_selectorELNS0_4arch9wavefront6targetE1EEEvT1_.kd
    .uniform_work_group_size: 1
    .uses_dynamic_stack: false
    .vgpr_count:     0
    .vgpr_spill_count: 0
    .wavefront_size: 64
  - .agpr_count:     0
    .args:
      - .offset:         0
        .size:           112
        .value_kind:     by_value
    .group_segment_fixed_size: 0
    .kernarg_segment_align: 8
    .kernarg_segment_size: 112
    .language:       OpenCL C
    .language_version:
      - 2
      - 0
    .max_flat_workgroup_size: 256
    .name:           _ZN7rocprim17ROCPRIM_400000_NS6detail17trampoline_kernelINS0_14default_configENS1_25partition_config_selectorILNS1_17partition_subalgoE8ElNS0_10empty_typeEbEEZZNS1_14partition_implILS5_8ELb0ES3_jPKlPS6_PKS6_NS0_5tupleIJPlS6_EEENSE_IJSB_SB_EEENS0_18inequality_wrapperIN6hipcub16HIPCUB_304000_NS8EqualityEEESF_JS6_EEE10hipError_tPvRmT3_T4_T5_T6_T7_T9_mT8_P12ihipStream_tbDpT10_ENKUlT_T0_E_clISt17integral_constantIbLb1EES15_IbLb0EEEEDaS11_S12_EUlS11_E_NS1_11comp_targetILNS1_3genE2ELNS1_11target_archE906ELNS1_3gpuE6ELNS1_3repE0EEENS1_30default_config_static_selectorELNS0_4arch9wavefront6targetE1EEEvT1_
    .private_segment_fixed_size: 0
    .sgpr_count:     6
    .sgpr_spill_count: 0
    .symbol:         _ZN7rocprim17ROCPRIM_400000_NS6detail17trampoline_kernelINS0_14default_configENS1_25partition_config_selectorILNS1_17partition_subalgoE8ElNS0_10empty_typeEbEEZZNS1_14partition_implILS5_8ELb0ES3_jPKlPS6_PKS6_NS0_5tupleIJPlS6_EEENSE_IJSB_SB_EEENS0_18inequality_wrapperIN6hipcub16HIPCUB_304000_NS8EqualityEEESF_JS6_EEE10hipError_tPvRmT3_T4_T5_T6_T7_T9_mT8_P12ihipStream_tbDpT10_ENKUlT_T0_E_clISt17integral_constantIbLb1EES15_IbLb0EEEEDaS11_S12_EUlS11_E_NS1_11comp_targetILNS1_3genE2ELNS1_11target_archE906ELNS1_3gpuE6ELNS1_3repE0EEENS1_30default_config_static_selectorELNS0_4arch9wavefront6targetE1EEEvT1_.kd
    .uniform_work_group_size: 1
    .uses_dynamic_stack: false
    .vgpr_count:     0
    .vgpr_spill_count: 0
    .wavefront_size: 64
  - .agpr_count:     0
    .args:
      - .offset:         0
        .size:           112
        .value_kind:     by_value
    .group_segment_fixed_size: 0
    .kernarg_segment_align: 8
    .kernarg_segment_size: 112
    .language:       OpenCL C
    .language_version:
      - 2
      - 0
    .max_flat_workgroup_size: 384
    .name:           _ZN7rocprim17ROCPRIM_400000_NS6detail17trampoline_kernelINS0_14default_configENS1_25partition_config_selectorILNS1_17partition_subalgoE8ElNS0_10empty_typeEbEEZZNS1_14partition_implILS5_8ELb0ES3_jPKlPS6_PKS6_NS0_5tupleIJPlS6_EEENSE_IJSB_SB_EEENS0_18inequality_wrapperIN6hipcub16HIPCUB_304000_NS8EqualityEEESF_JS6_EEE10hipError_tPvRmT3_T4_T5_T6_T7_T9_mT8_P12ihipStream_tbDpT10_ENKUlT_T0_E_clISt17integral_constantIbLb1EES15_IbLb0EEEEDaS11_S12_EUlS11_E_NS1_11comp_targetILNS1_3genE10ELNS1_11target_archE1200ELNS1_3gpuE4ELNS1_3repE0EEENS1_30default_config_static_selectorELNS0_4arch9wavefront6targetE1EEEvT1_
    .private_segment_fixed_size: 0
    .sgpr_count:     6
    .sgpr_spill_count: 0
    .symbol:         _ZN7rocprim17ROCPRIM_400000_NS6detail17trampoline_kernelINS0_14default_configENS1_25partition_config_selectorILNS1_17partition_subalgoE8ElNS0_10empty_typeEbEEZZNS1_14partition_implILS5_8ELb0ES3_jPKlPS6_PKS6_NS0_5tupleIJPlS6_EEENSE_IJSB_SB_EEENS0_18inequality_wrapperIN6hipcub16HIPCUB_304000_NS8EqualityEEESF_JS6_EEE10hipError_tPvRmT3_T4_T5_T6_T7_T9_mT8_P12ihipStream_tbDpT10_ENKUlT_T0_E_clISt17integral_constantIbLb1EES15_IbLb0EEEEDaS11_S12_EUlS11_E_NS1_11comp_targetILNS1_3genE10ELNS1_11target_archE1200ELNS1_3gpuE4ELNS1_3repE0EEENS1_30default_config_static_selectorELNS0_4arch9wavefront6targetE1EEEvT1_.kd
    .uniform_work_group_size: 1
    .uses_dynamic_stack: false
    .vgpr_count:     0
    .vgpr_spill_count: 0
    .wavefront_size: 64
  - .agpr_count:     0
    .args:
      - .offset:         0
        .size:           112
        .value_kind:     by_value
    .group_segment_fixed_size: 0
    .kernarg_segment_align: 8
    .kernarg_segment_size: 112
    .language:       OpenCL C
    .language_version:
      - 2
      - 0
    .max_flat_workgroup_size: 512
    .name:           _ZN7rocprim17ROCPRIM_400000_NS6detail17trampoline_kernelINS0_14default_configENS1_25partition_config_selectorILNS1_17partition_subalgoE8ElNS0_10empty_typeEbEEZZNS1_14partition_implILS5_8ELb0ES3_jPKlPS6_PKS6_NS0_5tupleIJPlS6_EEENSE_IJSB_SB_EEENS0_18inequality_wrapperIN6hipcub16HIPCUB_304000_NS8EqualityEEESF_JS6_EEE10hipError_tPvRmT3_T4_T5_T6_T7_T9_mT8_P12ihipStream_tbDpT10_ENKUlT_T0_E_clISt17integral_constantIbLb1EES15_IbLb0EEEEDaS11_S12_EUlS11_E_NS1_11comp_targetILNS1_3genE9ELNS1_11target_archE1100ELNS1_3gpuE3ELNS1_3repE0EEENS1_30default_config_static_selectorELNS0_4arch9wavefront6targetE1EEEvT1_
    .private_segment_fixed_size: 0
    .sgpr_count:     6
    .sgpr_spill_count: 0
    .symbol:         _ZN7rocprim17ROCPRIM_400000_NS6detail17trampoline_kernelINS0_14default_configENS1_25partition_config_selectorILNS1_17partition_subalgoE8ElNS0_10empty_typeEbEEZZNS1_14partition_implILS5_8ELb0ES3_jPKlPS6_PKS6_NS0_5tupleIJPlS6_EEENSE_IJSB_SB_EEENS0_18inequality_wrapperIN6hipcub16HIPCUB_304000_NS8EqualityEEESF_JS6_EEE10hipError_tPvRmT3_T4_T5_T6_T7_T9_mT8_P12ihipStream_tbDpT10_ENKUlT_T0_E_clISt17integral_constantIbLb1EES15_IbLb0EEEEDaS11_S12_EUlS11_E_NS1_11comp_targetILNS1_3genE9ELNS1_11target_archE1100ELNS1_3gpuE3ELNS1_3repE0EEENS1_30default_config_static_selectorELNS0_4arch9wavefront6targetE1EEEvT1_.kd
    .uniform_work_group_size: 1
    .uses_dynamic_stack: false
    .vgpr_count:     0
    .vgpr_spill_count: 0
    .wavefront_size: 64
  - .agpr_count:     0
    .args:
      - .offset:         0
        .size:           112
        .value_kind:     by_value
    .group_segment_fixed_size: 0
    .kernarg_segment_align: 8
    .kernarg_segment_size: 112
    .language:       OpenCL C
    .language_version:
      - 2
      - 0
    .max_flat_workgroup_size: 512
    .name:           _ZN7rocprim17ROCPRIM_400000_NS6detail17trampoline_kernelINS0_14default_configENS1_25partition_config_selectorILNS1_17partition_subalgoE8ElNS0_10empty_typeEbEEZZNS1_14partition_implILS5_8ELb0ES3_jPKlPS6_PKS6_NS0_5tupleIJPlS6_EEENSE_IJSB_SB_EEENS0_18inequality_wrapperIN6hipcub16HIPCUB_304000_NS8EqualityEEESF_JS6_EEE10hipError_tPvRmT3_T4_T5_T6_T7_T9_mT8_P12ihipStream_tbDpT10_ENKUlT_T0_E_clISt17integral_constantIbLb1EES15_IbLb0EEEEDaS11_S12_EUlS11_E_NS1_11comp_targetILNS1_3genE8ELNS1_11target_archE1030ELNS1_3gpuE2ELNS1_3repE0EEENS1_30default_config_static_selectorELNS0_4arch9wavefront6targetE1EEEvT1_
    .private_segment_fixed_size: 0
    .sgpr_count:     6
    .sgpr_spill_count: 0
    .symbol:         _ZN7rocprim17ROCPRIM_400000_NS6detail17trampoline_kernelINS0_14default_configENS1_25partition_config_selectorILNS1_17partition_subalgoE8ElNS0_10empty_typeEbEEZZNS1_14partition_implILS5_8ELb0ES3_jPKlPS6_PKS6_NS0_5tupleIJPlS6_EEENSE_IJSB_SB_EEENS0_18inequality_wrapperIN6hipcub16HIPCUB_304000_NS8EqualityEEESF_JS6_EEE10hipError_tPvRmT3_T4_T5_T6_T7_T9_mT8_P12ihipStream_tbDpT10_ENKUlT_T0_E_clISt17integral_constantIbLb1EES15_IbLb0EEEEDaS11_S12_EUlS11_E_NS1_11comp_targetILNS1_3genE8ELNS1_11target_archE1030ELNS1_3gpuE2ELNS1_3repE0EEENS1_30default_config_static_selectorELNS0_4arch9wavefront6targetE1EEEvT1_.kd
    .uniform_work_group_size: 1
    .uses_dynamic_stack: false
    .vgpr_count:     0
    .vgpr_spill_count: 0
    .wavefront_size: 64
  - .agpr_count:     0
    .args:
      - .offset:         0
        .size:           128
        .value_kind:     by_value
    .group_segment_fixed_size: 28680
    .kernarg_segment_align: 8
    .kernarg_segment_size: 128
    .language:       OpenCL C
    .language_version:
      - 2
      - 0
    .max_flat_workgroup_size: 512
    .name:           _ZN7rocprim17ROCPRIM_400000_NS6detail17trampoline_kernelINS0_14default_configENS1_25partition_config_selectorILNS1_17partition_subalgoE8ElNS0_10empty_typeEbEEZZNS1_14partition_implILS5_8ELb0ES3_jPKlPS6_PKS6_NS0_5tupleIJPlS6_EEENSE_IJSB_SB_EEENS0_18inequality_wrapperIN6hipcub16HIPCUB_304000_NS8EqualityEEESF_JS6_EEE10hipError_tPvRmT3_T4_T5_T6_T7_T9_mT8_P12ihipStream_tbDpT10_ENKUlT_T0_E_clISt17integral_constantIbLb0EES15_IbLb1EEEEDaS11_S12_EUlS11_E_NS1_11comp_targetILNS1_3genE0ELNS1_11target_archE4294967295ELNS1_3gpuE0ELNS1_3repE0EEENS1_30default_config_static_selectorELNS0_4arch9wavefront6targetE1EEEvT1_
    .private_segment_fixed_size: 0
    .sgpr_count:     46
    .sgpr_spill_count: 0
    .symbol:         _ZN7rocprim17ROCPRIM_400000_NS6detail17trampoline_kernelINS0_14default_configENS1_25partition_config_selectorILNS1_17partition_subalgoE8ElNS0_10empty_typeEbEEZZNS1_14partition_implILS5_8ELb0ES3_jPKlPS6_PKS6_NS0_5tupleIJPlS6_EEENSE_IJSB_SB_EEENS0_18inequality_wrapperIN6hipcub16HIPCUB_304000_NS8EqualityEEESF_JS6_EEE10hipError_tPvRmT3_T4_T5_T6_T7_T9_mT8_P12ihipStream_tbDpT10_ENKUlT_T0_E_clISt17integral_constantIbLb0EES15_IbLb1EEEEDaS11_S12_EUlS11_E_NS1_11comp_targetILNS1_3genE0ELNS1_11target_archE4294967295ELNS1_3gpuE0ELNS1_3repE0EEENS1_30default_config_static_selectorELNS0_4arch9wavefront6targetE1EEEvT1_.kd
    .uniform_work_group_size: 1
    .uses_dynamic_stack: false
    .vgpr_count:     59
    .vgpr_spill_count: 0
    .wavefront_size: 64
  - .agpr_count:     0
    .args:
      - .offset:         0
        .size:           128
        .value_kind:     by_value
    .group_segment_fixed_size: 0
    .kernarg_segment_align: 8
    .kernarg_segment_size: 128
    .language:       OpenCL C
    .language_version:
      - 2
      - 0
    .max_flat_workgroup_size: 512
    .name:           _ZN7rocprim17ROCPRIM_400000_NS6detail17trampoline_kernelINS0_14default_configENS1_25partition_config_selectorILNS1_17partition_subalgoE8ElNS0_10empty_typeEbEEZZNS1_14partition_implILS5_8ELb0ES3_jPKlPS6_PKS6_NS0_5tupleIJPlS6_EEENSE_IJSB_SB_EEENS0_18inequality_wrapperIN6hipcub16HIPCUB_304000_NS8EqualityEEESF_JS6_EEE10hipError_tPvRmT3_T4_T5_T6_T7_T9_mT8_P12ihipStream_tbDpT10_ENKUlT_T0_E_clISt17integral_constantIbLb0EES15_IbLb1EEEEDaS11_S12_EUlS11_E_NS1_11comp_targetILNS1_3genE5ELNS1_11target_archE942ELNS1_3gpuE9ELNS1_3repE0EEENS1_30default_config_static_selectorELNS0_4arch9wavefront6targetE1EEEvT1_
    .private_segment_fixed_size: 0
    .sgpr_count:     6
    .sgpr_spill_count: 0
    .symbol:         _ZN7rocprim17ROCPRIM_400000_NS6detail17trampoline_kernelINS0_14default_configENS1_25partition_config_selectorILNS1_17partition_subalgoE8ElNS0_10empty_typeEbEEZZNS1_14partition_implILS5_8ELb0ES3_jPKlPS6_PKS6_NS0_5tupleIJPlS6_EEENSE_IJSB_SB_EEENS0_18inequality_wrapperIN6hipcub16HIPCUB_304000_NS8EqualityEEESF_JS6_EEE10hipError_tPvRmT3_T4_T5_T6_T7_T9_mT8_P12ihipStream_tbDpT10_ENKUlT_T0_E_clISt17integral_constantIbLb0EES15_IbLb1EEEEDaS11_S12_EUlS11_E_NS1_11comp_targetILNS1_3genE5ELNS1_11target_archE942ELNS1_3gpuE9ELNS1_3repE0EEENS1_30default_config_static_selectorELNS0_4arch9wavefront6targetE1EEEvT1_.kd
    .uniform_work_group_size: 1
    .uses_dynamic_stack: false
    .vgpr_count:     0
    .vgpr_spill_count: 0
    .wavefront_size: 64
  - .agpr_count:     0
    .args:
      - .offset:         0
        .size:           128
        .value_kind:     by_value
    .group_segment_fixed_size: 0
    .kernarg_segment_align: 8
    .kernarg_segment_size: 128
    .language:       OpenCL C
    .language_version:
      - 2
      - 0
    .max_flat_workgroup_size: 256
    .name:           _ZN7rocprim17ROCPRIM_400000_NS6detail17trampoline_kernelINS0_14default_configENS1_25partition_config_selectorILNS1_17partition_subalgoE8ElNS0_10empty_typeEbEEZZNS1_14partition_implILS5_8ELb0ES3_jPKlPS6_PKS6_NS0_5tupleIJPlS6_EEENSE_IJSB_SB_EEENS0_18inequality_wrapperIN6hipcub16HIPCUB_304000_NS8EqualityEEESF_JS6_EEE10hipError_tPvRmT3_T4_T5_T6_T7_T9_mT8_P12ihipStream_tbDpT10_ENKUlT_T0_E_clISt17integral_constantIbLb0EES15_IbLb1EEEEDaS11_S12_EUlS11_E_NS1_11comp_targetILNS1_3genE4ELNS1_11target_archE910ELNS1_3gpuE8ELNS1_3repE0EEENS1_30default_config_static_selectorELNS0_4arch9wavefront6targetE1EEEvT1_
    .private_segment_fixed_size: 0
    .sgpr_count:     6
    .sgpr_spill_count: 0
    .symbol:         _ZN7rocprim17ROCPRIM_400000_NS6detail17trampoline_kernelINS0_14default_configENS1_25partition_config_selectorILNS1_17partition_subalgoE8ElNS0_10empty_typeEbEEZZNS1_14partition_implILS5_8ELb0ES3_jPKlPS6_PKS6_NS0_5tupleIJPlS6_EEENSE_IJSB_SB_EEENS0_18inequality_wrapperIN6hipcub16HIPCUB_304000_NS8EqualityEEESF_JS6_EEE10hipError_tPvRmT3_T4_T5_T6_T7_T9_mT8_P12ihipStream_tbDpT10_ENKUlT_T0_E_clISt17integral_constantIbLb0EES15_IbLb1EEEEDaS11_S12_EUlS11_E_NS1_11comp_targetILNS1_3genE4ELNS1_11target_archE910ELNS1_3gpuE8ELNS1_3repE0EEENS1_30default_config_static_selectorELNS0_4arch9wavefront6targetE1EEEvT1_.kd
    .uniform_work_group_size: 1
    .uses_dynamic_stack: false
    .vgpr_count:     0
    .vgpr_spill_count: 0
    .wavefront_size: 64
  - .agpr_count:     0
    .args:
      - .offset:         0
        .size:           128
        .value_kind:     by_value
    .group_segment_fixed_size: 0
    .kernarg_segment_align: 8
    .kernarg_segment_size: 128
    .language:       OpenCL C
    .language_version:
      - 2
      - 0
    .max_flat_workgroup_size: 512
    .name:           _ZN7rocprim17ROCPRIM_400000_NS6detail17trampoline_kernelINS0_14default_configENS1_25partition_config_selectorILNS1_17partition_subalgoE8ElNS0_10empty_typeEbEEZZNS1_14partition_implILS5_8ELb0ES3_jPKlPS6_PKS6_NS0_5tupleIJPlS6_EEENSE_IJSB_SB_EEENS0_18inequality_wrapperIN6hipcub16HIPCUB_304000_NS8EqualityEEESF_JS6_EEE10hipError_tPvRmT3_T4_T5_T6_T7_T9_mT8_P12ihipStream_tbDpT10_ENKUlT_T0_E_clISt17integral_constantIbLb0EES15_IbLb1EEEEDaS11_S12_EUlS11_E_NS1_11comp_targetILNS1_3genE3ELNS1_11target_archE908ELNS1_3gpuE7ELNS1_3repE0EEENS1_30default_config_static_selectorELNS0_4arch9wavefront6targetE1EEEvT1_
    .private_segment_fixed_size: 0
    .sgpr_count:     6
    .sgpr_spill_count: 0
    .symbol:         _ZN7rocprim17ROCPRIM_400000_NS6detail17trampoline_kernelINS0_14default_configENS1_25partition_config_selectorILNS1_17partition_subalgoE8ElNS0_10empty_typeEbEEZZNS1_14partition_implILS5_8ELb0ES3_jPKlPS6_PKS6_NS0_5tupleIJPlS6_EEENSE_IJSB_SB_EEENS0_18inequality_wrapperIN6hipcub16HIPCUB_304000_NS8EqualityEEESF_JS6_EEE10hipError_tPvRmT3_T4_T5_T6_T7_T9_mT8_P12ihipStream_tbDpT10_ENKUlT_T0_E_clISt17integral_constantIbLb0EES15_IbLb1EEEEDaS11_S12_EUlS11_E_NS1_11comp_targetILNS1_3genE3ELNS1_11target_archE908ELNS1_3gpuE7ELNS1_3repE0EEENS1_30default_config_static_selectorELNS0_4arch9wavefront6targetE1EEEvT1_.kd
    .uniform_work_group_size: 1
    .uses_dynamic_stack: false
    .vgpr_count:     0
    .vgpr_spill_count: 0
    .wavefront_size: 64
  - .agpr_count:     0
    .args:
      - .offset:         0
        .size:           128
        .value_kind:     by_value
    .group_segment_fixed_size: 0
    .kernarg_segment_align: 8
    .kernarg_segment_size: 128
    .language:       OpenCL C
    .language_version:
      - 2
      - 0
    .max_flat_workgroup_size: 256
    .name:           _ZN7rocprim17ROCPRIM_400000_NS6detail17trampoline_kernelINS0_14default_configENS1_25partition_config_selectorILNS1_17partition_subalgoE8ElNS0_10empty_typeEbEEZZNS1_14partition_implILS5_8ELb0ES3_jPKlPS6_PKS6_NS0_5tupleIJPlS6_EEENSE_IJSB_SB_EEENS0_18inequality_wrapperIN6hipcub16HIPCUB_304000_NS8EqualityEEESF_JS6_EEE10hipError_tPvRmT3_T4_T5_T6_T7_T9_mT8_P12ihipStream_tbDpT10_ENKUlT_T0_E_clISt17integral_constantIbLb0EES15_IbLb1EEEEDaS11_S12_EUlS11_E_NS1_11comp_targetILNS1_3genE2ELNS1_11target_archE906ELNS1_3gpuE6ELNS1_3repE0EEENS1_30default_config_static_selectorELNS0_4arch9wavefront6targetE1EEEvT1_
    .private_segment_fixed_size: 0
    .sgpr_count:     6
    .sgpr_spill_count: 0
    .symbol:         _ZN7rocprim17ROCPRIM_400000_NS6detail17trampoline_kernelINS0_14default_configENS1_25partition_config_selectorILNS1_17partition_subalgoE8ElNS0_10empty_typeEbEEZZNS1_14partition_implILS5_8ELb0ES3_jPKlPS6_PKS6_NS0_5tupleIJPlS6_EEENSE_IJSB_SB_EEENS0_18inequality_wrapperIN6hipcub16HIPCUB_304000_NS8EqualityEEESF_JS6_EEE10hipError_tPvRmT3_T4_T5_T6_T7_T9_mT8_P12ihipStream_tbDpT10_ENKUlT_T0_E_clISt17integral_constantIbLb0EES15_IbLb1EEEEDaS11_S12_EUlS11_E_NS1_11comp_targetILNS1_3genE2ELNS1_11target_archE906ELNS1_3gpuE6ELNS1_3repE0EEENS1_30default_config_static_selectorELNS0_4arch9wavefront6targetE1EEEvT1_.kd
    .uniform_work_group_size: 1
    .uses_dynamic_stack: false
    .vgpr_count:     0
    .vgpr_spill_count: 0
    .wavefront_size: 64
  - .agpr_count:     0
    .args:
      - .offset:         0
        .size:           128
        .value_kind:     by_value
    .group_segment_fixed_size: 0
    .kernarg_segment_align: 8
    .kernarg_segment_size: 128
    .language:       OpenCL C
    .language_version:
      - 2
      - 0
    .max_flat_workgroup_size: 384
    .name:           _ZN7rocprim17ROCPRIM_400000_NS6detail17trampoline_kernelINS0_14default_configENS1_25partition_config_selectorILNS1_17partition_subalgoE8ElNS0_10empty_typeEbEEZZNS1_14partition_implILS5_8ELb0ES3_jPKlPS6_PKS6_NS0_5tupleIJPlS6_EEENSE_IJSB_SB_EEENS0_18inequality_wrapperIN6hipcub16HIPCUB_304000_NS8EqualityEEESF_JS6_EEE10hipError_tPvRmT3_T4_T5_T6_T7_T9_mT8_P12ihipStream_tbDpT10_ENKUlT_T0_E_clISt17integral_constantIbLb0EES15_IbLb1EEEEDaS11_S12_EUlS11_E_NS1_11comp_targetILNS1_3genE10ELNS1_11target_archE1200ELNS1_3gpuE4ELNS1_3repE0EEENS1_30default_config_static_selectorELNS0_4arch9wavefront6targetE1EEEvT1_
    .private_segment_fixed_size: 0
    .sgpr_count:     6
    .sgpr_spill_count: 0
    .symbol:         _ZN7rocprim17ROCPRIM_400000_NS6detail17trampoline_kernelINS0_14default_configENS1_25partition_config_selectorILNS1_17partition_subalgoE8ElNS0_10empty_typeEbEEZZNS1_14partition_implILS5_8ELb0ES3_jPKlPS6_PKS6_NS0_5tupleIJPlS6_EEENSE_IJSB_SB_EEENS0_18inequality_wrapperIN6hipcub16HIPCUB_304000_NS8EqualityEEESF_JS6_EEE10hipError_tPvRmT3_T4_T5_T6_T7_T9_mT8_P12ihipStream_tbDpT10_ENKUlT_T0_E_clISt17integral_constantIbLb0EES15_IbLb1EEEEDaS11_S12_EUlS11_E_NS1_11comp_targetILNS1_3genE10ELNS1_11target_archE1200ELNS1_3gpuE4ELNS1_3repE0EEENS1_30default_config_static_selectorELNS0_4arch9wavefront6targetE1EEEvT1_.kd
    .uniform_work_group_size: 1
    .uses_dynamic_stack: false
    .vgpr_count:     0
    .vgpr_spill_count: 0
    .wavefront_size: 64
  - .agpr_count:     0
    .args:
      - .offset:         0
        .size:           128
        .value_kind:     by_value
    .group_segment_fixed_size: 0
    .kernarg_segment_align: 8
    .kernarg_segment_size: 128
    .language:       OpenCL C
    .language_version:
      - 2
      - 0
    .max_flat_workgroup_size: 512
    .name:           _ZN7rocprim17ROCPRIM_400000_NS6detail17trampoline_kernelINS0_14default_configENS1_25partition_config_selectorILNS1_17partition_subalgoE8ElNS0_10empty_typeEbEEZZNS1_14partition_implILS5_8ELb0ES3_jPKlPS6_PKS6_NS0_5tupleIJPlS6_EEENSE_IJSB_SB_EEENS0_18inequality_wrapperIN6hipcub16HIPCUB_304000_NS8EqualityEEESF_JS6_EEE10hipError_tPvRmT3_T4_T5_T6_T7_T9_mT8_P12ihipStream_tbDpT10_ENKUlT_T0_E_clISt17integral_constantIbLb0EES15_IbLb1EEEEDaS11_S12_EUlS11_E_NS1_11comp_targetILNS1_3genE9ELNS1_11target_archE1100ELNS1_3gpuE3ELNS1_3repE0EEENS1_30default_config_static_selectorELNS0_4arch9wavefront6targetE1EEEvT1_
    .private_segment_fixed_size: 0
    .sgpr_count:     6
    .sgpr_spill_count: 0
    .symbol:         _ZN7rocprim17ROCPRIM_400000_NS6detail17trampoline_kernelINS0_14default_configENS1_25partition_config_selectorILNS1_17partition_subalgoE8ElNS0_10empty_typeEbEEZZNS1_14partition_implILS5_8ELb0ES3_jPKlPS6_PKS6_NS0_5tupleIJPlS6_EEENSE_IJSB_SB_EEENS0_18inequality_wrapperIN6hipcub16HIPCUB_304000_NS8EqualityEEESF_JS6_EEE10hipError_tPvRmT3_T4_T5_T6_T7_T9_mT8_P12ihipStream_tbDpT10_ENKUlT_T0_E_clISt17integral_constantIbLb0EES15_IbLb1EEEEDaS11_S12_EUlS11_E_NS1_11comp_targetILNS1_3genE9ELNS1_11target_archE1100ELNS1_3gpuE3ELNS1_3repE0EEENS1_30default_config_static_selectorELNS0_4arch9wavefront6targetE1EEEvT1_.kd
    .uniform_work_group_size: 1
    .uses_dynamic_stack: false
    .vgpr_count:     0
    .vgpr_spill_count: 0
    .wavefront_size: 64
  - .agpr_count:     0
    .args:
      - .offset:         0
        .size:           128
        .value_kind:     by_value
    .group_segment_fixed_size: 0
    .kernarg_segment_align: 8
    .kernarg_segment_size: 128
    .language:       OpenCL C
    .language_version:
      - 2
      - 0
    .max_flat_workgroup_size: 512
    .name:           _ZN7rocprim17ROCPRIM_400000_NS6detail17trampoline_kernelINS0_14default_configENS1_25partition_config_selectorILNS1_17partition_subalgoE8ElNS0_10empty_typeEbEEZZNS1_14partition_implILS5_8ELb0ES3_jPKlPS6_PKS6_NS0_5tupleIJPlS6_EEENSE_IJSB_SB_EEENS0_18inequality_wrapperIN6hipcub16HIPCUB_304000_NS8EqualityEEESF_JS6_EEE10hipError_tPvRmT3_T4_T5_T6_T7_T9_mT8_P12ihipStream_tbDpT10_ENKUlT_T0_E_clISt17integral_constantIbLb0EES15_IbLb1EEEEDaS11_S12_EUlS11_E_NS1_11comp_targetILNS1_3genE8ELNS1_11target_archE1030ELNS1_3gpuE2ELNS1_3repE0EEENS1_30default_config_static_selectorELNS0_4arch9wavefront6targetE1EEEvT1_
    .private_segment_fixed_size: 0
    .sgpr_count:     6
    .sgpr_spill_count: 0
    .symbol:         _ZN7rocprim17ROCPRIM_400000_NS6detail17trampoline_kernelINS0_14default_configENS1_25partition_config_selectorILNS1_17partition_subalgoE8ElNS0_10empty_typeEbEEZZNS1_14partition_implILS5_8ELb0ES3_jPKlPS6_PKS6_NS0_5tupleIJPlS6_EEENSE_IJSB_SB_EEENS0_18inequality_wrapperIN6hipcub16HIPCUB_304000_NS8EqualityEEESF_JS6_EEE10hipError_tPvRmT3_T4_T5_T6_T7_T9_mT8_P12ihipStream_tbDpT10_ENKUlT_T0_E_clISt17integral_constantIbLb0EES15_IbLb1EEEEDaS11_S12_EUlS11_E_NS1_11comp_targetILNS1_3genE8ELNS1_11target_archE1030ELNS1_3gpuE2ELNS1_3repE0EEENS1_30default_config_static_selectorELNS0_4arch9wavefront6targetE1EEEvT1_.kd
    .uniform_work_group_size: 1
    .uses_dynamic_stack: false
    .vgpr_count:     0
    .vgpr_spill_count: 0
    .wavefront_size: 64
  - .agpr_count:     0
    .args:
      - .address_space:  global
        .offset:         0
        .size:           8
        .value_kind:     global_buffer
      - .address_space:  global
        .offset:         8
        .size:           8
        .value_kind:     global_buffer
      - .offset:         16
        .size:           8
        .value_kind:     by_value
      - .offset:         24
        .size:           8
        .value_kind:     by_value
      - .offset:         32
        .size:           8
        .value_kind:     by_value
      - .offset:         40
        .size:           8
        .value_kind:     by_value
      - .offset:         48
        .size:           8
        .value_kind:     by_value
      - .offset:         56
        .size:           8
        .value_kind:     by_value
      - .address_space:  global
        .offset:         64
        .size:           8
        .value_kind:     global_buffer
      - .offset:         72
        .size:           4
        .value_kind:     hidden_block_count_x
      - .offset:         76
        .size:           4
        .value_kind:     hidden_block_count_y
      - .offset:         80
        .size:           4
        .value_kind:     hidden_block_count_z
      - .offset:         84
        .size:           2
        .value_kind:     hidden_group_size_x
      - .offset:         86
        .size:           2
        .value_kind:     hidden_group_size_y
      - .offset:         88
        .size:           2
        .value_kind:     hidden_group_size_z
      - .offset:         90
        .size:           2
        .value_kind:     hidden_remainder_x
      - .offset:         92
        .size:           2
        .value_kind:     hidden_remainder_y
      - .offset:         94
        .size:           2
        .value_kind:     hidden_remainder_z
      - .offset:         112
        .size:           8
        .value_kind:     hidden_global_offset_x
      - .offset:         120
        .size:           8
        .value_kind:     hidden_global_offset_y
      - .offset:         128
        .size:           8
        .value_kind:     hidden_global_offset_z
      - .offset:         136
        .size:           2
        .value_kind:     hidden_grid_dims
      - .offset:         192
        .size:           4
        .value_kind:     hidden_dynamic_lds_size
    .group_segment_fixed_size: 0
    .kernarg_segment_align: 8
    .kernarg_segment_size: 328
    .language:       OpenCL C
    .language_version:
      - 2
      - 0
    .max_flat_workgroup_size: 1024
    .name:           _ZN2at6native12_GLOBAL__N_113renorm_kernelIddKlEEvPT_PT1_T0_S8_llllPS3_
    .private_segment_fixed_size: 0
    .sgpr_count:     72
    .sgpr_spill_count: 0
    .symbol:         _ZN2at6native12_GLOBAL__N_113renorm_kernelIddKlEEvPT_PT1_T0_S8_llllPS3_.kd
    .uniform_work_group_size: 1
    .uses_dynamic_stack: false
    .vgpr_count:     68
    .vgpr_spill_count: 0
    .wavefront_size: 64
  - .agpr_count:     0
    .args:
      - .address_space:  global
        .offset:         0
        .size:           8
        .value_kind:     global_buffer
      - .address_space:  global
        .offset:         8
        .size:           8
        .value_kind:     global_buffer
      - .offset:         16
        .size:           4
        .value_kind:     by_value
      - .offset:         20
        .size:           4
        .value_kind:     by_value
      - .offset:         24
        .size:           8
        .value_kind:     by_value
      - .offset:         32
        .size:           8
        .value_kind:     by_value
      - .offset:         40
        .size:           8
        .value_kind:     by_value
      - .offset:         48
        .size:           8
        .value_kind:     by_value
      - .address_space:  global
        .offset:         56
        .size:           8
        .value_kind:     global_buffer
      - .offset:         64
        .size:           4
        .value_kind:     hidden_block_count_x
      - .offset:         68
        .size:           4
        .value_kind:     hidden_block_count_y
      - .offset:         72
        .size:           4
        .value_kind:     hidden_block_count_z
      - .offset:         76
        .size:           2
        .value_kind:     hidden_group_size_x
      - .offset:         78
        .size:           2
        .value_kind:     hidden_group_size_y
      - .offset:         80
        .size:           2
        .value_kind:     hidden_group_size_z
      - .offset:         82
        .size:           2
        .value_kind:     hidden_remainder_x
      - .offset:         84
        .size:           2
        .value_kind:     hidden_remainder_y
      - .offset:         86
        .size:           2
        .value_kind:     hidden_remainder_z
      - .offset:         104
        .size:           8
        .value_kind:     hidden_global_offset_x
      - .offset:         112
        .size:           8
        .value_kind:     hidden_global_offset_y
      - .offset:         120
        .size:           8
        .value_kind:     hidden_global_offset_z
      - .offset:         128
        .size:           2
        .value_kind:     hidden_grid_dims
      - .offset:         184
        .size:           4
        .value_kind:     hidden_dynamic_lds_size
    .group_segment_fixed_size: 0
    .kernarg_segment_align: 8
    .kernarg_segment_size: 320
    .language:       OpenCL C
    .language_version:
      - 2
      - 0
    .max_flat_workgroup_size: 1024
    .name:           _ZN2at6native12_GLOBAL__N_113renorm_kernelIffKlEEvPT_PT1_T0_S8_llllPS3_
    .private_segment_fixed_size: 0
    .sgpr_count:     48
    .sgpr_spill_count: 0
    .symbol:         _ZN2at6native12_GLOBAL__N_113renorm_kernelIffKlEEvPT_PT1_T0_S8_llllPS3_.kd
    .uniform_work_group_size: 1
    .uses_dynamic_stack: false
    .vgpr_count:     25
    .vgpr_spill_count: 0
    .wavefront_size: 64
  - .agpr_count:     0
    .args:
      - .address_space:  global
        .offset:         0
        .size:           8
        .value_kind:     global_buffer
      - .address_space:  global
        .offset:         8
        .size:           8
        .value_kind:     global_buffer
      - .offset:         16
        .size:           4
        .value_kind:     by_value
      - .offset:         20
        .size:           4
        .value_kind:     by_value
      - .offset:         24
        .size:           8
        .value_kind:     by_value
      - .offset:         32
        .size:           8
        .value_kind:     by_value
      - .offset:         40
        .size:           8
        .value_kind:     by_value
      - .offset:         48
        .size:           8
        .value_kind:     by_value
      - .address_space:  global
        .offset:         56
        .size:           8
        .value_kind:     global_buffer
      - .offset:         64
        .size:           4
        .value_kind:     hidden_block_count_x
      - .offset:         68
        .size:           4
        .value_kind:     hidden_block_count_y
      - .offset:         72
        .size:           4
        .value_kind:     hidden_block_count_z
      - .offset:         76
        .size:           2
        .value_kind:     hidden_group_size_x
      - .offset:         78
        .size:           2
        .value_kind:     hidden_group_size_y
      - .offset:         80
        .size:           2
        .value_kind:     hidden_group_size_z
      - .offset:         82
        .size:           2
        .value_kind:     hidden_remainder_x
      - .offset:         84
        .size:           2
        .value_kind:     hidden_remainder_y
      - .offset:         86
        .size:           2
        .value_kind:     hidden_remainder_z
      - .offset:         104
        .size:           8
        .value_kind:     hidden_global_offset_x
      - .offset:         112
        .size:           8
        .value_kind:     hidden_global_offset_y
      - .offset:         120
        .size:           8
        .value_kind:     hidden_global_offset_z
      - .offset:         128
        .size:           2
        .value_kind:     hidden_grid_dims
      - .offset:         184
        .size:           4
        .value_kind:     hidden_dynamic_lds_size
    .group_segment_fixed_size: 0
    .kernarg_segment_align: 8
    .kernarg_segment_size: 320
    .language:       OpenCL C
    .language_version:
      - 2
      - 0
    .max_flat_workgroup_size: 1024
    .name:           _ZN2at6native12_GLOBAL__N_113renorm_kernelIN3c104HalfEfKlEEvPT_PT1_T0_SA_llllPS5_
    .private_segment_fixed_size: 0
    .sgpr_count:     48
    .sgpr_spill_count: 0
    .symbol:         _ZN2at6native12_GLOBAL__N_113renorm_kernelIN3c104HalfEfKlEEvPT_PT1_T0_SA_llllPS5_.kd
    .uniform_work_group_size: 1
    .uses_dynamic_stack: false
    .vgpr_count:     25
    .vgpr_spill_count: 0
    .wavefront_size: 64
  - .agpr_count:     0
    .args:
      - .address_space:  global
        .offset:         0
        .size:           8
        .value_kind:     global_buffer
      - .address_space:  global
        .offset:         8
        .size:           8
        .value_kind:     global_buffer
      - .offset:         16
        .size:           4
        .value_kind:     by_value
      - .offset:         20
        .size:           4
        .value_kind:     by_value
      - .offset:         24
        .size:           8
        .value_kind:     by_value
      - .offset:         32
        .size:           8
        .value_kind:     by_value
      - .offset:         40
        .size:           8
        .value_kind:     by_value
      - .offset:         48
        .size:           8
        .value_kind:     by_value
      - .address_space:  global
        .offset:         56
        .size:           8
        .value_kind:     global_buffer
      - .offset:         64
        .size:           4
        .value_kind:     hidden_block_count_x
      - .offset:         68
        .size:           4
        .value_kind:     hidden_block_count_y
      - .offset:         72
        .size:           4
        .value_kind:     hidden_block_count_z
      - .offset:         76
        .size:           2
        .value_kind:     hidden_group_size_x
      - .offset:         78
        .size:           2
        .value_kind:     hidden_group_size_y
      - .offset:         80
        .size:           2
        .value_kind:     hidden_group_size_z
      - .offset:         82
        .size:           2
        .value_kind:     hidden_remainder_x
      - .offset:         84
        .size:           2
        .value_kind:     hidden_remainder_y
      - .offset:         86
        .size:           2
        .value_kind:     hidden_remainder_z
      - .offset:         104
        .size:           8
        .value_kind:     hidden_global_offset_x
      - .offset:         112
        .size:           8
        .value_kind:     hidden_global_offset_y
      - .offset:         120
        .size:           8
        .value_kind:     hidden_global_offset_z
      - .offset:         128
        .size:           2
        .value_kind:     hidden_grid_dims
      - .offset:         184
        .size:           4
        .value_kind:     hidden_dynamic_lds_size
    .group_segment_fixed_size: 0
    .kernarg_segment_align: 8
    .kernarg_segment_size: 320
    .language:       OpenCL C
    .language_version:
      - 2
      - 0
    .max_flat_workgroup_size: 1024
    .name:           _ZN2at6native12_GLOBAL__N_113renorm_kernelIN3c108BFloat16EfKlEEvPT_PT1_T0_SA_llllPS5_
    .private_segment_fixed_size: 0
    .sgpr_count:     48
    .sgpr_spill_count: 0
    .symbol:         _ZN2at6native12_GLOBAL__N_113renorm_kernelIN3c108BFloat16EfKlEEvPT_PT1_T0_SA_llllPS5_.kd
    .uniform_work_group_size: 1
    .uses_dynamic_stack: false
    .vgpr_count:     25
    .vgpr_spill_count: 0
    .wavefront_size: 64
amdhsa.target:   amdgcn-amd-amdhsa--gfx950
amdhsa.version:
  - 1
  - 2
...

	.end_amdgpu_metadata
